;; amdgpu-corpus repo=pytorch/pytorch kind=compiled arch=gfx1030 opt=O3
	.amdgcn_target "amdgcn-amd-amdhsa--gfx1030"
	.amdhsa_code_object_version 6
	.section	.text._ZN2at6native29vectorized_elementwise_kernelILi16EZZZNS0_15sin_kernel_cudaERNS_18TensorIteratorBaseEENKUlvE0_clEvENKUlvE_clEvEUldE_St5arrayIPcLm2EEEEviT0_T1_,"axG",@progbits,_ZN2at6native29vectorized_elementwise_kernelILi16EZZZNS0_15sin_kernel_cudaERNS_18TensorIteratorBaseEENKUlvE0_clEvENKUlvE_clEvEUldE_St5arrayIPcLm2EEEEviT0_T1_,comdat
	.globl	_ZN2at6native29vectorized_elementwise_kernelILi16EZZZNS0_15sin_kernel_cudaERNS_18TensorIteratorBaseEENKUlvE0_clEvENKUlvE_clEvEUldE_St5arrayIPcLm2EEEEviT0_T1_ ; -- Begin function _ZN2at6native29vectorized_elementwise_kernelILi16EZZZNS0_15sin_kernel_cudaERNS_18TensorIteratorBaseEENKUlvE0_clEvENKUlvE_clEvEUldE_St5arrayIPcLm2EEEEviT0_T1_
	.p2align	8
	.type	_ZN2at6native29vectorized_elementwise_kernelILi16EZZZNS0_15sin_kernel_cudaERNS_18TensorIteratorBaseEENKUlvE0_clEvENKUlvE_clEvEUldE_St5arrayIPcLm2EEEEviT0_T1_,@function
_ZN2at6native29vectorized_elementwise_kernelILi16EZZZNS0_15sin_kernel_cudaERNS_18TensorIteratorBaseEENKUlvE0_clEvENKUlvE_clEvEUldE_St5arrayIPcLm2EEEEviT0_T1_: ; @_ZN2at6native29vectorized_elementwise_kernelILi16EZZZNS0_15sin_kernel_cudaERNS_18TensorIteratorBaseEENKUlvE0_clEvENKUlvE_clEvEUldE_St5arrayIPcLm2EEEEviT0_T1_
; %bb.0:
	s_clause 0x1
	s_load_dword s0, s[4:5], 0x0
	s_load_dwordx4 s[8:11], s[4:5], 0x8
	s_lshl_b32 s12, s6, 10
	s_waitcnt lgkmcnt(0)
	s_sub_i32 s33, s0, s12
	s_mov_b32 s0, -1
	s_cmpk_gt_i32 s33, 0x3ff
	s_cbranch_scc0 .LBB0_18
; %bb.1:
	s_ashr_i32 s13, s12, 31
	v_lshlrev_b32_e32 v25, 5, v0
	s_lshl_b64 s[14:15], s[12:13], 3
	v_mov_b32_e32 v13, 0
	s_add_u32 s0, s10, s14
	s_addc_u32 s1, s11, s15
                                        ; implicit-def: $vgpr26
                                        ; implicit-def: $vgpr9_vgpr10
                                        ; implicit-def: $vgpr11_vgpr12
	s_clause 0x1
	global_load_dwordx4 v[5:8], v25, s[0:1]
	global_load_dwordx4 v[1:4], v25, s[0:1] offset:16
	s_waitcnt vmcnt(1)
	v_cmp_ngt_f64_e64 s0, 0x41d00000, |v[5:6]|
	s_and_saveexec_b32 s1, s0
	s_xor_b32 s0, exec_lo, s1
	s_cbranch_execz .LBB0_3
; %bb.2:
	v_ldexp_f64 v[9:10], |v[5:6]|, 0xffffff80
	v_cmp_le_f64_e64 vcc_lo, 0x7b000000, |v[5:6]|
	v_trig_preop_f64 v[11:12], |v[5:6]|, 0
	v_and_b32_e32 v14, 0x7fffffff, v6
	v_trig_preop_f64 v[26:27], |v[5:6]|, 2
	s_mov_b32 s2, 0x54442d18
	s_mov_b32 s3, 0x3ff921fb
	;; [unrolled: 1-line block ×4, first 2 shown]
	v_cndmask_b32_e32 v10, v14, v10, vcc_lo
	v_cndmask_b32_e32 v9, v5, v9, vcc_lo
	v_trig_preop_f64 v[14:15], |v[5:6]|, 1
	v_mul_f64 v[16:17], v[11:12], v[9:10]
	v_mul_f64 v[32:33], v[26:27], v[9:10]
	;; [unrolled: 1-line block ×3, first 2 shown]
	v_fma_f64 v[11:12], v[11:12], v[9:10], -v[16:17]
	v_fma_f64 v[34:35], v[14:15], v[9:10], -v[18:19]
	;; [unrolled: 1-line block ×3, first 2 shown]
	v_add_f64 v[20:21], v[18:19], v[11:12]
	v_add_f64 v[22:23], v[20:21], -v[18:19]
	v_add_f64 v[30:31], v[16:17], v[20:21]
	v_add_f64 v[28:29], v[20:21], -v[22:23]
	v_add_f64 v[11:12], v[11:12], -v[22:23]
	v_add_f64 v[22:23], v[32:33], v[34:35]
	v_add_f64 v[16:17], v[30:31], -v[16:17]
	v_add_f64 v[14:15], v[18:19], -v[28:29]
	v_ldexp_f64 v[18:19], v[30:31], -2
	v_add_f64 v[16:17], v[20:21], -v[16:17]
	v_add_f64 v[11:12], v[11:12], v[14:15]
	v_fract_f64_e32 v[14:15], v[18:19]
	v_cmp_neq_f64_e64 vcc_lo, 0x7ff00000, |v[18:19]|
	v_add_f64 v[20:21], v[22:23], v[11:12]
	v_ldexp_f64 v[14:15], v[14:15], 2
	v_add_f64 v[18:19], v[16:17], v[20:21]
	v_cndmask_b32_e32 v29, 0, v15, vcc_lo
	v_cndmask_b32_e32 v28, 0, v14, vcc_lo
	v_add_f64 v[30:31], v[20:21], -v[22:23]
	v_add_f64 v[14:15], v[18:19], v[28:29]
	v_add_f64 v[16:17], v[18:19], -v[16:17]
	v_add_f64 v[40:41], v[20:21], -v[30:31]
	;; [unrolled: 1-line block ×3, first 2 shown]
	v_cmp_gt_f64_e32 vcc_lo, 0, v[14:15]
	v_add_f64 v[16:17], v[20:21], -v[16:17]
	v_cndmask_b32_e64 v14, 0, 0x40100000, vcc_lo
	v_add_f64 v[14:15], v[28:29], v[13:14]
	v_add_f64 v[28:29], v[22:23], -v[32:33]
	v_add_f64 v[36:37], v[18:19], v[14:15]
	v_add_f64 v[38:39], v[22:23], -v[28:29]
	v_add_f64 v[28:29], v[34:35], -v[28:29]
	;; [unrolled: 1-line block ×3, first 2 shown]
	v_cvt_i32_f64_e32 v24, v[36:37]
	v_add_f64 v[34:35], v[32:33], -v[38:39]
	v_add_f64 v[11:12], v[11:12], v[22:23]
	v_cvt_f64_i32_e32 v[30:31], v24
	v_add_f64 v[28:29], v[28:29], v[34:35]
	v_add_f64 v[14:15], v[14:15], -v[30:31]
	v_add_f64 v[11:12], v[28:29], v[11:12]
	v_add_f64 v[22:23], v[18:19], v[14:15]
	;; [unrolled: 1-line block ×3, first 2 shown]
	v_add_f64 v[11:12], v[22:23], -v[14:15]
	v_cmp_le_f64_e32 vcc_lo, 0.5, v[22:23]
	v_add_f64 v[9:10], v[16:17], v[9:10]
	v_add_f64 v[11:12], v[18:19], -v[11:12]
	v_cndmask_b32_e64 v14, 0, 0x3ff00000, vcc_lo
	v_add_co_ci_u32_e64 v26, null, 0, v24, vcc_lo
	v_add_f64 v[9:10], v[9:10], v[11:12]
	v_add_f64 v[11:12], v[22:23], -v[13:14]
	v_add_f64 v[13:14], v[11:12], v[9:10]
	v_mul_f64 v[15:16], v[13:14], s[2:3]
	v_add_f64 v[11:12], v[13:14], -v[11:12]
	v_fma_f64 v[17:18], v[13:14], s[2:3], -v[15:16]
	v_add_f64 v[9:10], v[9:10], -v[11:12]
	v_fma_f64 v[11:12], v[13:14], s[4:5], v[17:18]
	v_fma_f64 v[11:12], v[9:10], s[2:3], v[11:12]
	v_add_f64 v[9:10], v[15:16], v[11:12]
	v_add_f64 v[13:14], v[9:10], -v[15:16]
	v_add_f64 v[11:12], v[11:12], -v[13:14]
.LBB0_3:
	s_andn2_saveexec_b32 s0, s0
	s_cbranch_execz .LBB0_5
; %bb.4:
	s_mov_b32 s2, 0x6dc9c883
	s_mov_b32 s3, 0x3fe45f30
	;; [unrolled: 1-line block ×3, first 2 shown]
	v_mul_f64 v[9:10], |v[5:6]|, s[2:3]
	s_mov_b32 s2, 0x54442d18
	s_mov_b32 s3, 0xbff921fb
	;; [unrolled: 1-line block ×3, first 2 shown]
	v_rndne_f64_e32 v[13:14], v[9:10]
	v_fma_f64 v[9:10], v[13:14], s[2:3], |v[5:6]|
	v_mul_f64 v[11:12], v[13:14], s[4:5]
	s_mov_b32 s2, 0x252049c0
	s_mov_b32 s3, 0xb97b839a
	v_cvt_i32_f64_e32 v26, v[13:14]
	v_fma_f64 v[17:18], v[13:14], s[4:5], v[9:10]
	v_add_f64 v[15:16], v[9:10], v[11:12]
	s_mov_b32 s5, 0x3c91a626
	v_add_f64 v[9:10], v[9:10], -v[15:16]
	v_add_f64 v[15:16], v[15:16], -v[17:18]
	v_add_f64 v[9:10], v[9:10], v[11:12]
	v_fma_f64 v[11:12], v[13:14], s[4:5], v[11:12]
	v_add_f64 v[9:10], v[15:16], v[9:10]
	v_add_f64 v[9:10], v[9:10], -v[11:12]
	v_fma_f64 v[11:12], v[13:14], s[2:3], v[9:10]
	v_add_f64 v[9:10], v[17:18], v[11:12]
	v_add_f64 v[15:16], v[9:10], -v[17:18]
	v_add_f64 v[11:12], v[11:12], -v[15:16]
.LBB0_5:
	s_or_b32 exec_lo, exec_lo, s0
	v_cmp_ngt_f64_e64 s0, 0x41d00000, |v[7:8]|
                                        ; implicit-def: $vgpr27
                                        ; implicit-def: $vgpr13_vgpr14
                                        ; implicit-def: $vgpr15_vgpr16
	s_and_saveexec_b32 s1, s0
	s_xor_b32 s0, exec_lo, s1
	s_cbranch_execz .LBB0_7
; %bb.6:
	v_ldexp_f64 v[13:14], |v[7:8]|, 0xffffff80
	v_cmp_le_f64_e64 vcc_lo, 0x7b000000, |v[7:8]|
	v_trig_preop_f64 v[15:16], |v[7:8]|, 0
	v_and_b32_e32 v17, 0x7fffffff, v8
	v_trig_preop_f64 v[29:30], |v[7:8]|, 2
	v_mov_b32_e32 v37, 0
	s_mov_b32 s2, 0x54442d18
	s_mov_b32 s3, 0x3ff921fb
	;; [unrolled: 1-line block ×4, first 2 shown]
	v_cndmask_b32_e32 v14, v17, v14, vcc_lo
	v_cndmask_b32_e32 v13, v7, v13, vcc_lo
	v_trig_preop_f64 v[17:18], |v[7:8]|, 1
	v_mul_f64 v[19:20], v[15:16], v[13:14]
	v_mul_f64 v[35:36], v[29:30], v[13:14]
	;; [unrolled: 1-line block ×3, first 2 shown]
	v_fma_f64 v[15:16], v[15:16], v[13:14], -v[19:20]
	v_fma_f64 v[17:18], v[17:18], v[13:14], -v[21:22]
	;; [unrolled: 1-line block ×3, first 2 shown]
	v_add_f64 v[23:24], v[21:22], v[15:16]
	v_add_f64 v[27:28], v[23:24], -v[21:22]
	v_add_f64 v[33:34], v[19:20], v[23:24]
	v_add_f64 v[31:32], v[23:24], -v[27:28]
	v_add_f64 v[15:16], v[15:16], -v[27:28]
	v_ldexp_f64 v[27:28], v[33:34], -2
	v_add_f64 v[19:20], v[33:34], -v[19:20]
	v_add_f64 v[21:22], v[21:22], -v[31:32]
	v_add_f64 v[31:32], v[35:36], v[17:18]
	v_cmp_neq_f64_e64 vcc_lo, 0x7ff00000, |v[27:28]|
	v_add_f64 v[19:20], v[23:24], -v[19:20]
	v_add_f64 v[15:16], v[15:16], v[21:22]
	v_fract_f64_e32 v[21:22], v[27:28]
	v_add_f64 v[23:24], v[31:32], v[15:16]
	v_ldexp_f64 v[21:22], v[21:22], 2
	v_add_f64 v[27:28], v[19:20], v[23:24]
	v_cndmask_b32_e32 v22, 0, v22, vcc_lo
	v_cndmask_b32_e32 v21, 0, v21, vcc_lo
	v_add_f64 v[33:34], v[27:28], v[21:22]
	v_add_f64 v[19:20], v[27:28], -v[19:20]
	v_cmp_gt_f64_e32 vcc_lo, 0, v[33:34]
	v_add_f64 v[33:34], v[31:32], -v[35:36]
	v_add_f64 v[19:20], v[23:24], -v[19:20]
	v_cndmask_b32_e64 v38, 0, 0x40100000, vcc_lo
	v_add_f64 v[42:43], v[31:32], -v[33:34]
	v_add_f64 v[17:18], v[17:18], -v[33:34]
	v_add_f64 v[21:22], v[21:22], v[37:38]
	v_add_f64 v[38:39], v[23:24], -v[31:32]
	v_add_f64 v[33:34], v[35:36], -v[42:43]
	v_add_f64 v[40:41], v[27:28], v[21:22]
	;; [unrolled: 3-line block ×3, first 2 shown]
	v_cvt_i32_f64_e32 v40, v[40:41]
	v_add_f64 v[31:32], v[31:32], -v[44:45]
	v_cvt_f64_i32_e32 v[38:39], v40
	v_add_f64 v[15:16], v[15:16], v[31:32]
	v_add_f64 v[21:22], v[21:22], -v[38:39]
	v_add_f64 v[15:16], v[17:18], v[15:16]
	v_add_f64 v[17:18], v[27:28], v[21:22]
	;; [unrolled: 1-line block ×3, first 2 shown]
	v_add_f64 v[15:16], v[17:18], -v[21:22]
	v_cmp_le_f64_e32 vcc_lo, 0.5, v[17:18]
	v_add_f64 v[13:14], v[19:20], v[13:14]
	v_add_f64 v[15:16], v[27:28], -v[15:16]
	v_cndmask_b32_e64 v38, 0, 0x3ff00000, vcc_lo
	v_add_co_ci_u32_e64 v27, null, 0, v40, vcc_lo
	v_add_f64 v[13:14], v[13:14], v[15:16]
	v_add_f64 v[15:16], v[17:18], -v[37:38]
	v_add_f64 v[17:18], v[15:16], v[13:14]
	v_mul_f64 v[19:20], v[17:18], s[2:3]
	v_add_f64 v[15:16], v[17:18], -v[15:16]
	v_fma_f64 v[21:22], v[17:18], s[2:3], -v[19:20]
	v_add_f64 v[13:14], v[13:14], -v[15:16]
	v_fma_f64 v[15:16], v[17:18], s[4:5], v[21:22]
	v_fma_f64 v[15:16], v[13:14], s[2:3], v[15:16]
	v_add_f64 v[13:14], v[19:20], v[15:16]
	v_add_f64 v[17:18], v[13:14], -v[19:20]
	v_add_f64 v[15:16], v[15:16], -v[17:18]
.LBB0_7:
	s_andn2_saveexec_b32 s0, s0
	s_cbranch_execz .LBB0_9
; %bb.8:
	s_mov_b32 s2, 0x6dc9c883
	s_mov_b32 s3, 0x3fe45f30
	;; [unrolled: 1-line block ×3, first 2 shown]
	v_mul_f64 v[13:14], |v[7:8]|, s[2:3]
	s_mov_b32 s2, 0x54442d18
	s_mov_b32 s3, 0xbff921fb
	;; [unrolled: 1-line block ×3, first 2 shown]
	v_rndne_f64_e32 v[17:18], v[13:14]
	v_fma_f64 v[13:14], v[17:18], s[2:3], |v[7:8]|
	v_mul_f64 v[15:16], v[17:18], s[4:5]
	s_mov_b32 s2, 0x252049c0
	s_mov_b32 s3, 0xb97b839a
	v_cvt_i32_f64_e32 v27, v[17:18]
	v_fma_f64 v[21:22], v[17:18], s[4:5], v[13:14]
	v_add_f64 v[19:20], v[13:14], v[15:16]
	s_mov_b32 s5, 0x3c91a626
	v_add_f64 v[13:14], v[13:14], -v[19:20]
	v_add_f64 v[19:20], v[19:20], -v[21:22]
	v_add_f64 v[13:14], v[13:14], v[15:16]
	v_fma_f64 v[15:16], v[17:18], s[4:5], v[15:16]
	v_add_f64 v[13:14], v[19:20], v[13:14]
	v_add_f64 v[13:14], v[13:14], -v[15:16]
	v_fma_f64 v[15:16], v[17:18], s[2:3], v[13:14]
	v_add_f64 v[13:14], v[21:22], v[15:16]
	v_add_f64 v[19:20], v[13:14], -v[21:22]
	v_add_f64 v[15:16], v[15:16], -v[19:20]
.LBB0_9:
	s_or_b32 exec_lo, exec_lo, s0
	s_waitcnt vmcnt(0)
	v_cmp_ngt_f64_e64 s0, 0x41d00000, |v[1:2]|
                                        ; implicit-def: $vgpr28
                                        ; implicit-def: $vgpr17_vgpr18
                                        ; implicit-def: $vgpr19_vgpr20
	s_and_saveexec_b32 s1, s0
	s_xor_b32 s0, exec_lo, s1
	s_cbranch_execz .LBB0_11
; %bb.10:
	v_ldexp_f64 v[17:18], |v[1:2]|, 0xffffff80
	v_cmp_le_f64_e64 vcc_lo, 0x7b000000, |v[1:2]|
	v_trig_preop_f64 v[19:20], |v[1:2]|, 0
	v_and_b32_e32 v21, 0x7fffffff, v2
	v_trig_preop_f64 v[34:35], |v[1:2]|, 2
	v_mov_b32_e32 v42, 0
	s_mov_b32 s2, 0x54442d18
	s_mov_b32 s3, 0x3ff921fb
	;; [unrolled: 1-line block ×4, first 2 shown]
	v_cndmask_b32_e32 v18, v21, v18, vcc_lo
	v_cndmask_b32_e32 v17, v1, v17, vcc_lo
	v_trig_preop_f64 v[21:22], |v[1:2]|, 1
	v_mul_f64 v[23:24], v[19:20], v[17:18]
	v_mul_f64 v[40:41], v[34:35], v[17:18]
	;; [unrolled: 1-line block ×3, first 2 shown]
	v_fma_f64 v[19:20], v[19:20], v[17:18], -v[23:24]
	v_fma_f64 v[21:22], v[21:22], v[17:18], -v[28:29]
	v_fma_f64 v[17:18], v[34:35], v[17:18], -v[40:41]
	v_add_f64 v[30:31], v[28:29], v[19:20]
	v_add_f64 v[32:33], v[30:31], -v[28:29]
	v_add_f64 v[38:39], v[23:24], v[30:31]
	v_add_f64 v[36:37], v[30:31], -v[32:33]
	v_add_f64 v[19:20], v[19:20], -v[32:33]
	v_ldexp_f64 v[32:33], v[38:39], -2
	v_add_f64 v[23:24], v[38:39], -v[23:24]
	v_add_f64 v[28:29], v[28:29], -v[36:37]
	v_add_f64 v[36:37], v[40:41], v[21:22]
	v_cmp_neq_f64_e64 vcc_lo, 0x7ff00000, |v[32:33]|
	v_add_f64 v[23:24], v[30:31], -v[23:24]
	v_add_f64 v[19:20], v[19:20], v[28:29]
	v_fract_f64_e32 v[28:29], v[32:33]
	v_add_f64 v[30:31], v[36:37], v[19:20]
	v_ldexp_f64 v[28:29], v[28:29], 2
	v_add_f64 v[32:33], v[23:24], v[30:31]
	v_cndmask_b32_e32 v29, 0, v29, vcc_lo
	v_cndmask_b32_e32 v28, 0, v28, vcc_lo
	v_add_f64 v[38:39], v[32:33], v[28:29]
	v_add_f64 v[23:24], v[32:33], -v[23:24]
	v_cmp_gt_f64_e32 vcc_lo, 0, v[38:39]
	v_add_f64 v[38:39], v[36:37], -v[40:41]
	v_add_f64 v[23:24], v[30:31], -v[23:24]
	v_cndmask_b32_e64 v43, 0, 0x40100000, vcc_lo
	v_add_f64 v[47:48], v[36:37], -v[38:39]
	v_add_f64 v[21:22], v[21:22], -v[38:39]
	v_add_f64 v[28:29], v[28:29], v[42:43]
	v_add_f64 v[43:44], v[30:31], -v[36:37]
	v_add_f64 v[38:39], v[40:41], -v[47:48]
	v_add_f64 v[45:46], v[32:33], v[28:29]
	;; [unrolled: 3-line block ×3, first 2 shown]
	v_cvt_i32_f64_e32 v45, v[45:46]
	v_add_f64 v[36:37], v[36:37], -v[49:50]
	v_cvt_f64_i32_e32 v[43:44], v45
	v_add_f64 v[19:20], v[19:20], v[36:37]
	v_add_f64 v[28:29], v[28:29], -v[43:44]
	v_add_f64 v[19:20], v[21:22], v[19:20]
	v_add_f64 v[21:22], v[32:33], v[28:29]
	;; [unrolled: 1-line block ×3, first 2 shown]
	v_add_f64 v[19:20], v[21:22], -v[28:29]
	v_cmp_le_f64_e32 vcc_lo, 0.5, v[21:22]
	v_add_f64 v[17:18], v[23:24], v[17:18]
	v_add_f64 v[19:20], v[32:33], -v[19:20]
	v_cndmask_b32_e64 v43, 0, 0x3ff00000, vcc_lo
	v_add_co_ci_u32_e64 v28, null, 0, v45, vcc_lo
	v_add_f64 v[17:18], v[17:18], v[19:20]
	v_add_f64 v[19:20], v[21:22], -v[42:43]
	v_add_f64 v[21:22], v[19:20], v[17:18]
	v_mul_f64 v[23:24], v[21:22], s[2:3]
	v_add_f64 v[19:20], v[21:22], -v[19:20]
	v_fma_f64 v[29:30], v[21:22], s[2:3], -v[23:24]
	v_add_f64 v[17:18], v[17:18], -v[19:20]
	v_fma_f64 v[19:20], v[21:22], s[4:5], v[29:30]
	v_fma_f64 v[19:20], v[17:18], s[2:3], v[19:20]
	v_add_f64 v[17:18], v[23:24], v[19:20]
	v_add_f64 v[21:22], v[17:18], -v[23:24]
	v_add_f64 v[19:20], v[19:20], -v[21:22]
.LBB0_11:
	s_andn2_saveexec_b32 s0, s0
	s_cbranch_execz .LBB0_13
; %bb.12:
	s_mov_b32 s2, 0x6dc9c883
	s_mov_b32 s3, 0x3fe45f30
	;; [unrolled: 1-line block ×3, first 2 shown]
	v_mul_f64 v[17:18], |v[1:2]|, s[2:3]
	s_mov_b32 s2, 0x54442d18
	s_mov_b32 s3, 0xbff921fb
	;; [unrolled: 1-line block ×3, first 2 shown]
	v_rndne_f64_e32 v[21:22], v[17:18]
	v_fma_f64 v[17:18], v[21:22], s[2:3], |v[1:2]|
	v_mul_f64 v[19:20], v[21:22], s[4:5]
	s_mov_b32 s2, 0x252049c0
	s_mov_b32 s3, 0xb97b839a
	v_fma_f64 v[28:29], v[21:22], s[4:5], v[17:18]
	v_add_f64 v[23:24], v[17:18], v[19:20]
	s_mov_b32 s5, 0x3c91a626
	v_add_f64 v[17:18], v[17:18], -v[23:24]
	v_add_f64 v[23:24], v[23:24], -v[28:29]
	v_add_f64 v[17:18], v[17:18], v[19:20]
	v_fma_f64 v[19:20], v[21:22], s[4:5], v[19:20]
	v_add_f64 v[17:18], v[23:24], v[17:18]
	v_add_f64 v[17:18], v[17:18], -v[19:20]
	v_fma_f64 v[19:20], v[21:22], s[2:3], v[17:18]
	v_add_f64 v[17:18], v[28:29], v[19:20]
	v_add_f64 v[23:24], v[17:18], -v[28:29]
	v_cvt_i32_f64_e32 v28, v[21:22]
	v_add_f64 v[19:20], v[19:20], -v[23:24]
.LBB0_13:
	s_or_b32 exec_lo, exec_lo, s0
	v_cmp_ngt_f64_e64 s0, 0x41d00000, |v[3:4]|
                                        ; implicit-def: $vgpr29
                                        ; implicit-def: $vgpr21_vgpr22
                                        ; implicit-def: $vgpr23_vgpr24
	s_and_saveexec_b32 s1, s0
	s_xor_b32 s0, exec_lo, s1
	s_cbranch_execz .LBB0_15
; %bb.14:
	v_ldexp_f64 v[21:22], |v[3:4]|, 0xffffff80
	v_cmp_le_f64_e64 vcc_lo, 0x7b000000, |v[3:4]|
	v_trig_preop_f64 v[23:24], |v[3:4]|, 0
	v_and_b32_e32 v29, 0x7fffffff, v4
	v_trig_preop_f64 v[39:40], |v[3:4]|, 2
	v_mov_b32_e32 v47, 0
	s_mov_b32 s2, 0x54442d18
	s_mov_b32 s3, 0x3ff921fb
	;; [unrolled: 1-line block ×4, first 2 shown]
	v_cndmask_b32_e32 v22, v29, v22, vcc_lo
	v_cndmask_b32_e32 v21, v3, v21, vcc_lo
	v_trig_preop_f64 v[29:30], |v[3:4]|, 1
	v_mul_f64 v[31:32], v[23:24], v[21:22]
	v_mul_f64 v[45:46], v[39:40], v[21:22]
	;; [unrolled: 1-line block ×3, first 2 shown]
	v_fma_f64 v[23:24], v[23:24], v[21:22], -v[31:32]
	v_fma_f64 v[29:30], v[29:30], v[21:22], -v[33:34]
	;; [unrolled: 1-line block ×3, first 2 shown]
	v_add_f64 v[35:36], v[33:34], v[23:24]
	v_add_f64 v[37:38], v[35:36], -v[33:34]
	v_add_f64 v[43:44], v[31:32], v[35:36]
	v_add_f64 v[41:42], v[35:36], -v[37:38]
	v_add_f64 v[23:24], v[23:24], -v[37:38]
	v_ldexp_f64 v[37:38], v[43:44], -2
	v_add_f64 v[31:32], v[43:44], -v[31:32]
	v_add_f64 v[33:34], v[33:34], -v[41:42]
	v_add_f64 v[41:42], v[45:46], v[29:30]
	v_cmp_neq_f64_e64 vcc_lo, 0x7ff00000, |v[37:38]|
	v_add_f64 v[31:32], v[35:36], -v[31:32]
	v_add_f64 v[23:24], v[23:24], v[33:34]
	v_fract_f64_e32 v[33:34], v[37:38]
	v_add_f64 v[35:36], v[41:42], v[23:24]
	v_ldexp_f64 v[33:34], v[33:34], 2
	v_add_f64 v[37:38], v[31:32], v[35:36]
	v_cndmask_b32_e32 v34, 0, v34, vcc_lo
	v_cndmask_b32_e32 v33, 0, v33, vcc_lo
	v_add_f64 v[43:44], v[37:38], v[33:34]
	v_add_f64 v[31:32], v[37:38], -v[31:32]
	v_cmp_gt_f64_e32 vcc_lo, 0, v[43:44]
	v_add_f64 v[43:44], v[41:42], -v[45:46]
	v_cndmask_b32_e64 v48, 0, 0x40100000, vcc_lo
	v_add_f64 v[52:53], v[41:42], -v[43:44]
	v_add_f64 v[29:30], v[29:30], -v[43:44]
	v_add_f64 v[33:34], v[33:34], v[47:48]
	v_add_f64 v[48:49], v[35:36], -v[41:42]
	v_add_f64 v[43:44], v[45:46], -v[52:53]
	v_add_f64 v[50:51], v[37:38], v[33:34]
	;; [unrolled: 3-line block ×3, first 2 shown]
	v_cvt_i32_f64_e32 v50, v[50:51]
	v_add_f64 v[41:42], v[41:42], -v[54:55]
	v_cvt_f64_i32_e32 v[48:49], v50
	v_add_f64 v[23:24], v[23:24], v[41:42]
	v_add_f64 v[33:34], v[33:34], -v[48:49]
	v_add_f64 v[23:24], v[29:30], v[23:24]
	v_add_f64 v[29:30], v[35:36], -v[31:32]
	v_add_f64 v[39:40], v[37:38], v[33:34]
	v_add_f64 v[21:22], v[21:22], v[23:24]
	v_add_f64 v[23:24], v[39:40], -v[33:34]
	v_cmp_le_f64_e32 vcc_lo, 0.5, v[39:40]
	v_add_f64 v[21:22], v[29:30], v[21:22]
	v_add_f64 v[23:24], v[37:38], -v[23:24]
	v_cndmask_b32_e64 v48, 0, 0x3ff00000, vcc_lo
	v_add_co_ci_u32_e64 v29, null, 0, v50, vcc_lo
	v_add_f64 v[21:22], v[21:22], v[23:24]
	v_add_f64 v[23:24], v[39:40], -v[47:48]
	v_add_f64 v[30:31], v[23:24], v[21:22]
	v_mul_f64 v[32:33], v[30:31], s[2:3]
	v_add_f64 v[23:24], v[30:31], -v[23:24]
	v_fma_f64 v[34:35], v[30:31], s[2:3], -v[32:33]
	v_add_f64 v[21:22], v[21:22], -v[23:24]
	v_fma_f64 v[23:24], v[30:31], s[4:5], v[34:35]
	v_fma_f64 v[23:24], v[21:22], s[2:3], v[23:24]
	v_add_f64 v[21:22], v[32:33], v[23:24]
	v_add_f64 v[30:31], v[21:22], -v[32:33]
	v_add_f64 v[23:24], v[23:24], -v[30:31]
.LBB0_15:
	s_andn2_saveexec_b32 s0, s0
	s_cbranch_execz .LBB0_17
; %bb.16:
	s_mov_b32 s2, 0x6dc9c883
	s_mov_b32 s3, 0x3fe45f30
	;; [unrolled: 1-line block ×3, first 2 shown]
	v_mul_f64 v[21:22], |v[3:4]|, s[2:3]
	s_mov_b32 s2, 0x54442d18
	s_mov_b32 s3, 0xbff921fb
	;; [unrolled: 1-line block ×3, first 2 shown]
	v_rndne_f64_e32 v[29:30], v[21:22]
	v_fma_f64 v[21:22], v[29:30], s[2:3], |v[3:4]|
	v_mul_f64 v[23:24], v[29:30], s[4:5]
	s_mov_b32 s2, 0x252049c0
	s_mov_b32 s3, 0xb97b839a
	v_fma_f64 v[33:34], v[29:30], s[4:5], v[21:22]
	v_add_f64 v[31:32], v[21:22], v[23:24]
	s_mov_b32 s5, 0x3c91a626
	v_add_f64 v[21:22], v[21:22], -v[31:32]
	v_add_f64 v[31:32], v[31:32], -v[33:34]
	v_add_f64 v[21:22], v[21:22], v[23:24]
	v_fma_f64 v[23:24], v[29:30], s[4:5], v[23:24]
	v_add_f64 v[21:22], v[31:32], v[21:22]
	v_add_f64 v[21:22], v[21:22], -v[23:24]
	v_fma_f64 v[23:24], v[29:30], s[2:3], v[21:22]
	v_cvt_i32_f64_e32 v29, v[29:30]
	v_add_f64 v[21:22], v[33:34], v[23:24]
	v_add_f64 v[31:32], v[21:22], -v[33:34]
	v_add_f64 v[23:24], v[23:24], -v[31:32]
.LBB0_17:
	s_or_b32 exec_lo, exec_lo, s0
	v_mul_f64 v[30:31], v[17:18], v[17:18]
	v_mul_f64 v[32:33], v[13:14], v[13:14]
	s_mov_b32 s4, 0xb42fdfa7
	s_mov_b32 s6, 0xf9a43bb8
	s_mov_b32 s0, 0x9037ab78
	s_mov_b32 s2, 0x46cc5e42
	s_mov_b32 s5, 0xbe5ae600
	s_mov_b32 s7, 0x3de5e0b2
	s_mov_b32 s1, 0x3e21eeb6
	s_mov_b32 s3, 0xbda907db
	s_mov_b32 s18, 0x796cde01
	s_mov_b32 s16, 0xa17f65f6
	s_mov_b32 s19, 0x3ec71de3
	s_mov_b32 s17, 0xbe927e4f
	s_mov_b32 s22, 0x19e83e5c
	s_mov_b32 s20, 0x19f4ec90
	s_mov_b32 s23, 0xbf2a01a0
	s_mov_b32 s21, 0x3efa01a0
	s_mov_b32 s30, 0x11110bb3
	s_mov_b32 s24, 0x16c16967
	s_mov_b32 s31, 0x3f811111
	s_mov_b32 s25, 0xbf56c16c
	v_fma_f64 v[34:35], v[30:31], s[6:7], s[4:5]
	v_mul_f64 v[36:37], v[30:31], 0.5
	v_fma_f64 v[38:39], v[32:33], s[6:7], s[4:5]
	v_fma_f64 v[40:41], v[30:31], s[2:3], s[0:1]
	v_mul_f64 v[42:43], v[32:33], 0.5
	v_fma_f64 v[48:49], v[32:33], s[2:3], s[0:1]
	v_mul_f64 v[52:53], v[19:20], 0.5
	v_mul_f64 v[54:55], v[15:16], 0.5
	v_mul_f64 v[58:59], v[17:18], -v[30:31]
	s_mov_b32 s26, 0x55555555
	s_mov_b32 s27, 0xbfc55555
	;; [unrolled: 1-line block ×4, first 2 shown]
	v_mul_f64 v[60:61], v[23:24], 0.5
	v_fma_f64 v[34:35], v[30:31], v[34:35], s[18:19]
	v_add_f64 v[44:45], -v[36:37], 1.0
	v_fma_f64 v[38:39], v[32:33], v[38:39], s[18:19]
	v_fma_f64 v[40:41], v[30:31], v[40:41], s[16:17]
	v_add_f64 v[46:47], -v[42:43], 1.0
	v_fma_f64 v[48:49], v[32:33], v[48:49], s[16:17]
	;; [unrolled: 3-line block ×4, first 2 shown]
	v_fma_f64 v[34:35], v[30:31], v[34:35], s[30:31]
	v_add_f64 v[36:37], v[50:51], -v[36:37]
	v_mul_f64 v[50:51], v[13:14], -v[32:33]
	v_fma_f64 v[38:39], v[32:33], v[38:39], s[30:31]
	v_fma_f64 v[40:41], v[30:31], v[40:41], s[24:25]
	v_add_f64 v[42:43], v[56:57], -v[42:43]
	v_mul_f64 v[56:57], v[9:10], v[9:10]
	v_fma_f64 v[48:49], v[32:33], v[48:49], s[24:25]
	v_fma_f64 v[34:35], v[58:59], v[34:35], v[52:53]
	v_mul_f64 v[52:53], v[21:22], v[21:22]
	v_fma_f64 v[36:37], v[17:18], -v[19:20], v[36:37]
	v_fma_f64 v[38:39], v[50:51], v[38:39], v[54:55]
	v_mul_f64 v[54:55], v[30:31], v[30:31]
	v_fma_f64 v[40:41], v[30:31], v[40:41], s[28:29]
	v_fma_f64 v[42:43], v[13:14], -v[15:16], v[42:43]
	v_fma_f64 v[48:49], v[32:33], v[48:49], s[28:29]
	v_fma_f64 v[19:20], v[30:31], v[34:35], -v[19:20]
	v_mul_f64 v[30:31], v[56:57], 0.5
	v_mul_f64 v[34:35], v[52:53], 0.5
	v_fma_f64 v[15:16], v[32:33], v[38:39], -v[15:16]
	v_mul_f64 v[62:63], v[21:22], -v[52:53]
	v_fma_f64 v[36:37], v[54:55], v[40:41], v[36:37]
	v_fma_f64 v[40:41], v[56:57], s[6:7], s[4:5]
	v_mul_f64 v[54:55], v[32:33], v[32:33]
	v_fma_f64 v[19:20], v[58:59], s[26:27], v[19:20]
	v_add_f64 v[32:33], -v[30:31], 1.0
	v_add_f64 v[38:39], -v[34:35], 1.0
	v_fma_f64 v[15:16], v[50:51], s[26:27], v[15:16]
	v_add_f64 v[36:37], v[44:45], v[36:37]
	v_fma_f64 v[40:41], v[56:57], v[40:41], s[18:19]
	v_fma_f64 v[42:43], v[54:55], v[48:49], v[42:43]
	v_add_f64 v[17:18], v[17:18], -v[19:20]
	v_add_f64 v[48:49], -v[32:33], 1.0
	v_add_f64 v[54:55], -v[38:39], 1.0
	v_add_f64 v[13:14], v[13:14], -v[15:16]
	v_fma_f64 v[40:41], v[56:57], v[40:41], s[22:23]
	v_add_f64 v[19:20], v[46:47], v[42:43]
	v_add_f64 v[30:31], v[48:49], -v[30:31]
	v_mul_f64 v[48:49], v[11:12], 0.5
	v_add_f64 v[34:35], v[54:55], -v[34:35]
	v_mul_f64 v[54:55], v[9:10], -v[56:57]
	v_fma_f64 v[40:41], v[56:57], v[40:41], s[30:31]
	v_fma_f64 v[30:31], v[9:10], -v[11:12], v[30:31]
	v_fma_f64 v[34:35], v[21:22], -v[23:24], v[34:35]
	v_fma_f64 v[40:41], v[54:55], v[40:41], v[48:49]
	v_fma_f64 v[48:49], v[52:53], s[6:7], s[4:5]
	v_cmp_class_f64_e64 s4, v[5:6], 0x1f8
	v_cmp_class_f64_e64 s6, v[3:4], 0x1f8
	v_fma_f64 v[11:12], v[56:57], v[40:41], -v[11:12]
	v_fma_f64 v[48:49], v[52:53], v[48:49], s[18:19]
	v_fma_f64 v[40:41], v[56:57], s[2:3], s[0:1]
	;; [unrolled: 1-line block ×5, first 2 shown]
	v_add_f64 v[9:10], v[9:10], -v[11:12]
	v_fma_f64 v[48:49], v[52:53], v[48:49], s[30:31]
	v_fma_f64 v[40:41], v[56:57], v[40:41], s[20:21]
	;; [unrolled: 1-line block ×4, first 2 shown]
	v_fma_f64 v[23:24], v[52:53], v[48:49], -v[23:24]
	v_fma_f64 v[48:49], v[52:53], s[2:3], s[0:1]
	v_fma_f64 v[40:41], v[56:57], v[40:41], s[28:29]
	v_mul_f64 v[56:57], v[56:57], v[56:57]
	v_cmp_class_f64_e64 s2, v[7:8], 0x1f8
	v_cmp_class_f64_e64 s0, v[1:2], 0x1f8
	v_fma_f64 v[23:24], v[62:63], s[26:27], v[23:24]
	v_fma_f64 v[48:49], v[52:53], v[48:49], s[16:17]
	;; [unrolled: 1-line block ×3, first 2 shown]
	v_add_f64 v[21:22], v[21:22], -v[23:24]
	v_fma_f64 v[48:49], v[52:53], v[48:49], s[20:21]
	v_and_b32_e32 v23, 1, v28
	v_add_f64 v[15:16], v[32:33], v[30:31]
	v_lshlrev_b32_e32 v24, 30, v28
	v_and_b32_e32 v28, 1, v27
	v_lshlrev_b32_e32 v27, 30, v27
	v_and_b32_e32 v30, 1, v26
	;; [unrolled: 2-line block ×3, first 2 shown]
	v_lshlrev_b32_e32 v29, 30, v29
	v_xor_b32_e32 v27, v27, v8
	v_cmp_eq_u32_e64 s1, 0, v28
	v_cmp_eq_u32_e64 s3, 0, v30
	v_xor_b32_e32 v1, v26, v6
	v_xor_b32_e32 v24, v24, v2
	v_cmp_eq_u32_e32 vcc_lo, 0, v23
	v_cmp_eq_u32_e64 s5, 0, v31
	v_xor_b32_e32 v3, v29, v4
	v_and_b32_e32 v5, 0x80000000, v27
	v_and_b32_e32 v6, 0x80000000, v1
	v_cndmask_b32_e64 v7, v20, v14, s1
	v_and_b32_e32 v4, 0x80000000, v24
	v_fma_f64 v[48:49], v[52:53], v[48:49], s[24:25]
	v_cndmask_b32_e32 v1, v37, v18, vcc_lo
	v_cndmask_b32_e64 v10, v16, v10, s3
	v_cndmask_b32_e64 v8, v15, v9, s3
	v_and_b32_e32 v3, 0x80000000, v3
	v_cndmask_b32_e64 v2, v19, v13, s1
	v_cndmask_b32_e32 v17, v36, v17, vcc_lo
	v_xor_b32_e32 v6, v10, v6
	v_xor_b32_e32 v4, v1, v4
	v_cndmask_b32_e64 v1, 0, v17, s0
	v_cndmask_b32_e64 v6, 0x7ff80000, v6, s4
	v_fma_f64 v[48:49], v[52:53], v[48:49], s[28:29]
	v_mul_f64 v[52:53], v[52:53], v[52:53]
	v_fma_f64 v[34:35], v[52:53], v[48:49], v[34:35]
	v_add_f64 v[11:12], v[38:39], v[34:35]
	v_cndmask_b32_e64 v9, v11, v21, s5
	v_cndmask_b32_e64 v11, v12, v22, s5
	v_xor_b32_e32 v12, v7, v5
	v_cndmask_b32_e64 v7, 0, v2, s2
	v_cndmask_b32_e64 v5, 0, v8, s4
	;; [unrolled: 1-line block ×3, first 2 shown]
	v_xor_b32_e32 v10, v11, v3
	v_cndmask_b32_e64 v8, 0x7ff80000, v12, s2
	v_cndmask_b32_e64 v3, 0, v9, s6
	s_add_u32 s2, s8, s14
	s_addc_u32 s3, s9, s15
	v_cndmask_b32_e64 v4, 0x7ff80000, v10, s6
	s_mov_b32 s0, 0
	global_store_dwordx4 v25, v[5:8], s[2:3]
	global_store_dwordx4 v25, v[1:4], s[2:3] offset:16
.LBB0_18:
	s_and_b32 vcc_lo, exec_lo, s0
	s_cbranch_vccz .LBB0_51
; %bb.19:
	v_mov_b32_e32 v12, 0
	v_mov_b32_e32 v16, 0
	v_cmp_gt_i32_e32 vcc_lo, s33, v0
	v_mov_b32_e32 v13, 0
	v_or_b32_e32 v1, s12, v0
	v_or_b32_e32 v18, 0x100, v0
	v_mov_b32_e32 v17, 0
	v_mov_b32_e32 v4, v0
	s_and_saveexec_b32 s1, vcc_lo
	s_cbranch_execz .LBB0_21
; %bb.20:
	v_mov_b32_e32 v2, 0
	v_or_b32_e32 v4, 0x100, v0
	v_lshlrev_b64 v[2:3], 3, v[1:2]
	v_add_co_u32 v2, s0, s10, v2
	v_add_co_ci_u32_e64 v3, null, s11, v3, s0
	global_load_dwordx2 v[16:17], v[2:3], off
.LBB0_21:
	s_or_b32 exec_lo, exec_lo, s1
	s_mov_b32 s1, exec_lo
	v_cmpx_gt_i32_e64 s33, v4
	s_cbranch_execz .LBB0_23
; %bb.22:
	v_add_nc_u32_e32 v2, s12, v4
	v_mov_b32_e32 v3, 0
	v_add_nc_u32_e32 v4, 0x100, v4
	v_lshlrev_b64 v[2:3], 3, v[2:3]
	v_add_co_u32 v2, s0, s10, v2
	v_add_co_ci_u32_e64 v3, null, s11, v3, s0
	global_load_dwordx2 v[12:13], v[2:3], off
.LBB0_23:
	s_or_b32 exec_lo, exec_lo, s1
	v_mov_b32_e32 v2, 0
	v_mov_b32_e32 v6, 0
	;; [unrolled: 1-line block ×4, first 2 shown]
	s_mov_b32 s1, exec_lo
	v_cmpx_gt_i32_e64 s33, v4
	s_cbranch_execz .LBB0_25
; %bb.24:
	v_add_nc_u32_e32 v5, s12, v4
	v_mov_b32_e32 v6, 0
	v_add_nc_u32_e32 v4, 0x100, v4
	v_lshlrev_b64 v[5:6], 3, v[5:6]
	v_add_co_u32 v5, s0, s10, v5
	v_add_co_ci_u32_e64 v6, null, s11, v6, s0
	global_load_dwordx2 v[6:7], v[5:6], off
.LBB0_25:
	s_or_b32 exec_lo, exec_lo, s1
	s_mov_b32 s1, exec_lo
	v_cmpx_gt_i32_e64 s33, v4
	s_cbranch_execz .LBB0_27
; %bb.26:
	v_add_nc_u32_e32 v2, s12, v4
	v_mov_b32_e32 v3, 0
	v_lshlrev_b64 v[2:3], 3, v[2:3]
	v_add_co_u32 v2, s0, s10, v2
	v_add_co_ci_u32_e64 v3, null, s11, v3, s0
	global_load_dwordx2 v[2:3], v[2:3], off
.LBB0_27:
	s_or_b32 exec_lo, exec_lo, s1
	v_mov_b32_e32 v4, 0
	v_mov_b32_e32 v5, v4
	;; [unrolled: 1-line block ×8, first 2 shown]
	s_and_saveexec_b32 s2, vcc_lo
	s_cbranch_execz .LBB0_33
; %bb.28:
	s_mov_b32 s1, exec_lo
                                        ; implicit-def: $vgpr10
                                        ; implicit-def: $vgpr4_vgpr5
                                        ; implicit-def: $vgpr8_vgpr9
	s_waitcnt vmcnt(0)
	v_cmpx_ngt_f64_e64 0x41d00000, |v[16:17]|
	s_xor_b32 s1, exec_lo, s1
	s_cbranch_execz .LBB0_30
; %bb.29:
	v_ldexp_f64 v[4:5], |v[16:17]|, 0xffffff80
	v_cmp_le_f64_e64 s0, 0x7b000000, |v[16:17]|
	v_trig_preop_f64 v[8:9], |v[16:17]|, 0
	v_and_b32_e32 v10, 0x7fffffff, v17
	v_trig_preop_f64 v[25:26], |v[16:17]|, 2
	v_mov_b32_e32 v33, 0
	s_mov_b32 s4, 0x54442d18
	s_mov_b32 s5, 0x3ff921fb
	;; [unrolled: 1-line block ×4, first 2 shown]
	v_cndmask_b32_e64 v5, v10, v5, s0
	v_cndmask_b32_e64 v4, v16, v4, s0
	v_trig_preop_f64 v[10:11], |v[16:17]|, 1
	v_mul_f64 v[14:15], v[8:9], v[4:5]
	v_mul_f64 v[31:32], v[25:26], v[4:5]
	;; [unrolled: 1-line block ×3, first 2 shown]
	v_fma_f64 v[8:9], v[8:9], v[4:5], -v[14:15]
	v_fma_f64 v[10:11], v[10:11], v[4:5], -v[19:20]
	;; [unrolled: 1-line block ×3, first 2 shown]
	v_add_f64 v[21:22], v[19:20], v[8:9]
	v_add_f64 v[23:24], v[21:22], -v[19:20]
	v_add_f64 v[29:30], v[14:15], v[21:22]
	v_add_f64 v[27:28], v[21:22], -v[23:24]
	v_add_f64 v[8:9], v[8:9], -v[23:24]
	v_ldexp_f64 v[23:24], v[29:30], -2
	v_add_f64 v[14:15], v[29:30], -v[14:15]
	v_add_f64 v[19:20], v[19:20], -v[27:28]
	v_add_f64 v[27:28], v[31:32], v[10:11]
	v_cmp_neq_f64_e64 s0, 0x7ff00000, |v[23:24]|
	v_add_f64 v[14:15], v[21:22], -v[14:15]
	v_add_f64 v[8:9], v[8:9], v[19:20]
	v_fract_f64_e32 v[19:20], v[23:24]
	v_add_f64 v[21:22], v[27:28], v[8:9]
	v_ldexp_f64 v[19:20], v[19:20], 2
	v_add_f64 v[23:24], v[14:15], v[21:22]
	v_cndmask_b32_e64 v20, 0, v20, s0
	v_cndmask_b32_e64 v19, 0, v19, s0
	v_add_f64 v[29:30], v[23:24], v[19:20]
	v_add_f64 v[14:15], v[23:24], -v[14:15]
	v_cmp_gt_f64_e64 s0, 0, v[29:30]
	v_add_f64 v[29:30], v[27:28], -v[31:32]
	v_cndmask_b32_e64 v34, 0, 0x40100000, s0
	v_add_f64 v[38:39], v[27:28], -v[29:30]
	v_add_f64 v[10:11], v[10:11], -v[29:30]
	v_add_f64 v[19:20], v[19:20], v[33:34]
	v_add_f64 v[34:35], v[21:22], -v[27:28]
	v_add_f64 v[29:30], v[31:32], -v[38:39]
	v_add_f64 v[36:37], v[23:24], v[19:20]
	v_add_f64 v[40:41], v[21:22], -v[34:35]
	v_add_f64 v[8:9], v[8:9], -v[34:35]
	v_add_f64 v[10:11], v[10:11], v[29:30]
	v_cvt_i32_f64_e32 v36, v[36:37]
	v_add_f64 v[27:28], v[27:28], -v[40:41]
	v_cvt_f64_i32_e32 v[34:35], v36
	v_add_f64 v[8:9], v[8:9], v[27:28]
	v_add_f64 v[19:20], v[19:20], -v[34:35]
	v_add_f64 v[8:9], v[10:11], v[8:9]
	v_add_f64 v[10:11], v[21:22], -v[14:15]
	v_add_f64 v[25:26], v[23:24], v[19:20]
	v_add_f64 v[4:5], v[4:5], v[8:9]
	v_add_f64 v[8:9], v[25:26], -v[19:20]
	v_cmp_le_f64_e64 s0, 0.5, v[25:26]
	v_add_f64 v[4:5], v[10:11], v[4:5]
	v_add_f64 v[8:9], v[23:24], -v[8:9]
	v_cndmask_b32_e64 v34, 0, 0x3ff00000, s0
	v_add_co_ci_u32_e64 v10, null, 0, v36, s0
	v_add_f64 v[4:5], v[4:5], v[8:9]
	v_add_f64 v[8:9], v[25:26], -v[33:34]
	v_add_f64 v[14:15], v[8:9], v[4:5]
	v_mul_f64 v[19:20], v[14:15], s[4:5]
	v_add_f64 v[8:9], v[14:15], -v[8:9]
	v_fma_f64 v[21:22], v[14:15], s[4:5], -v[19:20]
	v_add_f64 v[4:5], v[4:5], -v[8:9]
	v_fma_f64 v[8:9], v[14:15], s[6:7], v[21:22]
	v_fma_f64 v[8:9], v[4:5], s[4:5], v[8:9]
	v_add_f64 v[4:5], v[19:20], v[8:9]
	v_add_f64 v[14:15], v[4:5], -v[19:20]
	v_add_f64 v[8:9], v[8:9], -v[14:15]
.LBB0_30:
	s_andn2_saveexec_b32 s0, s1
	s_cbranch_execz .LBB0_32
; %bb.31:
	s_mov_b32 s4, 0x6dc9c883
	s_mov_b32 s5, 0x3fe45f30
	;; [unrolled: 1-line block ×3, first 2 shown]
	v_mul_f64 v[4:5], |v[16:17]|, s[4:5]
	s_mov_b32 s4, 0x54442d18
	s_mov_b32 s5, 0xbff921fb
	;; [unrolled: 1-line block ×3, first 2 shown]
	v_rndne_f64_e32 v[10:11], v[4:5]
	v_fma_f64 v[4:5], v[10:11], s[4:5], |v[16:17]|
	v_mul_f64 v[8:9], v[10:11], s[6:7]
	s_mov_b32 s4, 0x252049c0
	s_mov_b32 s5, 0xb97b839a
	v_fma_f64 v[19:20], v[10:11], s[6:7], v[4:5]
	v_add_f64 v[14:15], v[4:5], v[8:9]
	s_mov_b32 s7, 0x3c91a626
	v_add_f64 v[4:5], v[4:5], -v[14:15]
	v_add_f64 v[14:15], v[14:15], -v[19:20]
	v_add_f64 v[4:5], v[4:5], v[8:9]
	v_fma_f64 v[8:9], v[10:11], s[6:7], v[8:9]
	v_add_f64 v[4:5], v[14:15], v[4:5]
	v_add_f64 v[4:5], v[4:5], -v[8:9]
	v_fma_f64 v[8:9], v[10:11], s[4:5], v[4:5]
	v_cvt_i32_f64_e32 v10, v[10:11]
	v_add_f64 v[4:5], v[19:20], v[8:9]
	v_add_f64 v[14:15], v[4:5], -v[19:20]
	v_add_f64 v[8:9], v[8:9], -v[14:15]
.LBB0_32:
	s_or_b32 exec_lo, exec_lo, s0
	v_mul_f64 v[14:15], v[4:5], v[4:5]
	s_mov_b32 s0, 0xb42fdfa7
	s_mov_b32 s4, 0xf9a43bb8
	;; [unrolled: 1-line block ×6, first 2 shown]
	v_mul_f64 v[27:28], v[8:9], 0.5
	v_fma_f64 v[19:20], v[14:15], s[4:5], s[0:1]
	s_mov_b32 s0, 0x9037ab78
	s_mov_b32 s4, 0x46cc5e42
	;; [unrolled: 1-line block ×4, first 2 shown]
	v_mul_f64 v[23:24], v[14:15], 0.5
	v_fma_f64 v[21:22], v[14:15], s[4:5], s[0:1]
	s_mov_b32 s0, 0xa17f65f6
	s_mov_b32 s4, 0x19e83e5c
	;; [unrolled: 1-line block ×4, first 2 shown]
	v_mul_f64 v[29:30], v[4:5], -v[14:15]
	v_fma_f64 v[19:20], v[14:15], v[19:20], s[6:7]
	v_add_f64 v[25:26], -v[23:24], 1.0
	v_fma_f64 v[21:22], v[14:15], v[21:22], s[0:1]
	s_mov_b32 s0, 0x19f4ec90
	s_mov_b32 s1, 0x3efa01a0
	v_fma_f64 v[19:20], v[14:15], v[19:20], s[4:5]
	s_mov_b32 s4, 0x11110bb3
	s_mov_b32 s5, 0x3f811111
	v_add_f64 v[31:32], -v[25:26], 1.0
	v_fma_f64 v[21:22], v[14:15], v[21:22], s[0:1]
	s_mov_b32 s0, 0x16c16967
	s_mov_b32 s1, 0xbf56c16c
	v_fma_f64 v[19:20], v[14:15], v[19:20], s[4:5]
	v_add_f64 v[23:24], v[31:32], -v[23:24]
	v_fma_f64 v[21:22], v[14:15], v[21:22], s[0:1]
	s_mov_b32 s1, 0x3fa55555
	s_mov_b32 s0, 0x55555555
	v_fma_f64 v[19:20], v[29:30], v[19:20], v[27:28]
	v_mul_f64 v[27:28], v[14:15], v[14:15]
	v_fma_f64 v[23:24], v[4:5], -v[8:9], v[23:24]
	v_fma_f64 v[21:22], v[14:15], v[21:22], s[0:1]
	s_mov_b32 s1, 0xbfc55555
	v_fma_f64 v[8:9], v[14:15], v[19:20], -v[8:9]
	v_fma_f64 v[14:15], v[27:28], v[21:22], v[23:24]
	v_fma_f64 v[8:9], v[29:30], s[0:1], v[8:9]
	v_cmp_class_f64_e64 s1, v[16:17], 0x1f8
	v_add_f64 v[14:15], v[25:26], v[14:15]
	v_add_f64 v[4:5], v[4:5], -v[8:9]
	v_and_b32_e32 v8, 1, v10
	v_cmp_eq_u32_e64 s0, 0, v8
	v_lshlrev_b32_e32 v8, 30, v10
	v_xor_b32_e32 v8, v8, v17
	v_and_b32_e32 v8, 0x80000000, v8
	v_cndmask_b32_e64 v5, v15, v5, s0
	v_cndmask_b32_e64 v4, v14, v4, s0
	v_mov_b32_e32 v14, 0
	v_xor_b32_e32 v5, v5, v8
	v_cndmask_b32_e64 v4, 0, v4, s1
	v_mov_b32_e32 v15, v14
	v_mov_b32_e32 v10, v14
	;; [unrolled: 1-line block ×4, first 2 shown]
	v_cndmask_b32_e64 v5, 0x7ff80000, v5, s1
	v_mov_b32_e32 v9, v14
.LBB0_33:
	s_or_b32 exec_lo, exec_lo, s2
	s_mov_b32 s1, exec_lo
	v_cmpx_gt_i32_e64 s33, v18
	s_cbranch_execz .LBB0_39
; %bb.34:
	s_mov_b32 s2, exec_lo
                                        ; implicit-def: $vgpr19
                                        ; implicit-def: $vgpr14_vgpr15
                                        ; implicit-def: $vgpr16_vgpr17
	s_waitcnt vmcnt(0)
	v_cmpx_ngt_f64_e64 0x41d00000, |v[12:13]|
	s_xor_b32 s2, exec_lo, s2
	s_cbranch_execz .LBB0_36
; %bb.35:
	v_ldexp_f64 v[14:15], |v[12:13]|, 0xffffff80
	v_cmp_le_f64_e64 s0, 0x7b000000, |v[12:13]|
	v_trig_preop_f64 v[16:17], |v[12:13]|, 0
	v_and_b32_e32 v19, 0x7fffffff, v13
	v_trig_preop_f64 v[29:30], |v[12:13]|, 2
	v_mov_b32_e32 v37, 0
	s_mov_b32 s4, 0x54442d18
	s_mov_b32 s5, 0x3ff921fb
	;; [unrolled: 1-line block ×4, first 2 shown]
	v_cndmask_b32_e64 v15, v19, v15, s0
	v_cndmask_b32_e64 v14, v12, v14, s0
	v_trig_preop_f64 v[19:20], |v[12:13]|, 1
	v_mul_f64 v[21:22], v[16:17], v[14:15]
	v_mul_f64 v[35:36], v[29:30], v[14:15]
	;; [unrolled: 1-line block ×3, first 2 shown]
	v_fma_f64 v[16:17], v[16:17], v[14:15], -v[21:22]
	v_fma_f64 v[19:20], v[19:20], v[14:15], -v[23:24]
	;; [unrolled: 1-line block ×3, first 2 shown]
	v_add_f64 v[25:26], v[23:24], v[16:17]
	v_add_f64 v[27:28], v[25:26], -v[23:24]
	v_add_f64 v[33:34], v[21:22], v[25:26]
	v_add_f64 v[31:32], v[25:26], -v[27:28]
	v_add_f64 v[16:17], v[16:17], -v[27:28]
	v_ldexp_f64 v[27:28], v[33:34], -2
	v_add_f64 v[21:22], v[33:34], -v[21:22]
	v_add_f64 v[23:24], v[23:24], -v[31:32]
	v_add_f64 v[31:32], v[35:36], v[19:20]
	v_cmp_neq_f64_e64 s0, 0x7ff00000, |v[27:28]|
	v_add_f64 v[21:22], v[25:26], -v[21:22]
	v_add_f64 v[16:17], v[16:17], v[23:24]
	v_fract_f64_e32 v[23:24], v[27:28]
	v_add_f64 v[25:26], v[31:32], v[16:17]
	v_ldexp_f64 v[23:24], v[23:24], 2
	v_add_f64 v[27:28], v[21:22], v[25:26]
	v_cndmask_b32_e64 v24, 0, v24, s0
	v_cndmask_b32_e64 v23, 0, v23, s0
	v_add_f64 v[33:34], v[27:28], v[23:24]
	v_add_f64 v[21:22], v[27:28], -v[21:22]
	v_cmp_gt_f64_e64 s0, 0, v[33:34]
	v_add_f64 v[33:34], v[31:32], -v[35:36]
	v_cndmask_b32_e64 v38, 0, 0x40100000, s0
	v_add_f64 v[42:43], v[31:32], -v[33:34]
	v_add_f64 v[19:20], v[19:20], -v[33:34]
	v_add_f64 v[23:24], v[23:24], v[37:38]
	v_add_f64 v[38:39], v[25:26], -v[31:32]
	v_add_f64 v[33:34], v[35:36], -v[42:43]
	v_add_f64 v[40:41], v[27:28], v[23:24]
	;; [unrolled: 3-line block ×3, first 2 shown]
	v_cvt_i32_f64_e32 v40, v[40:41]
	v_add_f64 v[31:32], v[31:32], -v[44:45]
	v_cvt_f64_i32_e32 v[38:39], v40
	v_add_f64 v[16:17], v[16:17], v[31:32]
	v_add_f64 v[23:24], v[23:24], -v[38:39]
	v_add_f64 v[16:17], v[19:20], v[16:17]
	v_add_f64 v[19:20], v[25:26], -v[21:22]
	v_add_f64 v[29:30], v[27:28], v[23:24]
	v_add_f64 v[14:15], v[14:15], v[16:17]
	v_add_f64 v[16:17], v[29:30], -v[23:24]
	v_cmp_le_f64_e64 s0, 0.5, v[29:30]
	v_add_f64 v[14:15], v[19:20], v[14:15]
	v_add_f64 v[16:17], v[27:28], -v[16:17]
	v_cndmask_b32_e64 v38, 0, 0x3ff00000, s0
	v_add_co_ci_u32_e64 v19, null, 0, v40, s0
	v_add_f64 v[14:15], v[14:15], v[16:17]
	v_add_f64 v[16:17], v[29:30], -v[37:38]
	v_add_f64 v[20:21], v[16:17], v[14:15]
	v_mul_f64 v[22:23], v[20:21], s[4:5]
	v_add_f64 v[16:17], v[20:21], -v[16:17]
	v_fma_f64 v[24:25], v[20:21], s[4:5], -v[22:23]
	v_add_f64 v[14:15], v[14:15], -v[16:17]
	v_fma_f64 v[16:17], v[20:21], s[6:7], v[24:25]
	v_fma_f64 v[16:17], v[14:15], s[4:5], v[16:17]
	v_add_f64 v[14:15], v[22:23], v[16:17]
	v_add_f64 v[20:21], v[14:15], -v[22:23]
	v_add_f64 v[16:17], v[16:17], -v[20:21]
.LBB0_36:
	s_andn2_saveexec_b32 s0, s2
	s_cbranch_execz .LBB0_38
; %bb.37:
	s_mov_b32 s2, 0x6dc9c883
	s_mov_b32 s3, 0x3fe45f30
	;; [unrolled: 1-line block ×3, first 2 shown]
	v_mul_f64 v[14:15], |v[12:13]|, s[2:3]
	s_mov_b32 s2, 0x54442d18
	s_mov_b32 s3, 0xbff921fb
	;; [unrolled: 1-line block ×3, first 2 shown]
	v_rndne_f64_e32 v[19:20], v[14:15]
	v_fma_f64 v[14:15], v[19:20], s[2:3], |v[12:13]|
	v_mul_f64 v[16:17], v[19:20], s[4:5]
	s_mov_b32 s2, 0x252049c0
	s_mov_b32 s3, 0xb97b839a
	v_fma_f64 v[23:24], v[19:20], s[4:5], v[14:15]
	v_add_f64 v[21:22], v[14:15], v[16:17]
	s_mov_b32 s5, 0x3c91a626
	v_add_f64 v[14:15], v[14:15], -v[21:22]
	v_add_f64 v[21:22], v[21:22], -v[23:24]
	v_add_f64 v[14:15], v[14:15], v[16:17]
	v_fma_f64 v[16:17], v[19:20], s[4:5], v[16:17]
	v_add_f64 v[14:15], v[21:22], v[14:15]
	v_add_f64 v[14:15], v[14:15], -v[16:17]
	v_fma_f64 v[16:17], v[19:20], s[2:3], v[14:15]
	v_cvt_i32_f64_e32 v19, v[19:20]
	v_add_f64 v[14:15], v[23:24], v[16:17]
	v_add_f64 v[21:22], v[14:15], -v[23:24]
	v_add_f64 v[16:17], v[16:17], -v[21:22]
.LBB0_38:
	s_or_b32 exec_lo, exec_lo, s0
	v_mul_f64 v[20:21], v[14:15], v[14:15]
	s_mov_b32 s2, 0xb42fdfa7
	s_mov_b32 s4, 0xf9a43bb8
	;; [unrolled: 1-line block ×6, first 2 shown]
	v_mul_f64 v[30:31], v[16:17], 0.5
	v_fma_f64 v[22:23], v[20:21], s[4:5], s[2:3]
	s_mov_b32 s2, 0x9037ab78
	s_mov_b32 s4, 0x46cc5e42
	;; [unrolled: 1-line block ×4, first 2 shown]
	v_mul_f64 v[26:27], v[20:21], 0.5
	v_fma_f64 v[24:25], v[20:21], s[4:5], s[2:3]
	s_mov_b32 s2, 0xa17f65f6
	s_mov_b32 s4, 0x19e83e5c
	;; [unrolled: 1-line block ×4, first 2 shown]
	v_mul_f64 v[32:33], v[14:15], -v[20:21]
	v_fma_f64 v[22:23], v[20:21], v[22:23], s[6:7]
	v_add_f64 v[28:29], -v[26:27], 1.0
	v_fma_f64 v[24:25], v[20:21], v[24:25], s[2:3]
	s_mov_b32 s2, 0x19f4ec90
	s_mov_b32 s3, 0x3efa01a0
	v_fma_f64 v[22:23], v[20:21], v[22:23], s[4:5]
	s_mov_b32 s4, 0x11110bb3
	s_mov_b32 s5, 0x3f811111
	v_add_f64 v[34:35], -v[28:29], 1.0
	v_fma_f64 v[24:25], v[20:21], v[24:25], s[2:3]
	s_mov_b32 s2, 0x16c16967
	s_mov_b32 s3, 0xbf56c16c
	v_fma_f64 v[22:23], v[20:21], v[22:23], s[4:5]
	v_add_f64 v[26:27], v[34:35], -v[26:27]
	v_fma_f64 v[24:25], v[20:21], v[24:25], s[2:3]
	s_mov_b32 s3, 0x3fa55555
	s_mov_b32 s2, 0x55555555
	v_fma_f64 v[22:23], v[32:33], v[22:23], v[30:31]
	v_mul_f64 v[30:31], v[20:21], v[20:21]
	v_fma_f64 v[26:27], v[14:15], -v[16:17], v[26:27]
	v_fma_f64 v[24:25], v[20:21], v[24:25], s[2:3]
	s_mov_b32 s3, 0xbfc55555
	v_fma_f64 v[16:17], v[20:21], v[22:23], -v[16:17]
	v_fma_f64 v[20:21], v[30:31], v[24:25], v[26:27]
	v_fma_f64 v[16:17], v[32:33], s[2:3], v[16:17]
	v_add_f64 v[20:21], v[28:29], v[20:21]
	v_add_f64 v[14:15], v[14:15], -v[16:17]
	v_and_b32_e32 v17, 1, v19
	v_lshlrev_b32_e32 v16, 30, v19
	v_cmp_eq_u32_e64 s0, 0, v17
	v_xor_b32_e32 v16, v16, v13
	v_and_b32_e32 v16, 0x80000000, v16
	v_cndmask_b32_e64 v14, v20, v14, s0
	v_cndmask_b32_e64 v15, v21, v15, s0
	v_cmp_class_f64_e64 s0, v[12:13], 0x1f8
	v_xor_b32_e32 v15, v15, v16
	v_cndmask_b32_e64 v15, 0x7ff80000, v15, s0
	v_cndmask_b32_e64 v14, 0, v14, s0
.LBB0_39:
	s_or_b32 exec_lo, exec_lo, s1
	s_waitcnt vmcnt(0)
	v_or_b32_e32 v12, 0x200, v0
	s_mov_b32 s1, exec_lo
	v_cmpx_gt_i32_e64 s33, v12
	s_cbranch_execz .LBB0_45
; %bb.40:
	s_mov_b32 s2, exec_lo
                                        ; implicit-def: $vgpr16
                                        ; implicit-def: $vgpr10_vgpr11
                                        ; implicit-def: $vgpr12_vgpr13
	v_cmpx_ngt_f64_e64 0x41d00000, |v[6:7]|
	s_xor_b32 s2, exec_lo, s2
	s_cbranch_execz .LBB0_42
; %bb.41:
	v_ldexp_f64 v[10:11], |v[6:7]|, 0xffffff80
	v_cmp_le_f64_e64 s0, 0x7b000000, |v[6:7]|
	v_trig_preop_f64 v[12:13], |v[6:7]|, 0
	v_and_b32_e32 v16, 0x7fffffff, v7
	v_trig_preop_f64 v[27:28], |v[6:7]|, 2
	v_mov_b32_e32 v35, 0
	s_mov_b32 s4, 0x54442d18
	s_mov_b32 s5, 0x3ff921fb
	;; [unrolled: 1-line block ×4, first 2 shown]
	v_cndmask_b32_e64 v11, v16, v11, s0
	v_cndmask_b32_e64 v10, v6, v10, s0
	v_trig_preop_f64 v[16:17], |v[6:7]|, 1
	v_mul_f64 v[19:20], v[12:13], v[10:11]
	v_mul_f64 v[33:34], v[27:28], v[10:11]
	;; [unrolled: 1-line block ×3, first 2 shown]
	v_fma_f64 v[12:13], v[12:13], v[10:11], -v[19:20]
	v_fma_f64 v[16:17], v[16:17], v[10:11], -v[21:22]
	;; [unrolled: 1-line block ×3, first 2 shown]
	v_add_f64 v[23:24], v[21:22], v[12:13]
	v_add_f64 v[25:26], v[23:24], -v[21:22]
	v_add_f64 v[31:32], v[19:20], v[23:24]
	v_add_f64 v[29:30], v[23:24], -v[25:26]
	v_add_f64 v[12:13], v[12:13], -v[25:26]
	v_ldexp_f64 v[25:26], v[31:32], -2
	v_add_f64 v[19:20], v[31:32], -v[19:20]
	v_add_f64 v[21:22], v[21:22], -v[29:30]
	v_add_f64 v[29:30], v[33:34], v[16:17]
	v_cmp_neq_f64_e64 s0, 0x7ff00000, |v[25:26]|
	v_add_f64 v[19:20], v[23:24], -v[19:20]
	v_add_f64 v[12:13], v[12:13], v[21:22]
	v_fract_f64_e32 v[21:22], v[25:26]
	v_add_f64 v[23:24], v[29:30], v[12:13]
	v_ldexp_f64 v[21:22], v[21:22], 2
	v_add_f64 v[25:26], v[19:20], v[23:24]
	v_cndmask_b32_e64 v22, 0, v22, s0
	v_cndmask_b32_e64 v21, 0, v21, s0
	v_add_f64 v[31:32], v[25:26], v[21:22]
	v_add_f64 v[19:20], v[25:26], -v[19:20]
	v_cmp_gt_f64_e64 s0, 0, v[31:32]
	v_add_f64 v[31:32], v[29:30], -v[33:34]
	v_cndmask_b32_e64 v36, 0, 0x40100000, s0
	v_add_f64 v[40:41], v[29:30], -v[31:32]
	v_add_f64 v[16:17], v[16:17], -v[31:32]
	v_add_f64 v[21:22], v[21:22], v[35:36]
	v_add_f64 v[36:37], v[23:24], -v[29:30]
	v_add_f64 v[31:32], v[33:34], -v[40:41]
	v_add_f64 v[38:39], v[25:26], v[21:22]
	v_add_f64 v[42:43], v[23:24], -v[36:37]
	v_add_f64 v[12:13], v[12:13], -v[36:37]
	v_add_f64 v[16:17], v[16:17], v[31:32]
	v_cvt_i32_f64_e32 v38, v[38:39]
	v_add_f64 v[29:30], v[29:30], -v[42:43]
	v_cvt_f64_i32_e32 v[36:37], v38
	v_add_f64 v[12:13], v[12:13], v[29:30]
	v_add_f64 v[21:22], v[21:22], -v[36:37]
	v_add_f64 v[12:13], v[16:17], v[12:13]
	v_add_f64 v[16:17], v[23:24], -v[19:20]
	v_add_f64 v[27:28], v[25:26], v[21:22]
	v_add_f64 v[10:11], v[10:11], v[12:13]
	v_add_f64 v[12:13], v[27:28], -v[21:22]
	v_cmp_le_f64_e64 s0, 0.5, v[27:28]
	v_add_f64 v[10:11], v[16:17], v[10:11]
	v_add_f64 v[12:13], v[25:26], -v[12:13]
	v_cndmask_b32_e64 v36, 0, 0x3ff00000, s0
	v_add_co_ci_u32_e64 v16, null, 0, v38, s0
	v_add_f64 v[10:11], v[10:11], v[12:13]
	v_add_f64 v[12:13], v[27:28], -v[35:36]
	v_add_f64 v[19:20], v[12:13], v[10:11]
	v_mul_f64 v[21:22], v[19:20], s[4:5]
	v_add_f64 v[12:13], v[19:20], -v[12:13]
	v_fma_f64 v[23:24], v[19:20], s[4:5], -v[21:22]
	v_add_f64 v[10:11], v[10:11], -v[12:13]
	v_fma_f64 v[12:13], v[19:20], s[6:7], v[23:24]
	v_fma_f64 v[12:13], v[10:11], s[4:5], v[12:13]
	v_add_f64 v[10:11], v[21:22], v[12:13]
	v_add_f64 v[19:20], v[10:11], -v[21:22]
	v_add_f64 v[12:13], v[12:13], -v[19:20]
.LBB0_42:
	s_andn2_saveexec_b32 s0, s2
	s_cbranch_execz .LBB0_44
; %bb.43:
	s_mov_b32 s2, 0x6dc9c883
	s_mov_b32 s3, 0x3fe45f30
	;; [unrolled: 1-line block ×3, first 2 shown]
	v_mul_f64 v[10:11], |v[6:7]|, s[2:3]
	s_mov_b32 s2, 0x54442d18
	s_mov_b32 s3, 0xbff921fb
	;; [unrolled: 1-line block ×3, first 2 shown]
	v_rndne_f64_e32 v[16:17], v[10:11]
	v_fma_f64 v[10:11], v[16:17], s[2:3], |v[6:7]|
	v_mul_f64 v[12:13], v[16:17], s[4:5]
	s_mov_b32 s2, 0x252049c0
	s_mov_b32 s3, 0xb97b839a
	v_fma_f64 v[21:22], v[16:17], s[4:5], v[10:11]
	v_add_f64 v[19:20], v[10:11], v[12:13]
	s_mov_b32 s5, 0x3c91a626
	v_add_f64 v[10:11], v[10:11], -v[19:20]
	v_add_f64 v[19:20], v[19:20], -v[21:22]
	v_add_f64 v[10:11], v[10:11], v[12:13]
	v_fma_f64 v[12:13], v[16:17], s[4:5], v[12:13]
	v_add_f64 v[10:11], v[19:20], v[10:11]
	v_add_f64 v[10:11], v[10:11], -v[12:13]
	v_fma_f64 v[12:13], v[16:17], s[2:3], v[10:11]
	v_cvt_i32_f64_e32 v16, v[16:17]
	v_add_f64 v[10:11], v[21:22], v[12:13]
	v_add_f64 v[19:20], v[10:11], -v[21:22]
	v_add_f64 v[12:13], v[12:13], -v[19:20]
.LBB0_44:
	s_or_b32 exec_lo, exec_lo, s0
	v_mul_f64 v[19:20], v[10:11], v[10:11]
	s_mov_b32 s2, 0xb42fdfa7
	s_mov_b32 s4, 0xf9a43bb8
	;; [unrolled: 1-line block ×6, first 2 shown]
	v_mul_f64 v[29:30], v[12:13], 0.5
	v_fma_f64 v[21:22], v[19:20], s[4:5], s[2:3]
	s_mov_b32 s2, 0x9037ab78
	s_mov_b32 s4, 0x46cc5e42
	;; [unrolled: 1-line block ×4, first 2 shown]
	v_mul_f64 v[25:26], v[19:20], 0.5
	v_fma_f64 v[23:24], v[19:20], s[4:5], s[2:3]
	s_mov_b32 s2, 0xa17f65f6
	s_mov_b32 s4, 0x19e83e5c
	;; [unrolled: 1-line block ×4, first 2 shown]
	v_mul_f64 v[31:32], v[10:11], -v[19:20]
	v_fma_f64 v[21:22], v[19:20], v[21:22], s[6:7]
	v_add_f64 v[27:28], -v[25:26], 1.0
	v_fma_f64 v[23:24], v[19:20], v[23:24], s[2:3]
	s_mov_b32 s2, 0x19f4ec90
	s_mov_b32 s3, 0x3efa01a0
	v_fma_f64 v[21:22], v[19:20], v[21:22], s[4:5]
	s_mov_b32 s4, 0x11110bb3
	s_mov_b32 s5, 0x3f811111
	v_add_f64 v[33:34], -v[27:28], 1.0
	v_fma_f64 v[23:24], v[19:20], v[23:24], s[2:3]
	s_mov_b32 s2, 0x16c16967
	s_mov_b32 s3, 0xbf56c16c
	v_fma_f64 v[21:22], v[19:20], v[21:22], s[4:5]
	v_add_f64 v[25:26], v[33:34], -v[25:26]
	v_fma_f64 v[23:24], v[19:20], v[23:24], s[2:3]
	s_mov_b32 s3, 0x3fa55555
	s_mov_b32 s2, 0x55555555
	v_fma_f64 v[21:22], v[31:32], v[21:22], v[29:30]
	v_mul_f64 v[29:30], v[19:20], v[19:20]
	v_fma_f64 v[25:26], v[10:11], -v[12:13], v[25:26]
	v_fma_f64 v[23:24], v[19:20], v[23:24], s[2:3]
	s_mov_b32 s3, 0xbfc55555
	v_fma_f64 v[12:13], v[19:20], v[21:22], -v[12:13]
	v_fma_f64 v[19:20], v[29:30], v[23:24], v[25:26]
	v_fma_f64 v[12:13], v[31:32], s[2:3], v[12:13]
	v_add_f64 v[19:20], v[27:28], v[19:20]
	v_add_f64 v[10:11], v[10:11], -v[12:13]
	v_and_b32_e32 v13, 1, v16
	v_lshlrev_b32_e32 v12, 30, v16
	v_cmp_eq_u32_e64 s0, 0, v13
	v_xor_b32_e32 v12, v12, v7
	v_and_b32_e32 v12, 0x80000000, v12
	v_cndmask_b32_e64 v10, v19, v10, s0
	v_cndmask_b32_e64 v11, v20, v11, s0
	v_cmp_class_f64_e64 s0, v[6:7], 0x1f8
	v_xor_b32_e32 v11, v11, v12
	v_cndmask_b32_e64 v11, 0x7ff80000, v11, s0
	v_cndmask_b32_e64 v10, 0, v10, s0
.LBB0_45:
	s_or_b32 exec_lo, exec_lo, s1
	v_or_b32_e32 v6, 0x300, v0
	s_mov_b32 s1, exec_lo
	v_cmpx_gt_i32_e64 s33, v6
	s_cbranch_execnz .LBB0_52
; %bb.46:
	s_or_b32 exec_lo, exec_lo, s1
	s_and_saveexec_b32 s0, vcc_lo
	s_xor_b32 s0, exec_lo, s0
	s_cbranch_execnz .LBB0_57
.LBB0_47:
	s_or_b32 exec_lo, exec_lo, s0
	s_mov_b32 s0, exec_lo
	v_cmpx_gt_i32_e64 s33, v0
	s_cbranch_execnz .LBB0_58
.LBB0_48:
	s_or_b32 exec_lo, exec_lo, s0
	s_mov_b32 s0, exec_lo
	v_cmpx_gt_i32_e64 s33, v0
	s_cbranch_execnz .LBB0_59
.LBB0_49:
	s_or_b32 exec_lo, exec_lo, s0
	s_mov_b32 s0, exec_lo
	v_cmpx_gt_i32_e64 s33, v0
	s_cbranch_execz .LBB0_51
.LBB0_50:
	v_add_nc_u32_e32 v0, s12, v0
	v_mov_b32_e32 v1, 0
	v_lshlrev_b64 v[0:1], 3, v[0:1]
	v_add_co_u32 v0, vcc_lo, s8, v0
	v_add_co_ci_u32_e64 v1, null, s9, v1, vcc_lo
	global_store_dwordx2 v[0:1], v[8:9], off
.LBB0_51:
	s_endpgm
.LBB0_52:
	s_mov_b32 s2, exec_lo
                                        ; implicit-def: $vgpr12
                                        ; implicit-def: $vgpr6_vgpr7
                                        ; implicit-def: $vgpr8_vgpr9
	v_cmpx_ngt_f64_e64 0x41d00000, |v[2:3]|
	s_xor_b32 s2, exec_lo, s2
	s_cbranch_execz .LBB0_54
; %bb.53:
	v_ldexp_f64 v[6:7], |v[2:3]|, 0xffffff80
	v_cmp_le_f64_e64 s0, 0x7b000000, |v[2:3]|
	v_trig_preop_f64 v[8:9], |v[2:3]|, 0
	v_and_b32_e32 v12, 0x7fffffff, v3
	v_trig_preop_f64 v[25:26], |v[2:3]|, 2
	v_mov_b32_e32 v33, 0
	s_mov_b32 s4, 0x54442d18
	s_mov_b32 s5, 0x3ff921fb
	;; [unrolled: 1-line block ×4, first 2 shown]
	v_cndmask_b32_e64 v7, v12, v7, s0
	v_cndmask_b32_e64 v6, v2, v6, s0
	v_trig_preop_f64 v[12:13], |v[2:3]|, 1
	v_mul_f64 v[16:17], v[8:9], v[6:7]
	v_mul_f64 v[31:32], v[25:26], v[6:7]
	;; [unrolled: 1-line block ×3, first 2 shown]
	v_fma_f64 v[8:9], v[8:9], v[6:7], -v[16:17]
	v_fma_f64 v[12:13], v[12:13], v[6:7], -v[19:20]
	;; [unrolled: 1-line block ×3, first 2 shown]
	v_add_f64 v[21:22], v[19:20], v[8:9]
	v_add_f64 v[23:24], v[21:22], -v[19:20]
	v_add_f64 v[29:30], v[16:17], v[21:22]
	v_add_f64 v[27:28], v[21:22], -v[23:24]
	v_add_f64 v[8:9], v[8:9], -v[23:24]
	v_ldexp_f64 v[23:24], v[29:30], -2
	v_add_f64 v[16:17], v[29:30], -v[16:17]
	v_add_f64 v[19:20], v[19:20], -v[27:28]
	v_add_f64 v[27:28], v[31:32], v[12:13]
	v_cmp_neq_f64_e64 s0, 0x7ff00000, |v[23:24]|
	v_add_f64 v[16:17], v[21:22], -v[16:17]
	v_add_f64 v[8:9], v[8:9], v[19:20]
	v_fract_f64_e32 v[19:20], v[23:24]
	v_add_f64 v[21:22], v[27:28], v[8:9]
	v_ldexp_f64 v[19:20], v[19:20], 2
	v_add_f64 v[23:24], v[16:17], v[21:22]
	v_cndmask_b32_e64 v20, 0, v20, s0
	v_cndmask_b32_e64 v19, 0, v19, s0
	v_add_f64 v[29:30], v[23:24], v[19:20]
	v_add_f64 v[16:17], v[23:24], -v[16:17]
	v_cmp_gt_f64_e64 s0, 0, v[29:30]
	v_add_f64 v[29:30], v[27:28], -v[31:32]
	v_cndmask_b32_e64 v34, 0, 0x40100000, s0
	v_add_f64 v[38:39], v[27:28], -v[29:30]
	v_add_f64 v[12:13], v[12:13], -v[29:30]
	v_add_f64 v[19:20], v[19:20], v[33:34]
	v_add_f64 v[34:35], v[21:22], -v[27:28]
	v_add_f64 v[29:30], v[31:32], -v[38:39]
	v_add_f64 v[36:37], v[23:24], v[19:20]
	v_add_f64 v[40:41], v[21:22], -v[34:35]
	v_add_f64 v[8:9], v[8:9], -v[34:35]
	v_add_f64 v[12:13], v[12:13], v[29:30]
	v_cvt_i32_f64_e32 v36, v[36:37]
	v_add_f64 v[27:28], v[27:28], -v[40:41]
	v_cvt_f64_i32_e32 v[34:35], v36
	v_add_f64 v[8:9], v[8:9], v[27:28]
	v_add_f64 v[19:20], v[19:20], -v[34:35]
	v_add_f64 v[8:9], v[12:13], v[8:9]
	v_add_f64 v[12:13], v[21:22], -v[16:17]
	v_add_f64 v[25:26], v[23:24], v[19:20]
	v_add_f64 v[6:7], v[6:7], v[8:9]
	v_add_f64 v[8:9], v[25:26], -v[19:20]
	v_cmp_le_f64_e64 s0, 0.5, v[25:26]
	v_add_f64 v[6:7], v[12:13], v[6:7]
	v_add_f64 v[8:9], v[23:24], -v[8:9]
	v_cndmask_b32_e64 v34, 0, 0x3ff00000, s0
	v_add_co_ci_u32_e64 v12, null, 0, v36, s0
	v_add_f64 v[6:7], v[6:7], v[8:9]
	v_add_f64 v[8:9], v[25:26], -v[33:34]
	v_add_f64 v[16:17], v[8:9], v[6:7]
	v_mul_f64 v[19:20], v[16:17], s[4:5]
	v_add_f64 v[8:9], v[16:17], -v[8:9]
	v_fma_f64 v[21:22], v[16:17], s[4:5], -v[19:20]
	v_add_f64 v[6:7], v[6:7], -v[8:9]
	v_fma_f64 v[8:9], v[16:17], s[6:7], v[21:22]
	v_fma_f64 v[8:9], v[6:7], s[4:5], v[8:9]
	v_add_f64 v[6:7], v[19:20], v[8:9]
	v_add_f64 v[16:17], v[6:7], -v[19:20]
	v_add_f64 v[8:9], v[8:9], -v[16:17]
.LBB0_54:
	s_andn2_saveexec_b32 s0, s2
	s_cbranch_execz .LBB0_56
; %bb.55:
	s_mov_b32 s2, 0x6dc9c883
	s_mov_b32 s3, 0x3fe45f30
	;; [unrolled: 1-line block ×3, first 2 shown]
	v_mul_f64 v[6:7], |v[2:3]|, s[2:3]
	s_mov_b32 s2, 0x54442d18
	s_mov_b32 s3, 0xbff921fb
	;; [unrolled: 1-line block ×3, first 2 shown]
	v_rndne_f64_e32 v[12:13], v[6:7]
	v_fma_f64 v[6:7], v[12:13], s[2:3], |v[2:3]|
	v_mul_f64 v[8:9], v[12:13], s[4:5]
	s_mov_b32 s2, 0x252049c0
	s_mov_b32 s3, 0xb97b839a
	v_fma_f64 v[19:20], v[12:13], s[4:5], v[6:7]
	v_add_f64 v[16:17], v[6:7], v[8:9]
	s_mov_b32 s5, 0x3c91a626
	v_add_f64 v[6:7], v[6:7], -v[16:17]
	v_add_f64 v[16:17], v[16:17], -v[19:20]
	v_add_f64 v[6:7], v[6:7], v[8:9]
	v_fma_f64 v[8:9], v[12:13], s[4:5], v[8:9]
	v_add_f64 v[6:7], v[16:17], v[6:7]
	v_add_f64 v[6:7], v[6:7], -v[8:9]
	v_fma_f64 v[8:9], v[12:13], s[2:3], v[6:7]
	v_cvt_i32_f64_e32 v12, v[12:13]
	v_add_f64 v[6:7], v[19:20], v[8:9]
	v_add_f64 v[16:17], v[6:7], -v[19:20]
	v_add_f64 v[8:9], v[8:9], -v[16:17]
.LBB0_56:
	s_or_b32 exec_lo, exec_lo, s0
	v_mul_f64 v[16:17], v[6:7], v[6:7]
	s_mov_b32 s2, 0xb42fdfa7
	s_mov_b32 s4, 0xf9a43bb8
	;; [unrolled: 1-line block ×6, first 2 shown]
	v_mul_f64 v[27:28], v[8:9], 0.5
	v_fma_f64 v[19:20], v[16:17], s[4:5], s[2:3]
	s_mov_b32 s2, 0x9037ab78
	s_mov_b32 s4, 0x46cc5e42
	;; [unrolled: 1-line block ×4, first 2 shown]
	v_mul_f64 v[23:24], v[16:17], 0.5
	v_fma_f64 v[21:22], v[16:17], s[4:5], s[2:3]
	s_mov_b32 s2, 0xa17f65f6
	s_mov_b32 s4, 0x19e83e5c
	s_mov_b32 s3, 0xbe927e4f
	s_mov_b32 s5, 0xbf2a01a0
	v_mul_f64 v[29:30], v[6:7], -v[16:17]
	v_fma_f64 v[19:20], v[16:17], v[19:20], s[6:7]
	v_add_f64 v[25:26], -v[23:24], 1.0
	v_fma_f64 v[21:22], v[16:17], v[21:22], s[2:3]
	s_mov_b32 s2, 0x19f4ec90
	s_mov_b32 s3, 0x3efa01a0
	v_fma_f64 v[19:20], v[16:17], v[19:20], s[4:5]
	s_mov_b32 s4, 0x11110bb3
	s_mov_b32 s5, 0x3f811111
	v_add_f64 v[31:32], -v[25:26], 1.0
	v_fma_f64 v[21:22], v[16:17], v[21:22], s[2:3]
	s_mov_b32 s2, 0x16c16967
	s_mov_b32 s3, 0xbf56c16c
	v_fma_f64 v[19:20], v[16:17], v[19:20], s[4:5]
	v_add_f64 v[23:24], v[31:32], -v[23:24]
	v_fma_f64 v[21:22], v[16:17], v[21:22], s[2:3]
	s_mov_b32 s3, 0x3fa55555
	s_mov_b32 s2, 0x55555555
	v_fma_f64 v[19:20], v[29:30], v[19:20], v[27:28]
	v_mul_f64 v[27:28], v[16:17], v[16:17]
	v_fma_f64 v[23:24], v[6:7], -v[8:9], v[23:24]
	v_fma_f64 v[21:22], v[16:17], v[21:22], s[2:3]
	s_mov_b32 s3, 0xbfc55555
	v_fma_f64 v[8:9], v[16:17], v[19:20], -v[8:9]
	v_fma_f64 v[16:17], v[27:28], v[21:22], v[23:24]
	v_fma_f64 v[8:9], v[29:30], s[2:3], v[8:9]
	v_add_f64 v[16:17], v[25:26], v[16:17]
	v_add_f64 v[6:7], v[6:7], -v[8:9]
	v_and_b32_e32 v9, 1, v12
	v_lshlrev_b32_e32 v8, 30, v12
	v_cmp_eq_u32_e64 s0, 0, v9
	v_xor_b32_e32 v8, v8, v3
	v_and_b32_e32 v8, 0x80000000, v8
	v_cndmask_b32_e64 v6, v16, v6, s0
	v_cndmask_b32_e64 v7, v17, v7, s0
	v_cmp_class_f64_e64 s0, v[2:3], 0x1f8
	v_xor_b32_e32 v7, v7, v8
	v_cndmask_b32_e64 v9, 0x7ff80000, v7, s0
	v_cndmask_b32_e64 v8, 0, v6, s0
	s_or_b32 exec_lo, exec_lo, s1
	s_and_saveexec_b32 s0, vcc_lo
	s_xor_b32 s0, exec_lo, s0
	s_cbranch_execz .LBB0_47
.LBB0_57:
	v_mov_b32_e32 v2, 0
	v_lshlrev_b64 v[0:1], 3, v[1:2]
	v_add_co_u32 v2, vcc_lo, s8, v0
	v_add_co_ci_u32_e64 v3, null, s9, v1, vcc_lo
	v_mov_b32_e32 v0, v18
	global_store_dwordx2 v[2:3], v[4:5], off
	s_or_b32 exec_lo, exec_lo, s0
	s_mov_b32 s0, exec_lo
	v_cmpx_gt_i32_e64 s33, v0
	s_cbranch_execz .LBB0_48
.LBB0_58:
	v_add_nc_u32_e32 v1, s12, v0
	v_mov_b32_e32 v2, 0
	v_add_nc_u32_e32 v0, 0x100, v0
	v_lshlrev_b64 v[1:2], 3, v[1:2]
	v_add_co_u32 v1, vcc_lo, s8, v1
	v_add_co_ci_u32_e64 v2, null, s9, v2, vcc_lo
	global_store_dwordx2 v[1:2], v[14:15], off
	s_or_b32 exec_lo, exec_lo, s0
	s_mov_b32 s0, exec_lo
	v_cmpx_gt_i32_e64 s33, v0
	s_cbranch_execz .LBB0_49
.LBB0_59:
	v_add_nc_u32_e32 v1, s12, v0
	v_mov_b32_e32 v2, 0
	v_add_nc_u32_e32 v0, 0x100, v0
	v_lshlrev_b64 v[1:2], 3, v[1:2]
	v_add_co_u32 v1, vcc_lo, s8, v1
	v_add_co_ci_u32_e64 v2, null, s9, v2, vcc_lo
	global_store_dwordx2 v[1:2], v[10:11], off
	s_or_b32 exec_lo, exec_lo, s0
	s_mov_b32 s0, exec_lo
	v_cmpx_gt_i32_e64 s33, v0
	s_cbranch_execnz .LBB0_50
	s_branch .LBB0_51
	.section	.rodata,"a",@progbits
	.p2align	6, 0x0
	.amdhsa_kernel _ZN2at6native29vectorized_elementwise_kernelILi16EZZZNS0_15sin_kernel_cudaERNS_18TensorIteratorBaseEENKUlvE0_clEvENKUlvE_clEvEUldE_St5arrayIPcLm2EEEEviT0_T1_
		.amdhsa_group_segment_fixed_size 0
		.amdhsa_private_segment_fixed_size 0
		.amdhsa_kernarg_size 24
		.amdhsa_user_sgpr_count 6
		.amdhsa_user_sgpr_private_segment_buffer 1
		.amdhsa_user_sgpr_dispatch_ptr 0
		.amdhsa_user_sgpr_queue_ptr 0
		.amdhsa_user_sgpr_kernarg_segment_ptr 1
		.amdhsa_user_sgpr_dispatch_id 0
		.amdhsa_user_sgpr_flat_scratch_init 0
		.amdhsa_user_sgpr_private_segment_size 0
		.amdhsa_wavefront_size32 1
		.amdhsa_uses_dynamic_stack 0
		.amdhsa_system_sgpr_private_segment_wavefront_offset 0
		.amdhsa_system_sgpr_workgroup_id_x 1
		.amdhsa_system_sgpr_workgroup_id_y 0
		.amdhsa_system_sgpr_workgroup_id_z 0
		.amdhsa_system_sgpr_workgroup_info 0
		.amdhsa_system_vgpr_workitem_id 0
		.amdhsa_next_free_vgpr 64
		.amdhsa_next_free_sgpr 34
		.amdhsa_reserve_vcc 1
		.amdhsa_reserve_flat_scratch 0
		.amdhsa_float_round_mode_32 0
		.amdhsa_float_round_mode_16_64 0
		.amdhsa_float_denorm_mode_32 3
		.amdhsa_float_denorm_mode_16_64 3
		.amdhsa_dx10_clamp 1
		.amdhsa_ieee_mode 1
		.amdhsa_fp16_overflow 0
		.amdhsa_workgroup_processor_mode 1
		.amdhsa_memory_ordered 1
		.amdhsa_forward_progress 1
		.amdhsa_shared_vgpr_count 0
		.amdhsa_exception_fp_ieee_invalid_op 0
		.amdhsa_exception_fp_denorm_src 0
		.amdhsa_exception_fp_ieee_div_zero 0
		.amdhsa_exception_fp_ieee_overflow 0
		.amdhsa_exception_fp_ieee_underflow 0
		.amdhsa_exception_fp_ieee_inexact 0
		.amdhsa_exception_int_div_zero 0
	.end_amdhsa_kernel
	.section	.text._ZN2at6native29vectorized_elementwise_kernelILi16EZZZNS0_15sin_kernel_cudaERNS_18TensorIteratorBaseEENKUlvE0_clEvENKUlvE_clEvEUldE_St5arrayIPcLm2EEEEviT0_T1_,"axG",@progbits,_ZN2at6native29vectorized_elementwise_kernelILi16EZZZNS0_15sin_kernel_cudaERNS_18TensorIteratorBaseEENKUlvE0_clEvENKUlvE_clEvEUldE_St5arrayIPcLm2EEEEviT0_T1_,comdat
.Lfunc_end0:
	.size	_ZN2at6native29vectorized_elementwise_kernelILi16EZZZNS0_15sin_kernel_cudaERNS_18TensorIteratorBaseEENKUlvE0_clEvENKUlvE_clEvEUldE_St5arrayIPcLm2EEEEviT0_T1_, .Lfunc_end0-_ZN2at6native29vectorized_elementwise_kernelILi16EZZZNS0_15sin_kernel_cudaERNS_18TensorIteratorBaseEENKUlvE0_clEvENKUlvE_clEvEUldE_St5arrayIPcLm2EEEEviT0_T1_
                                        ; -- End function
	.set _ZN2at6native29vectorized_elementwise_kernelILi16EZZZNS0_15sin_kernel_cudaERNS_18TensorIteratorBaseEENKUlvE0_clEvENKUlvE_clEvEUldE_St5arrayIPcLm2EEEEviT0_T1_.num_vgpr, 64
	.set _ZN2at6native29vectorized_elementwise_kernelILi16EZZZNS0_15sin_kernel_cudaERNS_18TensorIteratorBaseEENKUlvE0_clEvENKUlvE_clEvEUldE_St5arrayIPcLm2EEEEviT0_T1_.num_agpr, 0
	.set _ZN2at6native29vectorized_elementwise_kernelILi16EZZZNS0_15sin_kernel_cudaERNS_18TensorIteratorBaseEENKUlvE0_clEvENKUlvE_clEvEUldE_St5arrayIPcLm2EEEEviT0_T1_.numbered_sgpr, 34
	.set _ZN2at6native29vectorized_elementwise_kernelILi16EZZZNS0_15sin_kernel_cudaERNS_18TensorIteratorBaseEENKUlvE0_clEvENKUlvE_clEvEUldE_St5arrayIPcLm2EEEEviT0_T1_.num_named_barrier, 0
	.set _ZN2at6native29vectorized_elementwise_kernelILi16EZZZNS0_15sin_kernel_cudaERNS_18TensorIteratorBaseEENKUlvE0_clEvENKUlvE_clEvEUldE_St5arrayIPcLm2EEEEviT0_T1_.private_seg_size, 0
	.set _ZN2at6native29vectorized_elementwise_kernelILi16EZZZNS0_15sin_kernel_cudaERNS_18TensorIteratorBaseEENKUlvE0_clEvENKUlvE_clEvEUldE_St5arrayIPcLm2EEEEviT0_T1_.uses_vcc, 1
	.set _ZN2at6native29vectorized_elementwise_kernelILi16EZZZNS0_15sin_kernel_cudaERNS_18TensorIteratorBaseEENKUlvE0_clEvENKUlvE_clEvEUldE_St5arrayIPcLm2EEEEviT0_T1_.uses_flat_scratch, 0
	.set _ZN2at6native29vectorized_elementwise_kernelILi16EZZZNS0_15sin_kernel_cudaERNS_18TensorIteratorBaseEENKUlvE0_clEvENKUlvE_clEvEUldE_St5arrayIPcLm2EEEEviT0_T1_.has_dyn_sized_stack, 0
	.set _ZN2at6native29vectorized_elementwise_kernelILi16EZZZNS0_15sin_kernel_cudaERNS_18TensorIteratorBaseEENKUlvE0_clEvENKUlvE_clEvEUldE_St5arrayIPcLm2EEEEviT0_T1_.has_recursion, 0
	.set _ZN2at6native29vectorized_elementwise_kernelILi16EZZZNS0_15sin_kernel_cudaERNS_18TensorIteratorBaseEENKUlvE0_clEvENKUlvE_clEvEUldE_St5arrayIPcLm2EEEEviT0_T1_.has_indirect_call, 0
	.section	.AMDGPU.csdata,"",@progbits
; Kernel info:
; codeLenInByte = 10824
; TotalNumSgprs: 36
; NumVgprs: 64
; ScratchSize: 0
; MemoryBound: 1
; FloatMode: 240
; IeeeMode: 1
; LDSByteSize: 0 bytes/workgroup (compile time only)
; SGPRBlocks: 0
; VGPRBlocks: 7
; NumSGPRsForWavesPerEU: 36
; NumVGPRsForWavesPerEU: 64
; Occupancy: 16
; WaveLimiterHint : 0
; COMPUTE_PGM_RSRC2:SCRATCH_EN: 0
; COMPUTE_PGM_RSRC2:USER_SGPR: 6
; COMPUTE_PGM_RSRC2:TRAP_HANDLER: 0
; COMPUTE_PGM_RSRC2:TGID_X_EN: 1
; COMPUTE_PGM_RSRC2:TGID_Y_EN: 0
; COMPUTE_PGM_RSRC2:TGID_Z_EN: 0
; COMPUTE_PGM_RSRC2:TIDIG_COMP_CNT: 0
	.section	.text._ZN2at6native29vectorized_elementwise_kernelILi8EZZZNS0_15sin_kernel_cudaERNS_18TensorIteratorBaseEENKUlvE0_clEvENKUlvE_clEvEUldE_St5arrayIPcLm2EEEEviT0_T1_,"axG",@progbits,_ZN2at6native29vectorized_elementwise_kernelILi8EZZZNS0_15sin_kernel_cudaERNS_18TensorIteratorBaseEENKUlvE0_clEvENKUlvE_clEvEUldE_St5arrayIPcLm2EEEEviT0_T1_,comdat
	.globl	_ZN2at6native29vectorized_elementwise_kernelILi8EZZZNS0_15sin_kernel_cudaERNS_18TensorIteratorBaseEENKUlvE0_clEvENKUlvE_clEvEUldE_St5arrayIPcLm2EEEEviT0_T1_ ; -- Begin function _ZN2at6native29vectorized_elementwise_kernelILi8EZZZNS0_15sin_kernel_cudaERNS_18TensorIteratorBaseEENKUlvE0_clEvENKUlvE_clEvEUldE_St5arrayIPcLm2EEEEviT0_T1_
	.p2align	8
	.type	_ZN2at6native29vectorized_elementwise_kernelILi8EZZZNS0_15sin_kernel_cudaERNS_18TensorIteratorBaseEENKUlvE0_clEvENKUlvE_clEvEUldE_St5arrayIPcLm2EEEEviT0_T1_,@function
_ZN2at6native29vectorized_elementwise_kernelILi8EZZZNS0_15sin_kernel_cudaERNS_18TensorIteratorBaseEENKUlvE0_clEvENKUlvE_clEvEUldE_St5arrayIPcLm2EEEEviT0_T1_: ; @_ZN2at6native29vectorized_elementwise_kernelILi8EZZZNS0_15sin_kernel_cudaERNS_18TensorIteratorBaseEENKUlvE0_clEvENKUlvE_clEvEUldE_St5arrayIPcLm2EEEEviT0_T1_
; %bb.0:
	s_clause 0x1
	s_load_dword s0, s[4:5], 0x0
	s_load_dwordx4 s[8:11], s[4:5], 0x8
	s_lshl_b32 s12, s6, 10
	s_waitcnt lgkmcnt(0)
	s_sub_i32 s33, s0, s12
	s_mov_b32 s0, -1
	s_cmpk_gt_i32 s33, 0x3ff
	s_cbranch_scc0 .LBB1_18
; %bb.1:
	s_ashr_i32 s13, s12, 31
	v_lshlrev_b32_e32 v25, 5, v0
	s_lshl_b64 s[14:15], s[12:13], 3
	v_mov_b32_e32 v13, 0
	s_add_u32 s0, s10, s14
	s_addc_u32 s1, s11, s15
                                        ; implicit-def: $vgpr26
                                        ; implicit-def: $vgpr9_vgpr10
                                        ; implicit-def: $vgpr11_vgpr12
	s_clause 0x1
	global_load_dwordx4 v[5:8], v25, s[0:1]
	global_load_dwordx4 v[1:4], v25, s[0:1] offset:16
	s_waitcnt vmcnt(1)
	v_cmp_ngt_f64_e64 s0, 0x41d00000, |v[5:6]|
	s_and_saveexec_b32 s1, s0
	s_xor_b32 s0, exec_lo, s1
	s_cbranch_execz .LBB1_3
; %bb.2:
	v_ldexp_f64 v[9:10], |v[5:6]|, 0xffffff80
	v_cmp_le_f64_e64 vcc_lo, 0x7b000000, |v[5:6]|
	v_trig_preop_f64 v[11:12], |v[5:6]|, 0
	v_and_b32_e32 v14, 0x7fffffff, v6
	v_trig_preop_f64 v[26:27], |v[5:6]|, 2
	s_mov_b32 s2, 0x54442d18
	s_mov_b32 s3, 0x3ff921fb
	;; [unrolled: 1-line block ×4, first 2 shown]
	v_cndmask_b32_e32 v10, v14, v10, vcc_lo
	v_cndmask_b32_e32 v9, v5, v9, vcc_lo
	v_trig_preop_f64 v[14:15], |v[5:6]|, 1
	v_mul_f64 v[16:17], v[11:12], v[9:10]
	v_mul_f64 v[32:33], v[26:27], v[9:10]
	;; [unrolled: 1-line block ×3, first 2 shown]
	v_fma_f64 v[11:12], v[11:12], v[9:10], -v[16:17]
	v_fma_f64 v[34:35], v[14:15], v[9:10], -v[18:19]
	;; [unrolled: 1-line block ×3, first 2 shown]
	v_add_f64 v[20:21], v[18:19], v[11:12]
	v_add_f64 v[22:23], v[20:21], -v[18:19]
	v_add_f64 v[30:31], v[16:17], v[20:21]
	v_add_f64 v[28:29], v[20:21], -v[22:23]
	v_add_f64 v[11:12], v[11:12], -v[22:23]
	v_add_f64 v[22:23], v[32:33], v[34:35]
	v_add_f64 v[16:17], v[30:31], -v[16:17]
	v_add_f64 v[14:15], v[18:19], -v[28:29]
	v_ldexp_f64 v[18:19], v[30:31], -2
	v_add_f64 v[16:17], v[20:21], -v[16:17]
	v_add_f64 v[11:12], v[11:12], v[14:15]
	v_fract_f64_e32 v[14:15], v[18:19]
	v_cmp_neq_f64_e64 vcc_lo, 0x7ff00000, |v[18:19]|
	v_add_f64 v[20:21], v[22:23], v[11:12]
	v_ldexp_f64 v[14:15], v[14:15], 2
	v_add_f64 v[18:19], v[16:17], v[20:21]
	v_cndmask_b32_e32 v29, 0, v15, vcc_lo
	v_cndmask_b32_e32 v28, 0, v14, vcc_lo
	v_add_f64 v[30:31], v[20:21], -v[22:23]
	v_add_f64 v[14:15], v[18:19], v[28:29]
	v_add_f64 v[16:17], v[18:19], -v[16:17]
	v_add_f64 v[40:41], v[20:21], -v[30:31]
	;; [unrolled: 1-line block ×3, first 2 shown]
	v_cmp_gt_f64_e32 vcc_lo, 0, v[14:15]
	v_add_f64 v[16:17], v[20:21], -v[16:17]
	v_cndmask_b32_e64 v14, 0, 0x40100000, vcc_lo
	v_add_f64 v[14:15], v[28:29], v[13:14]
	v_add_f64 v[28:29], v[22:23], -v[32:33]
	v_add_f64 v[36:37], v[18:19], v[14:15]
	v_add_f64 v[38:39], v[22:23], -v[28:29]
	v_add_f64 v[28:29], v[34:35], -v[28:29]
	;; [unrolled: 1-line block ×3, first 2 shown]
	v_cvt_i32_f64_e32 v24, v[36:37]
	v_add_f64 v[34:35], v[32:33], -v[38:39]
	v_add_f64 v[11:12], v[11:12], v[22:23]
	v_cvt_f64_i32_e32 v[30:31], v24
	v_add_f64 v[28:29], v[28:29], v[34:35]
	v_add_f64 v[14:15], v[14:15], -v[30:31]
	v_add_f64 v[11:12], v[28:29], v[11:12]
	v_add_f64 v[22:23], v[18:19], v[14:15]
	;; [unrolled: 1-line block ×3, first 2 shown]
	v_add_f64 v[11:12], v[22:23], -v[14:15]
	v_cmp_le_f64_e32 vcc_lo, 0.5, v[22:23]
	v_add_f64 v[9:10], v[16:17], v[9:10]
	v_add_f64 v[11:12], v[18:19], -v[11:12]
	v_cndmask_b32_e64 v14, 0, 0x3ff00000, vcc_lo
	v_add_co_ci_u32_e64 v26, null, 0, v24, vcc_lo
	v_add_f64 v[9:10], v[9:10], v[11:12]
	v_add_f64 v[11:12], v[22:23], -v[13:14]
	v_add_f64 v[13:14], v[11:12], v[9:10]
	v_mul_f64 v[15:16], v[13:14], s[2:3]
	v_add_f64 v[11:12], v[13:14], -v[11:12]
	v_fma_f64 v[17:18], v[13:14], s[2:3], -v[15:16]
	v_add_f64 v[9:10], v[9:10], -v[11:12]
	v_fma_f64 v[11:12], v[13:14], s[4:5], v[17:18]
	v_fma_f64 v[11:12], v[9:10], s[2:3], v[11:12]
	v_add_f64 v[9:10], v[15:16], v[11:12]
	v_add_f64 v[13:14], v[9:10], -v[15:16]
	v_add_f64 v[11:12], v[11:12], -v[13:14]
.LBB1_3:
	s_andn2_saveexec_b32 s0, s0
	s_cbranch_execz .LBB1_5
; %bb.4:
	s_mov_b32 s2, 0x6dc9c883
	s_mov_b32 s3, 0x3fe45f30
	;; [unrolled: 1-line block ×3, first 2 shown]
	v_mul_f64 v[9:10], |v[5:6]|, s[2:3]
	s_mov_b32 s2, 0x54442d18
	s_mov_b32 s3, 0xbff921fb
	;; [unrolled: 1-line block ×3, first 2 shown]
	v_rndne_f64_e32 v[13:14], v[9:10]
	v_fma_f64 v[9:10], v[13:14], s[2:3], |v[5:6]|
	v_mul_f64 v[11:12], v[13:14], s[4:5]
	s_mov_b32 s2, 0x252049c0
	s_mov_b32 s3, 0xb97b839a
	v_cvt_i32_f64_e32 v26, v[13:14]
	v_fma_f64 v[17:18], v[13:14], s[4:5], v[9:10]
	v_add_f64 v[15:16], v[9:10], v[11:12]
	s_mov_b32 s5, 0x3c91a626
	v_add_f64 v[9:10], v[9:10], -v[15:16]
	v_add_f64 v[15:16], v[15:16], -v[17:18]
	v_add_f64 v[9:10], v[9:10], v[11:12]
	v_fma_f64 v[11:12], v[13:14], s[4:5], v[11:12]
	v_add_f64 v[9:10], v[15:16], v[9:10]
	v_add_f64 v[9:10], v[9:10], -v[11:12]
	v_fma_f64 v[11:12], v[13:14], s[2:3], v[9:10]
	v_add_f64 v[9:10], v[17:18], v[11:12]
	v_add_f64 v[15:16], v[9:10], -v[17:18]
	v_add_f64 v[11:12], v[11:12], -v[15:16]
.LBB1_5:
	s_or_b32 exec_lo, exec_lo, s0
	v_cmp_ngt_f64_e64 s0, 0x41d00000, |v[7:8]|
                                        ; implicit-def: $vgpr27
                                        ; implicit-def: $vgpr13_vgpr14
                                        ; implicit-def: $vgpr15_vgpr16
	s_and_saveexec_b32 s1, s0
	s_xor_b32 s0, exec_lo, s1
	s_cbranch_execz .LBB1_7
; %bb.6:
	v_ldexp_f64 v[13:14], |v[7:8]|, 0xffffff80
	v_cmp_le_f64_e64 vcc_lo, 0x7b000000, |v[7:8]|
	v_trig_preop_f64 v[15:16], |v[7:8]|, 0
	v_and_b32_e32 v17, 0x7fffffff, v8
	v_trig_preop_f64 v[29:30], |v[7:8]|, 2
	v_mov_b32_e32 v37, 0
	s_mov_b32 s2, 0x54442d18
	s_mov_b32 s3, 0x3ff921fb
	;; [unrolled: 1-line block ×4, first 2 shown]
	v_cndmask_b32_e32 v14, v17, v14, vcc_lo
	v_cndmask_b32_e32 v13, v7, v13, vcc_lo
	v_trig_preop_f64 v[17:18], |v[7:8]|, 1
	v_mul_f64 v[19:20], v[15:16], v[13:14]
	v_mul_f64 v[35:36], v[29:30], v[13:14]
	;; [unrolled: 1-line block ×3, first 2 shown]
	v_fma_f64 v[15:16], v[15:16], v[13:14], -v[19:20]
	v_fma_f64 v[17:18], v[17:18], v[13:14], -v[21:22]
	;; [unrolled: 1-line block ×3, first 2 shown]
	v_add_f64 v[23:24], v[21:22], v[15:16]
	v_add_f64 v[27:28], v[23:24], -v[21:22]
	v_add_f64 v[33:34], v[19:20], v[23:24]
	v_add_f64 v[31:32], v[23:24], -v[27:28]
	v_add_f64 v[15:16], v[15:16], -v[27:28]
	v_ldexp_f64 v[27:28], v[33:34], -2
	v_add_f64 v[19:20], v[33:34], -v[19:20]
	v_add_f64 v[21:22], v[21:22], -v[31:32]
	v_add_f64 v[31:32], v[35:36], v[17:18]
	v_cmp_neq_f64_e64 vcc_lo, 0x7ff00000, |v[27:28]|
	v_add_f64 v[19:20], v[23:24], -v[19:20]
	v_add_f64 v[15:16], v[15:16], v[21:22]
	v_fract_f64_e32 v[21:22], v[27:28]
	v_add_f64 v[23:24], v[31:32], v[15:16]
	v_ldexp_f64 v[21:22], v[21:22], 2
	v_add_f64 v[27:28], v[19:20], v[23:24]
	v_cndmask_b32_e32 v22, 0, v22, vcc_lo
	v_cndmask_b32_e32 v21, 0, v21, vcc_lo
	v_add_f64 v[33:34], v[27:28], v[21:22]
	v_add_f64 v[19:20], v[27:28], -v[19:20]
	v_cmp_gt_f64_e32 vcc_lo, 0, v[33:34]
	v_add_f64 v[33:34], v[31:32], -v[35:36]
	v_add_f64 v[19:20], v[23:24], -v[19:20]
	v_cndmask_b32_e64 v38, 0, 0x40100000, vcc_lo
	v_add_f64 v[42:43], v[31:32], -v[33:34]
	v_add_f64 v[17:18], v[17:18], -v[33:34]
	v_add_f64 v[21:22], v[21:22], v[37:38]
	v_add_f64 v[38:39], v[23:24], -v[31:32]
	v_add_f64 v[33:34], v[35:36], -v[42:43]
	v_add_f64 v[40:41], v[27:28], v[21:22]
	;; [unrolled: 3-line block ×3, first 2 shown]
	v_cvt_i32_f64_e32 v40, v[40:41]
	v_add_f64 v[31:32], v[31:32], -v[44:45]
	v_cvt_f64_i32_e32 v[38:39], v40
	v_add_f64 v[15:16], v[15:16], v[31:32]
	v_add_f64 v[21:22], v[21:22], -v[38:39]
	v_add_f64 v[15:16], v[17:18], v[15:16]
	v_add_f64 v[17:18], v[27:28], v[21:22]
	;; [unrolled: 1-line block ×3, first 2 shown]
	v_add_f64 v[15:16], v[17:18], -v[21:22]
	v_cmp_le_f64_e32 vcc_lo, 0.5, v[17:18]
	v_add_f64 v[13:14], v[19:20], v[13:14]
	v_add_f64 v[15:16], v[27:28], -v[15:16]
	v_cndmask_b32_e64 v38, 0, 0x3ff00000, vcc_lo
	v_add_co_ci_u32_e64 v27, null, 0, v40, vcc_lo
	v_add_f64 v[13:14], v[13:14], v[15:16]
	v_add_f64 v[15:16], v[17:18], -v[37:38]
	v_add_f64 v[17:18], v[15:16], v[13:14]
	v_mul_f64 v[19:20], v[17:18], s[2:3]
	v_add_f64 v[15:16], v[17:18], -v[15:16]
	v_fma_f64 v[21:22], v[17:18], s[2:3], -v[19:20]
	v_add_f64 v[13:14], v[13:14], -v[15:16]
	v_fma_f64 v[15:16], v[17:18], s[4:5], v[21:22]
	v_fma_f64 v[15:16], v[13:14], s[2:3], v[15:16]
	v_add_f64 v[13:14], v[19:20], v[15:16]
	v_add_f64 v[17:18], v[13:14], -v[19:20]
	v_add_f64 v[15:16], v[15:16], -v[17:18]
.LBB1_7:
	s_andn2_saveexec_b32 s0, s0
	s_cbranch_execz .LBB1_9
; %bb.8:
	s_mov_b32 s2, 0x6dc9c883
	s_mov_b32 s3, 0x3fe45f30
	;; [unrolled: 1-line block ×3, first 2 shown]
	v_mul_f64 v[13:14], |v[7:8]|, s[2:3]
	s_mov_b32 s2, 0x54442d18
	s_mov_b32 s3, 0xbff921fb
	;; [unrolled: 1-line block ×3, first 2 shown]
	v_rndne_f64_e32 v[17:18], v[13:14]
	v_fma_f64 v[13:14], v[17:18], s[2:3], |v[7:8]|
	v_mul_f64 v[15:16], v[17:18], s[4:5]
	s_mov_b32 s2, 0x252049c0
	s_mov_b32 s3, 0xb97b839a
	v_cvt_i32_f64_e32 v27, v[17:18]
	v_fma_f64 v[21:22], v[17:18], s[4:5], v[13:14]
	v_add_f64 v[19:20], v[13:14], v[15:16]
	s_mov_b32 s5, 0x3c91a626
	v_add_f64 v[13:14], v[13:14], -v[19:20]
	v_add_f64 v[19:20], v[19:20], -v[21:22]
	v_add_f64 v[13:14], v[13:14], v[15:16]
	v_fma_f64 v[15:16], v[17:18], s[4:5], v[15:16]
	v_add_f64 v[13:14], v[19:20], v[13:14]
	v_add_f64 v[13:14], v[13:14], -v[15:16]
	v_fma_f64 v[15:16], v[17:18], s[2:3], v[13:14]
	v_add_f64 v[13:14], v[21:22], v[15:16]
	v_add_f64 v[19:20], v[13:14], -v[21:22]
	v_add_f64 v[15:16], v[15:16], -v[19:20]
.LBB1_9:
	s_or_b32 exec_lo, exec_lo, s0
	s_waitcnt vmcnt(0)
	v_cmp_ngt_f64_e64 s0, 0x41d00000, |v[1:2]|
                                        ; implicit-def: $vgpr28
                                        ; implicit-def: $vgpr17_vgpr18
                                        ; implicit-def: $vgpr19_vgpr20
	s_and_saveexec_b32 s1, s0
	s_xor_b32 s0, exec_lo, s1
	s_cbranch_execz .LBB1_11
; %bb.10:
	v_ldexp_f64 v[17:18], |v[1:2]|, 0xffffff80
	v_cmp_le_f64_e64 vcc_lo, 0x7b000000, |v[1:2]|
	v_trig_preop_f64 v[19:20], |v[1:2]|, 0
	v_and_b32_e32 v21, 0x7fffffff, v2
	v_trig_preop_f64 v[34:35], |v[1:2]|, 2
	v_mov_b32_e32 v42, 0
	s_mov_b32 s2, 0x54442d18
	s_mov_b32 s3, 0x3ff921fb
	;; [unrolled: 1-line block ×4, first 2 shown]
	v_cndmask_b32_e32 v18, v21, v18, vcc_lo
	v_cndmask_b32_e32 v17, v1, v17, vcc_lo
	v_trig_preop_f64 v[21:22], |v[1:2]|, 1
	v_mul_f64 v[23:24], v[19:20], v[17:18]
	v_mul_f64 v[40:41], v[34:35], v[17:18]
	;; [unrolled: 1-line block ×3, first 2 shown]
	v_fma_f64 v[19:20], v[19:20], v[17:18], -v[23:24]
	v_fma_f64 v[21:22], v[21:22], v[17:18], -v[28:29]
	;; [unrolled: 1-line block ×3, first 2 shown]
	v_add_f64 v[30:31], v[28:29], v[19:20]
	v_add_f64 v[32:33], v[30:31], -v[28:29]
	v_add_f64 v[38:39], v[23:24], v[30:31]
	v_add_f64 v[36:37], v[30:31], -v[32:33]
	v_add_f64 v[19:20], v[19:20], -v[32:33]
	v_ldexp_f64 v[32:33], v[38:39], -2
	v_add_f64 v[23:24], v[38:39], -v[23:24]
	v_add_f64 v[28:29], v[28:29], -v[36:37]
	v_add_f64 v[36:37], v[40:41], v[21:22]
	v_cmp_neq_f64_e64 vcc_lo, 0x7ff00000, |v[32:33]|
	v_add_f64 v[23:24], v[30:31], -v[23:24]
	v_add_f64 v[19:20], v[19:20], v[28:29]
	v_fract_f64_e32 v[28:29], v[32:33]
	v_add_f64 v[30:31], v[36:37], v[19:20]
	v_ldexp_f64 v[28:29], v[28:29], 2
	v_add_f64 v[32:33], v[23:24], v[30:31]
	v_cndmask_b32_e32 v29, 0, v29, vcc_lo
	v_cndmask_b32_e32 v28, 0, v28, vcc_lo
	v_add_f64 v[38:39], v[32:33], v[28:29]
	v_add_f64 v[23:24], v[32:33], -v[23:24]
	v_cmp_gt_f64_e32 vcc_lo, 0, v[38:39]
	v_add_f64 v[38:39], v[36:37], -v[40:41]
	v_add_f64 v[23:24], v[30:31], -v[23:24]
	v_cndmask_b32_e64 v43, 0, 0x40100000, vcc_lo
	v_add_f64 v[47:48], v[36:37], -v[38:39]
	v_add_f64 v[21:22], v[21:22], -v[38:39]
	v_add_f64 v[28:29], v[28:29], v[42:43]
	v_add_f64 v[43:44], v[30:31], -v[36:37]
	v_add_f64 v[38:39], v[40:41], -v[47:48]
	v_add_f64 v[45:46], v[32:33], v[28:29]
	;; [unrolled: 3-line block ×3, first 2 shown]
	v_cvt_i32_f64_e32 v45, v[45:46]
	v_add_f64 v[36:37], v[36:37], -v[49:50]
	v_cvt_f64_i32_e32 v[43:44], v45
	v_add_f64 v[19:20], v[19:20], v[36:37]
	v_add_f64 v[28:29], v[28:29], -v[43:44]
	v_add_f64 v[19:20], v[21:22], v[19:20]
	v_add_f64 v[21:22], v[32:33], v[28:29]
	;; [unrolled: 1-line block ×3, first 2 shown]
	v_add_f64 v[19:20], v[21:22], -v[28:29]
	v_cmp_le_f64_e32 vcc_lo, 0.5, v[21:22]
	v_add_f64 v[17:18], v[23:24], v[17:18]
	v_add_f64 v[19:20], v[32:33], -v[19:20]
	v_cndmask_b32_e64 v43, 0, 0x3ff00000, vcc_lo
	v_add_co_ci_u32_e64 v28, null, 0, v45, vcc_lo
	v_add_f64 v[17:18], v[17:18], v[19:20]
	v_add_f64 v[19:20], v[21:22], -v[42:43]
	v_add_f64 v[21:22], v[19:20], v[17:18]
	v_mul_f64 v[23:24], v[21:22], s[2:3]
	v_add_f64 v[19:20], v[21:22], -v[19:20]
	v_fma_f64 v[29:30], v[21:22], s[2:3], -v[23:24]
	v_add_f64 v[17:18], v[17:18], -v[19:20]
	v_fma_f64 v[19:20], v[21:22], s[4:5], v[29:30]
	v_fma_f64 v[19:20], v[17:18], s[2:3], v[19:20]
	v_add_f64 v[17:18], v[23:24], v[19:20]
	v_add_f64 v[21:22], v[17:18], -v[23:24]
	v_add_f64 v[19:20], v[19:20], -v[21:22]
.LBB1_11:
	s_andn2_saveexec_b32 s0, s0
	s_cbranch_execz .LBB1_13
; %bb.12:
	s_mov_b32 s2, 0x6dc9c883
	s_mov_b32 s3, 0x3fe45f30
	;; [unrolled: 1-line block ×3, first 2 shown]
	v_mul_f64 v[17:18], |v[1:2]|, s[2:3]
	s_mov_b32 s2, 0x54442d18
	s_mov_b32 s3, 0xbff921fb
	;; [unrolled: 1-line block ×3, first 2 shown]
	v_rndne_f64_e32 v[21:22], v[17:18]
	v_fma_f64 v[17:18], v[21:22], s[2:3], |v[1:2]|
	v_mul_f64 v[19:20], v[21:22], s[4:5]
	s_mov_b32 s2, 0x252049c0
	s_mov_b32 s3, 0xb97b839a
	v_fma_f64 v[28:29], v[21:22], s[4:5], v[17:18]
	v_add_f64 v[23:24], v[17:18], v[19:20]
	s_mov_b32 s5, 0x3c91a626
	v_add_f64 v[17:18], v[17:18], -v[23:24]
	v_add_f64 v[23:24], v[23:24], -v[28:29]
	v_add_f64 v[17:18], v[17:18], v[19:20]
	v_fma_f64 v[19:20], v[21:22], s[4:5], v[19:20]
	v_add_f64 v[17:18], v[23:24], v[17:18]
	v_add_f64 v[17:18], v[17:18], -v[19:20]
	v_fma_f64 v[19:20], v[21:22], s[2:3], v[17:18]
	v_add_f64 v[17:18], v[28:29], v[19:20]
	v_add_f64 v[23:24], v[17:18], -v[28:29]
	v_cvt_i32_f64_e32 v28, v[21:22]
	v_add_f64 v[19:20], v[19:20], -v[23:24]
.LBB1_13:
	s_or_b32 exec_lo, exec_lo, s0
	v_cmp_ngt_f64_e64 s0, 0x41d00000, |v[3:4]|
                                        ; implicit-def: $vgpr29
                                        ; implicit-def: $vgpr21_vgpr22
                                        ; implicit-def: $vgpr23_vgpr24
	s_and_saveexec_b32 s1, s0
	s_xor_b32 s0, exec_lo, s1
	s_cbranch_execz .LBB1_15
; %bb.14:
	v_ldexp_f64 v[21:22], |v[3:4]|, 0xffffff80
	v_cmp_le_f64_e64 vcc_lo, 0x7b000000, |v[3:4]|
	v_trig_preop_f64 v[23:24], |v[3:4]|, 0
	v_and_b32_e32 v29, 0x7fffffff, v4
	v_trig_preop_f64 v[39:40], |v[3:4]|, 2
	v_mov_b32_e32 v47, 0
	s_mov_b32 s2, 0x54442d18
	s_mov_b32 s3, 0x3ff921fb
	;; [unrolled: 1-line block ×4, first 2 shown]
	v_cndmask_b32_e32 v22, v29, v22, vcc_lo
	v_cndmask_b32_e32 v21, v3, v21, vcc_lo
	v_trig_preop_f64 v[29:30], |v[3:4]|, 1
	v_mul_f64 v[31:32], v[23:24], v[21:22]
	v_mul_f64 v[45:46], v[39:40], v[21:22]
	;; [unrolled: 1-line block ×3, first 2 shown]
	v_fma_f64 v[23:24], v[23:24], v[21:22], -v[31:32]
	v_fma_f64 v[29:30], v[29:30], v[21:22], -v[33:34]
	v_fma_f64 v[21:22], v[39:40], v[21:22], -v[45:46]
	v_add_f64 v[35:36], v[33:34], v[23:24]
	v_add_f64 v[37:38], v[35:36], -v[33:34]
	v_add_f64 v[43:44], v[31:32], v[35:36]
	v_add_f64 v[41:42], v[35:36], -v[37:38]
	v_add_f64 v[23:24], v[23:24], -v[37:38]
	v_ldexp_f64 v[37:38], v[43:44], -2
	v_add_f64 v[31:32], v[43:44], -v[31:32]
	v_add_f64 v[33:34], v[33:34], -v[41:42]
	v_add_f64 v[41:42], v[45:46], v[29:30]
	v_cmp_neq_f64_e64 vcc_lo, 0x7ff00000, |v[37:38]|
	v_add_f64 v[31:32], v[35:36], -v[31:32]
	v_add_f64 v[23:24], v[23:24], v[33:34]
	v_fract_f64_e32 v[33:34], v[37:38]
	v_add_f64 v[35:36], v[41:42], v[23:24]
	v_ldexp_f64 v[33:34], v[33:34], 2
	v_add_f64 v[37:38], v[31:32], v[35:36]
	v_cndmask_b32_e32 v34, 0, v34, vcc_lo
	v_cndmask_b32_e32 v33, 0, v33, vcc_lo
	v_add_f64 v[43:44], v[37:38], v[33:34]
	v_add_f64 v[31:32], v[37:38], -v[31:32]
	v_cmp_gt_f64_e32 vcc_lo, 0, v[43:44]
	v_add_f64 v[43:44], v[41:42], -v[45:46]
	v_cndmask_b32_e64 v48, 0, 0x40100000, vcc_lo
	v_add_f64 v[52:53], v[41:42], -v[43:44]
	v_add_f64 v[29:30], v[29:30], -v[43:44]
	v_add_f64 v[33:34], v[33:34], v[47:48]
	v_add_f64 v[48:49], v[35:36], -v[41:42]
	v_add_f64 v[43:44], v[45:46], -v[52:53]
	v_add_f64 v[50:51], v[37:38], v[33:34]
	;; [unrolled: 3-line block ×3, first 2 shown]
	v_cvt_i32_f64_e32 v50, v[50:51]
	v_add_f64 v[41:42], v[41:42], -v[54:55]
	v_cvt_f64_i32_e32 v[48:49], v50
	v_add_f64 v[23:24], v[23:24], v[41:42]
	v_add_f64 v[33:34], v[33:34], -v[48:49]
	v_add_f64 v[23:24], v[29:30], v[23:24]
	v_add_f64 v[29:30], v[35:36], -v[31:32]
	v_add_f64 v[39:40], v[37:38], v[33:34]
	v_add_f64 v[21:22], v[21:22], v[23:24]
	v_add_f64 v[23:24], v[39:40], -v[33:34]
	v_cmp_le_f64_e32 vcc_lo, 0.5, v[39:40]
	v_add_f64 v[21:22], v[29:30], v[21:22]
	v_add_f64 v[23:24], v[37:38], -v[23:24]
	v_cndmask_b32_e64 v48, 0, 0x3ff00000, vcc_lo
	v_add_co_ci_u32_e64 v29, null, 0, v50, vcc_lo
	v_add_f64 v[21:22], v[21:22], v[23:24]
	v_add_f64 v[23:24], v[39:40], -v[47:48]
	v_add_f64 v[30:31], v[23:24], v[21:22]
	v_mul_f64 v[32:33], v[30:31], s[2:3]
	v_add_f64 v[23:24], v[30:31], -v[23:24]
	v_fma_f64 v[34:35], v[30:31], s[2:3], -v[32:33]
	v_add_f64 v[21:22], v[21:22], -v[23:24]
	v_fma_f64 v[23:24], v[30:31], s[4:5], v[34:35]
	v_fma_f64 v[23:24], v[21:22], s[2:3], v[23:24]
	v_add_f64 v[21:22], v[32:33], v[23:24]
	v_add_f64 v[30:31], v[21:22], -v[32:33]
	v_add_f64 v[23:24], v[23:24], -v[30:31]
.LBB1_15:
	s_andn2_saveexec_b32 s0, s0
	s_cbranch_execz .LBB1_17
; %bb.16:
	s_mov_b32 s2, 0x6dc9c883
	s_mov_b32 s3, 0x3fe45f30
	;; [unrolled: 1-line block ×3, first 2 shown]
	v_mul_f64 v[21:22], |v[3:4]|, s[2:3]
	s_mov_b32 s2, 0x54442d18
	s_mov_b32 s3, 0xbff921fb
	;; [unrolled: 1-line block ×3, first 2 shown]
	v_rndne_f64_e32 v[29:30], v[21:22]
	v_fma_f64 v[21:22], v[29:30], s[2:3], |v[3:4]|
	v_mul_f64 v[23:24], v[29:30], s[4:5]
	s_mov_b32 s2, 0x252049c0
	s_mov_b32 s3, 0xb97b839a
	v_fma_f64 v[33:34], v[29:30], s[4:5], v[21:22]
	v_add_f64 v[31:32], v[21:22], v[23:24]
	s_mov_b32 s5, 0x3c91a626
	v_add_f64 v[21:22], v[21:22], -v[31:32]
	v_add_f64 v[31:32], v[31:32], -v[33:34]
	v_add_f64 v[21:22], v[21:22], v[23:24]
	v_fma_f64 v[23:24], v[29:30], s[4:5], v[23:24]
	v_add_f64 v[21:22], v[31:32], v[21:22]
	v_add_f64 v[21:22], v[21:22], -v[23:24]
	v_fma_f64 v[23:24], v[29:30], s[2:3], v[21:22]
	v_cvt_i32_f64_e32 v29, v[29:30]
	v_add_f64 v[21:22], v[33:34], v[23:24]
	v_add_f64 v[31:32], v[21:22], -v[33:34]
	v_add_f64 v[23:24], v[23:24], -v[31:32]
.LBB1_17:
	s_or_b32 exec_lo, exec_lo, s0
	v_mul_f64 v[30:31], v[17:18], v[17:18]
	v_mul_f64 v[32:33], v[13:14], v[13:14]
	s_mov_b32 s4, 0xb42fdfa7
	s_mov_b32 s6, 0xf9a43bb8
	;; [unrolled: 1-line block ×20, first 2 shown]
	v_fma_f64 v[34:35], v[30:31], s[6:7], s[4:5]
	v_mul_f64 v[36:37], v[30:31], 0.5
	v_fma_f64 v[38:39], v[32:33], s[6:7], s[4:5]
	v_fma_f64 v[40:41], v[30:31], s[2:3], s[0:1]
	v_mul_f64 v[42:43], v[32:33], 0.5
	v_fma_f64 v[48:49], v[32:33], s[2:3], s[0:1]
	v_mul_f64 v[52:53], v[19:20], 0.5
	v_mul_f64 v[54:55], v[15:16], 0.5
	v_mul_f64 v[58:59], v[17:18], -v[30:31]
	s_mov_b32 s26, 0x55555555
	s_mov_b32 s27, 0xbfc55555
	;; [unrolled: 1-line block ×4, first 2 shown]
	v_mul_f64 v[60:61], v[23:24], 0.5
	v_fma_f64 v[34:35], v[30:31], v[34:35], s[18:19]
	v_add_f64 v[44:45], -v[36:37], 1.0
	v_fma_f64 v[38:39], v[32:33], v[38:39], s[18:19]
	v_fma_f64 v[40:41], v[30:31], v[40:41], s[16:17]
	v_add_f64 v[46:47], -v[42:43], 1.0
	v_fma_f64 v[48:49], v[32:33], v[48:49], s[16:17]
	;; [unrolled: 3-line block ×4, first 2 shown]
	v_fma_f64 v[34:35], v[30:31], v[34:35], s[30:31]
	v_add_f64 v[36:37], v[50:51], -v[36:37]
	v_mul_f64 v[50:51], v[13:14], -v[32:33]
	v_fma_f64 v[38:39], v[32:33], v[38:39], s[30:31]
	v_fma_f64 v[40:41], v[30:31], v[40:41], s[24:25]
	v_add_f64 v[42:43], v[56:57], -v[42:43]
	v_mul_f64 v[56:57], v[9:10], v[9:10]
	v_fma_f64 v[48:49], v[32:33], v[48:49], s[24:25]
	v_fma_f64 v[34:35], v[58:59], v[34:35], v[52:53]
	v_mul_f64 v[52:53], v[21:22], v[21:22]
	v_fma_f64 v[36:37], v[17:18], -v[19:20], v[36:37]
	v_fma_f64 v[38:39], v[50:51], v[38:39], v[54:55]
	v_mul_f64 v[54:55], v[30:31], v[30:31]
	v_fma_f64 v[40:41], v[30:31], v[40:41], s[28:29]
	v_fma_f64 v[42:43], v[13:14], -v[15:16], v[42:43]
	v_fma_f64 v[48:49], v[32:33], v[48:49], s[28:29]
	v_fma_f64 v[19:20], v[30:31], v[34:35], -v[19:20]
	v_mul_f64 v[30:31], v[56:57], 0.5
	v_mul_f64 v[34:35], v[52:53], 0.5
	v_fma_f64 v[15:16], v[32:33], v[38:39], -v[15:16]
	v_mul_f64 v[62:63], v[21:22], -v[52:53]
	v_fma_f64 v[36:37], v[54:55], v[40:41], v[36:37]
	v_fma_f64 v[40:41], v[56:57], s[6:7], s[4:5]
	v_mul_f64 v[54:55], v[32:33], v[32:33]
	v_fma_f64 v[19:20], v[58:59], s[26:27], v[19:20]
	v_add_f64 v[32:33], -v[30:31], 1.0
	v_add_f64 v[38:39], -v[34:35], 1.0
	v_fma_f64 v[15:16], v[50:51], s[26:27], v[15:16]
	v_add_f64 v[36:37], v[44:45], v[36:37]
	v_fma_f64 v[40:41], v[56:57], v[40:41], s[18:19]
	v_fma_f64 v[42:43], v[54:55], v[48:49], v[42:43]
	v_add_f64 v[17:18], v[17:18], -v[19:20]
	v_add_f64 v[48:49], -v[32:33], 1.0
	v_add_f64 v[54:55], -v[38:39], 1.0
	v_add_f64 v[13:14], v[13:14], -v[15:16]
	v_fma_f64 v[40:41], v[56:57], v[40:41], s[22:23]
	v_add_f64 v[19:20], v[46:47], v[42:43]
	v_add_f64 v[30:31], v[48:49], -v[30:31]
	v_mul_f64 v[48:49], v[11:12], 0.5
	v_add_f64 v[34:35], v[54:55], -v[34:35]
	v_mul_f64 v[54:55], v[9:10], -v[56:57]
	v_fma_f64 v[40:41], v[56:57], v[40:41], s[30:31]
	v_fma_f64 v[30:31], v[9:10], -v[11:12], v[30:31]
	v_fma_f64 v[34:35], v[21:22], -v[23:24], v[34:35]
	v_fma_f64 v[40:41], v[54:55], v[40:41], v[48:49]
	v_fma_f64 v[48:49], v[52:53], s[6:7], s[4:5]
	v_cmp_class_f64_e64 s4, v[5:6], 0x1f8
	v_cmp_class_f64_e64 s6, v[3:4], 0x1f8
	v_fma_f64 v[11:12], v[56:57], v[40:41], -v[11:12]
	v_fma_f64 v[48:49], v[52:53], v[48:49], s[18:19]
	v_fma_f64 v[40:41], v[56:57], s[2:3], s[0:1]
	;; [unrolled: 1-line block ×5, first 2 shown]
	v_add_f64 v[9:10], v[9:10], -v[11:12]
	v_fma_f64 v[48:49], v[52:53], v[48:49], s[30:31]
	v_fma_f64 v[40:41], v[56:57], v[40:41], s[20:21]
	;; [unrolled: 1-line block ×4, first 2 shown]
	v_fma_f64 v[23:24], v[52:53], v[48:49], -v[23:24]
	v_fma_f64 v[48:49], v[52:53], s[2:3], s[0:1]
	v_fma_f64 v[40:41], v[56:57], v[40:41], s[28:29]
	v_mul_f64 v[56:57], v[56:57], v[56:57]
	v_cmp_class_f64_e64 s2, v[7:8], 0x1f8
	v_cmp_class_f64_e64 s0, v[1:2], 0x1f8
	v_fma_f64 v[23:24], v[62:63], s[26:27], v[23:24]
	v_fma_f64 v[48:49], v[52:53], v[48:49], s[16:17]
	v_fma_f64 v[30:31], v[56:57], v[40:41], v[30:31]
	v_add_f64 v[21:22], v[21:22], -v[23:24]
	v_fma_f64 v[48:49], v[52:53], v[48:49], s[20:21]
	v_and_b32_e32 v23, 1, v28
	v_add_f64 v[15:16], v[32:33], v[30:31]
	v_lshlrev_b32_e32 v24, 30, v28
	v_and_b32_e32 v28, 1, v27
	v_lshlrev_b32_e32 v27, 30, v27
	v_and_b32_e32 v30, 1, v26
	;; [unrolled: 2-line block ×3, first 2 shown]
	v_lshlrev_b32_e32 v29, 30, v29
	v_xor_b32_e32 v27, v27, v8
	v_cmp_eq_u32_e64 s1, 0, v28
	v_cmp_eq_u32_e64 s3, 0, v30
	v_xor_b32_e32 v1, v26, v6
	v_xor_b32_e32 v24, v24, v2
	v_cmp_eq_u32_e32 vcc_lo, 0, v23
	v_cmp_eq_u32_e64 s5, 0, v31
	v_xor_b32_e32 v3, v29, v4
	v_and_b32_e32 v5, 0x80000000, v27
	v_and_b32_e32 v6, 0x80000000, v1
	v_cndmask_b32_e64 v7, v20, v14, s1
	v_and_b32_e32 v4, 0x80000000, v24
	v_fma_f64 v[48:49], v[52:53], v[48:49], s[24:25]
	v_cndmask_b32_e32 v1, v37, v18, vcc_lo
	v_cndmask_b32_e64 v10, v16, v10, s3
	v_cndmask_b32_e64 v8, v15, v9, s3
	v_and_b32_e32 v3, 0x80000000, v3
	v_cndmask_b32_e64 v2, v19, v13, s1
	v_cndmask_b32_e32 v17, v36, v17, vcc_lo
	v_xor_b32_e32 v6, v10, v6
	v_xor_b32_e32 v4, v1, v4
	v_cndmask_b32_e64 v1, 0, v17, s0
	v_cndmask_b32_e64 v6, 0x7ff80000, v6, s4
	v_fma_f64 v[48:49], v[52:53], v[48:49], s[28:29]
	v_mul_f64 v[52:53], v[52:53], v[52:53]
	v_fma_f64 v[34:35], v[52:53], v[48:49], v[34:35]
	v_add_f64 v[11:12], v[38:39], v[34:35]
	v_cndmask_b32_e64 v9, v11, v21, s5
	v_cndmask_b32_e64 v11, v12, v22, s5
	v_xor_b32_e32 v12, v7, v5
	v_cndmask_b32_e64 v7, 0, v2, s2
	v_cndmask_b32_e64 v5, 0, v8, s4
	;; [unrolled: 1-line block ×3, first 2 shown]
	v_xor_b32_e32 v10, v11, v3
	v_cndmask_b32_e64 v8, 0x7ff80000, v12, s2
	v_cndmask_b32_e64 v3, 0, v9, s6
	s_add_u32 s2, s8, s14
	s_addc_u32 s3, s9, s15
	v_cndmask_b32_e64 v4, 0x7ff80000, v10, s6
	s_mov_b32 s0, 0
	global_store_dwordx4 v25, v[5:8], s[2:3]
	global_store_dwordx4 v25, v[1:4], s[2:3] offset:16
.LBB1_18:
	s_and_b32 vcc_lo, exec_lo, s0
	s_cbranch_vccz .LBB1_51
; %bb.19:
	v_mov_b32_e32 v12, 0
	v_mov_b32_e32 v16, 0
	v_cmp_gt_i32_e32 vcc_lo, s33, v0
	v_mov_b32_e32 v13, 0
	v_or_b32_e32 v1, s12, v0
	v_or_b32_e32 v18, 0x100, v0
	v_mov_b32_e32 v17, 0
	v_mov_b32_e32 v4, v0
	s_and_saveexec_b32 s1, vcc_lo
	s_cbranch_execz .LBB1_21
; %bb.20:
	v_mov_b32_e32 v2, 0
	v_or_b32_e32 v4, 0x100, v0
	v_lshlrev_b64 v[2:3], 3, v[1:2]
	v_add_co_u32 v2, s0, s10, v2
	v_add_co_ci_u32_e64 v3, null, s11, v3, s0
	global_load_dwordx2 v[16:17], v[2:3], off
.LBB1_21:
	s_or_b32 exec_lo, exec_lo, s1
	s_mov_b32 s1, exec_lo
	v_cmpx_gt_i32_e64 s33, v4
	s_cbranch_execz .LBB1_23
; %bb.22:
	v_add_nc_u32_e32 v2, s12, v4
	v_mov_b32_e32 v3, 0
	v_add_nc_u32_e32 v4, 0x100, v4
	v_lshlrev_b64 v[2:3], 3, v[2:3]
	v_add_co_u32 v2, s0, s10, v2
	v_add_co_ci_u32_e64 v3, null, s11, v3, s0
	global_load_dwordx2 v[12:13], v[2:3], off
.LBB1_23:
	s_or_b32 exec_lo, exec_lo, s1
	v_mov_b32_e32 v2, 0
	v_mov_b32_e32 v6, 0
	;; [unrolled: 1-line block ×4, first 2 shown]
	s_mov_b32 s1, exec_lo
	v_cmpx_gt_i32_e64 s33, v4
	s_cbranch_execz .LBB1_25
; %bb.24:
	v_add_nc_u32_e32 v5, s12, v4
	v_mov_b32_e32 v6, 0
	v_add_nc_u32_e32 v4, 0x100, v4
	v_lshlrev_b64 v[5:6], 3, v[5:6]
	v_add_co_u32 v5, s0, s10, v5
	v_add_co_ci_u32_e64 v6, null, s11, v6, s0
	global_load_dwordx2 v[6:7], v[5:6], off
.LBB1_25:
	s_or_b32 exec_lo, exec_lo, s1
	s_mov_b32 s1, exec_lo
	v_cmpx_gt_i32_e64 s33, v4
	s_cbranch_execz .LBB1_27
; %bb.26:
	v_add_nc_u32_e32 v2, s12, v4
	v_mov_b32_e32 v3, 0
	v_lshlrev_b64 v[2:3], 3, v[2:3]
	v_add_co_u32 v2, s0, s10, v2
	v_add_co_ci_u32_e64 v3, null, s11, v3, s0
	global_load_dwordx2 v[2:3], v[2:3], off
.LBB1_27:
	s_or_b32 exec_lo, exec_lo, s1
	v_mov_b32_e32 v4, 0
	v_mov_b32_e32 v5, v4
	;; [unrolled: 1-line block ×8, first 2 shown]
	s_and_saveexec_b32 s2, vcc_lo
	s_cbranch_execz .LBB1_33
; %bb.28:
	s_mov_b32 s1, exec_lo
                                        ; implicit-def: $vgpr10
                                        ; implicit-def: $vgpr4_vgpr5
                                        ; implicit-def: $vgpr8_vgpr9
	s_waitcnt vmcnt(0)
	v_cmpx_ngt_f64_e64 0x41d00000, |v[16:17]|
	s_xor_b32 s1, exec_lo, s1
	s_cbranch_execz .LBB1_30
; %bb.29:
	v_ldexp_f64 v[4:5], |v[16:17]|, 0xffffff80
	v_cmp_le_f64_e64 s0, 0x7b000000, |v[16:17]|
	v_trig_preop_f64 v[8:9], |v[16:17]|, 0
	v_and_b32_e32 v10, 0x7fffffff, v17
	v_trig_preop_f64 v[25:26], |v[16:17]|, 2
	v_mov_b32_e32 v33, 0
	s_mov_b32 s4, 0x54442d18
	s_mov_b32 s5, 0x3ff921fb
	;; [unrolled: 1-line block ×4, first 2 shown]
	v_cndmask_b32_e64 v5, v10, v5, s0
	v_cndmask_b32_e64 v4, v16, v4, s0
	v_trig_preop_f64 v[10:11], |v[16:17]|, 1
	v_mul_f64 v[14:15], v[8:9], v[4:5]
	v_mul_f64 v[31:32], v[25:26], v[4:5]
	;; [unrolled: 1-line block ×3, first 2 shown]
	v_fma_f64 v[8:9], v[8:9], v[4:5], -v[14:15]
	v_fma_f64 v[10:11], v[10:11], v[4:5], -v[19:20]
	;; [unrolled: 1-line block ×3, first 2 shown]
	v_add_f64 v[21:22], v[19:20], v[8:9]
	v_add_f64 v[23:24], v[21:22], -v[19:20]
	v_add_f64 v[29:30], v[14:15], v[21:22]
	v_add_f64 v[27:28], v[21:22], -v[23:24]
	v_add_f64 v[8:9], v[8:9], -v[23:24]
	v_ldexp_f64 v[23:24], v[29:30], -2
	v_add_f64 v[14:15], v[29:30], -v[14:15]
	v_add_f64 v[19:20], v[19:20], -v[27:28]
	v_add_f64 v[27:28], v[31:32], v[10:11]
	v_cmp_neq_f64_e64 s0, 0x7ff00000, |v[23:24]|
	v_add_f64 v[14:15], v[21:22], -v[14:15]
	v_add_f64 v[8:9], v[8:9], v[19:20]
	v_fract_f64_e32 v[19:20], v[23:24]
	v_add_f64 v[21:22], v[27:28], v[8:9]
	v_ldexp_f64 v[19:20], v[19:20], 2
	v_add_f64 v[23:24], v[14:15], v[21:22]
	v_cndmask_b32_e64 v20, 0, v20, s0
	v_cndmask_b32_e64 v19, 0, v19, s0
	v_add_f64 v[29:30], v[23:24], v[19:20]
	v_add_f64 v[14:15], v[23:24], -v[14:15]
	v_cmp_gt_f64_e64 s0, 0, v[29:30]
	v_add_f64 v[29:30], v[27:28], -v[31:32]
	v_cndmask_b32_e64 v34, 0, 0x40100000, s0
	v_add_f64 v[38:39], v[27:28], -v[29:30]
	v_add_f64 v[10:11], v[10:11], -v[29:30]
	v_add_f64 v[19:20], v[19:20], v[33:34]
	v_add_f64 v[34:35], v[21:22], -v[27:28]
	v_add_f64 v[29:30], v[31:32], -v[38:39]
	v_add_f64 v[36:37], v[23:24], v[19:20]
	;; [unrolled: 3-line block ×3, first 2 shown]
	v_cvt_i32_f64_e32 v36, v[36:37]
	v_add_f64 v[27:28], v[27:28], -v[40:41]
	v_cvt_f64_i32_e32 v[34:35], v36
	v_add_f64 v[8:9], v[8:9], v[27:28]
	v_add_f64 v[19:20], v[19:20], -v[34:35]
	v_add_f64 v[8:9], v[10:11], v[8:9]
	v_add_f64 v[10:11], v[21:22], -v[14:15]
	v_add_f64 v[25:26], v[23:24], v[19:20]
	v_add_f64 v[4:5], v[4:5], v[8:9]
	v_add_f64 v[8:9], v[25:26], -v[19:20]
	v_cmp_le_f64_e64 s0, 0.5, v[25:26]
	v_add_f64 v[4:5], v[10:11], v[4:5]
	v_add_f64 v[8:9], v[23:24], -v[8:9]
	v_cndmask_b32_e64 v34, 0, 0x3ff00000, s0
	v_add_co_ci_u32_e64 v10, null, 0, v36, s0
	v_add_f64 v[4:5], v[4:5], v[8:9]
	v_add_f64 v[8:9], v[25:26], -v[33:34]
	v_add_f64 v[14:15], v[8:9], v[4:5]
	v_mul_f64 v[19:20], v[14:15], s[4:5]
	v_add_f64 v[8:9], v[14:15], -v[8:9]
	v_fma_f64 v[21:22], v[14:15], s[4:5], -v[19:20]
	v_add_f64 v[4:5], v[4:5], -v[8:9]
	v_fma_f64 v[8:9], v[14:15], s[6:7], v[21:22]
	v_fma_f64 v[8:9], v[4:5], s[4:5], v[8:9]
	v_add_f64 v[4:5], v[19:20], v[8:9]
	v_add_f64 v[14:15], v[4:5], -v[19:20]
	v_add_f64 v[8:9], v[8:9], -v[14:15]
.LBB1_30:
	s_andn2_saveexec_b32 s0, s1
	s_cbranch_execz .LBB1_32
; %bb.31:
	s_mov_b32 s4, 0x6dc9c883
	s_mov_b32 s5, 0x3fe45f30
	;; [unrolled: 1-line block ×3, first 2 shown]
	v_mul_f64 v[4:5], |v[16:17]|, s[4:5]
	s_mov_b32 s4, 0x54442d18
	s_mov_b32 s5, 0xbff921fb
	;; [unrolled: 1-line block ×3, first 2 shown]
	v_rndne_f64_e32 v[10:11], v[4:5]
	v_fma_f64 v[4:5], v[10:11], s[4:5], |v[16:17]|
	v_mul_f64 v[8:9], v[10:11], s[6:7]
	s_mov_b32 s4, 0x252049c0
	s_mov_b32 s5, 0xb97b839a
	v_fma_f64 v[19:20], v[10:11], s[6:7], v[4:5]
	v_add_f64 v[14:15], v[4:5], v[8:9]
	s_mov_b32 s7, 0x3c91a626
	v_add_f64 v[4:5], v[4:5], -v[14:15]
	v_add_f64 v[14:15], v[14:15], -v[19:20]
	v_add_f64 v[4:5], v[4:5], v[8:9]
	v_fma_f64 v[8:9], v[10:11], s[6:7], v[8:9]
	v_add_f64 v[4:5], v[14:15], v[4:5]
	v_add_f64 v[4:5], v[4:5], -v[8:9]
	v_fma_f64 v[8:9], v[10:11], s[4:5], v[4:5]
	v_cvt_i32_f64_e32 v10, v[10:11]
	v_add_f64 v[4:5], v[19:20], v[8:9]
	v_add_f64 v[14:15], v[4:5], -v[19:20]
	v_add_f64 v[8:9], v[8:9], -v[14:15]
.LBB1_32:
	s_or_b32 exec_lo, exec_lo, s0
	v_mul_f64 v[14:15], v[4:5], v[4:5]
	s_mov_b32 s0, 0xb42fdfa7
	s_mov_b32 s4, 0xf9a43bb8
	;; [unrolled: 1-line block ×6, first 2 shown]
	v_mul_f64 v[27:28], v[8:9], 0.5
	v_fma_f64 v[19:20], v[14:15], s[4:5], s[0:1]
	s_mov_b32 s0, 0x9037ab78
	s_mov_b32 s4, 0x46cc5e42
	;; [unrolled: 1-line block ×4, first 2 shown]
	v_mul_f64 v[23:24], v[14:15], 0.5
	v_fma_f64 v[21:22], v[14:15], s[4:5], s[0:1]
	s_mov_b32 s0, 0xa17f65f6
	s_mov_b32 s4, 0x19e83e5c
	;; [unrolled: 1-line block ×4, first 2 shown]
	v_mul_f64 v[29:30], v[4:5], -v[14:15]
	v_fma_f64 v[19:20], v[14:15], v[19:20], s[6:7]
	v_add_f64 v[25:26], -v[23:24], 1.0
	v_fma_f64 v[21:22], v[14:15], v[21:22], s[0:1]
	s_mov_b32 s0, 0x19f4ec90
	s_mov_b32 s1, 0x3efa01a0
	v_fma_f64 v[19:20], v[14:15], v[19:20], s[4:5]
	s_mov_b32 s4, 0x11110bb3
	s_mov_b32 s5, 0x3f811111
	v_add_f64 v[31:32], -v[25:26], 1.0
	v_fma_f64 v[21:22], v[14:15], v[21:22], s[0:1]
	s_mov_b32 s0, 0x16c16967
	s_mov_b32 s1, 0xbf56c16c
	v_fma_f64 v[19:20], v[14:15], v[19:20], s[4:5]
	v_add_f64 v[23:24], v[31:32], -v[23:24]
	v_fma_f64 v[21:22], v[14:15], v[21:22], s[0:1]
	s_mov_b32 s1, 0x3fa55555
	s_mov_b32 s0, 0x55555555
	v_fma_f64 v[19:20], v[29:30], v[19:20], v[27:28]
	v_mul_f64 v[27:28], v[14:15], v[14:15]
	v_fma_f64 v[23:24], v[4:5], -v[8:9], v[23:24]
	v_fma_f64 v[21:22], v[14:15], v[21:22], s[0:1]
	s_mov_b32 s1, 0xbfc55555
	v_fma_f64 v[8:9], v[14:15], v[19:20], -v[8:9]
	v_fma_f64 v[14:15], v[27:28], v[21:22], v[23:24]
	v_fma_f64 v[8:9], v[29:30], s[0:1], v[8:9]
	v_cmp_class_f64_e64 s1, v[16:17], 0x1f8
	v_add_f64 v[14:15], v[25:26], v[14:15]
	v_add_f64 v[4:5], v[4:5], -v[8:9]
	v_and_b32_e32 v8, 1, v10
	v_cmp_eq_u32_e64 s0, 0, v8
	v_lshlrev_b32_e32 v8, 30, v10
	v_xor_b32_e32 v8, v8, v17
	v_and_b32_e32 v8, 0x80000000, v8
	v_cndmask_b32_e64 v5, v15, v5, s0
	v_cndmask_b32_e64 v4, v14, v4, s0
	v_mov_b32_e32 v14, 0
	v_xor_b32_e32 v5, v5, v8
	v_cndmask_b32_e64 v4, 0, v4, s1
	v_mov_b32_e32 v15, v14
	v_mov_b32_e32 v10, v14
	;; [unrolled: 1-line block ×4, first 2 shown]
	v_cndmask_b32_e64 v5, 0x7ff80000, v5, s1
	v_mov_b32_e32 v9, v14
.LBB1_33:
	s_or_b32 exec_lo, exec_lo, s2
	s_mov_b32 s1, exec_lo
	v_cmpx_gt_i32_e64 s33, v18
	s_cbranch_execz .LBB1_39
; %bb.34:
	s_mov_b32 s2, exec_lo
                                        ; implicit-def: $vgpr19
                                        ; implicit-def: $vgpr14_vgpr15
                                        ; implicit-def: $vgpr16_vgpr17
	s_waitcnt vmcnt(0)
	v_cmpx_ngt_f64_e64 0x41d00000, |v[12:13]|
	s_xor_b32 s2, exec_lo, s2
	s_cbranch_execz .LBB1_36
; %bb.35:
	v_ldexp_f64 v[14:15], |v[12:13]|, 0xffffff80
	v_cmp_le_f64_e64 s0, 0x7b000000, |v[12:13]|
	v_trig_preop_f64 v[16:17], |v[12:13]|, 0
	v_and_b32_e32 v19, 0x7fffffff, v13
	v_trig_preop_f64 v[29:30], |v[12:13]|, 2
	v_mov_b32_e32 v37, 0
	s_mov_b32 s4, 0x54442d18
	s_mov_b32 s5, 0x3ff921fb
	;; [unrolled: 1-line block ×4, first 2 shown]
	v_cndmask_b32_e64 v15, v19, v15, s0
	v_cndmask_b32_e64 v14, v12, v14, s0
	v_trig_preop_f64 v[19:20], |v[12:13]|, 1
	v_mul_f64 v[21:22], v[16:17], v[14:15]
	v_mul_f64 v[35:36], v[29:30], v[14:15]
	;; [unrolled: 1-line block ×3, first 2 shown]
	v_fma_f64 v[16:17], v[16:17], v[14:15], -v[21:22]
	v_fma_f64 v[19:20], v[19:20], v[14:15], -v[23:24]
	v_fma_f64 v[14:15], v[29:30], v[14:15], -v[35:36]
	v_add_f64 v[25:26], v[23:24], v[16:17]
	v_add_f64 v[27:28], v[25:26], -v[23:24]
	v_add_f64 v[33:34], v[21:22], v[25:26]
	v_add_f64 v[31:32], v[25:26], -v[27:28]
	v_add_f64 v[16:17], v[16:17], -v[27:28]
	v_ldexp_f64 v[27:28], v[33:34], -2
	v_add_f64 v[21:22], v[33:34], -v[21:22]
	v_add_f64 v[23:24], v[23:24], -v[31:32]
	v_add_f64 v[31:32], v[35:36], v[19:20]
	v_cmp_neq_f64_e64 s0, 0x7ff00000, |v[27:28]|
	v_add_f64 v[21:22], v[25:26], -v[21:22]
	v_add_f64 v[16:17], v[16:17], v[23:24]
	v_fract_f64_e32 v[23:24], v[27:28]
	v_add_f64 v[25:26], v[31:32], v[16:17]
	v_ldexp_f64 v[23:24], v[23:24], 2
	v_add_f64 v[27:28], v[21:22], v[25:26]
	v_cndmask_b32_e64 v24, 0, v24, s0
	v_cndmask_b32_e64 v23, 0, v23, s0
	v_add_f64 v[33:34], v[27:28], v[23:24]
	v_add_f64 v[21:22], v[27:28], -v[21:22]
	v_cmp_gt_f64_e64 s0, 0, v[33:34]
	v_add_f64 v[33:34], v[31:32], -v[35:36]
	v_cndmask_b32_e64 v38, 0, 0x40100000, s0
	v_add_f64 v[42:43], v[31:32], -v[33:34]
	v_add_f64 v[19:20], v[19:20], -v[33:34]
	v_add_f64 v[23:24], v[23:24], v[37:38]
	v_add_f64 v[38:39], v[25:26], -v[31:32]
	v_add_f64 v[33:34], v[35:36], -v[42:43]
	v_add_f64 v[40:41], v[27:28], v[23:24]
	;; [unrolled: 3-line block ×3, first 2 shown]
	v_cvt_i32_f64_e32 v40, v[40:41]
	v_add_f64 v[31:32], v[31:32], -v[44:45]
	v_cvt_f64_i32_e32 v[38:39], v40
	v_add_f64 v[16:17], v[16:17], v[31:32]
	v_add_f64 v[23:24], v[23:24], -v[38:39]
	v_add_f64 v[16:17], v[19:20], v[16:17]
	v_add_f64 v[19:20], v[25:26], -v[21:22]
	v_add_f64 v[29:30], v[27:28], v[23:24]
	v_add_f64 v[14:15], v[14:15], v[16:17]
	v_add_f64 v[16:17], v[29:30], -v[23:24]
	v_cmp_le_f64_e64 s0, 0.5, v[29:30]
	v_add_f64 v[14:15], v[19:20], v[14:15]
	v_add_f64 v[16:17], v[27:28], -v[16:17]
	v_cndmask_b32_e64 v38, 0, 0x3ff00000, s0
	v_add_co_ci_u32_e64 v19, null, 0, v40, s0
	v_add_f64 v[14:15], v[14:15], v[16:17]
	v_add_f64 v[16:17], v[29:30], -v[37:38]
	v_add_f64 v[20:21], v[16:17], v[14:15]
	v_mul_f64 v[22:23], v[20:21], s[4:5]
	v_add_f64 v[16:17], v[20:21], -v[16:17]
	v_fma_f64 v[24:25], v[20:21], s[4:5], -v[22:23]
	v_add_f64 v[14:15], v[14:15], -v[16:17]
	v_fma_f64 v[16:17], v[20:21], s[6:7], v[24:25]
	v_fma_f64 v[16:17], v[14:15], s[4:5], v[16:17]
	v_add_f64 v[14:15], v[22:23], v[16:17]
	v_add_f64 v[20:21], v[14:15], -v[22:23]
	v_add_f64 v[16:17], v[16:17], -v[20:21]
.LBB1_36:
	s_andn2_saveexec_b32 s0, s2
	s_cbranch_execz .LBB1_38
; %bb.37:
	s_mov_b32 s2, 0x6dc9c883
	s_mov_b32 s3, 0x3fe45f30
	;; [unrolled: 1-line block ×3, first 2 shown]
	v_mul_f64 v[14:15], |v[12:13]|, s[2:3]
	s_mov_b32 s2, 0x54442d18
	s_mov_b32 s3, 0xbff921fb
	;; [unrolled: 1-line block ×3, first 2 shown]
	v_rndne_f64_e32 v[19:20], v[14:15]
	v_fma_f64 v[14:15], v[19:20], s[2:3], |v[12:13]|
	v_mul_f64 v[16:17], v[19:20], s[4:5]
	s_mov_b32 s2, 0x252049c0
	s_mov_b32 s3, 0xb97b839a
	v_fma_f64 v[23:24], v[19:20], s[4:5], v[14:15]
	v_add_f64 v[21:22], v[14:15], v[16:17]
	s_mov_b32 s5, 0x3c91a626
	v_add_f64 v[14:15], v[14:15], -v[21:22]
	v_add_f64 v[21:22], v[21:22], -v[23:24]
	v_add_f64 v[14:15], v[14:15], v[16:17]
	v_fma_f64 v[16:17], v[19:20], s[4:5], v[16:17]
	v_add_f64 v[14:15], v[21:22], v[14:15]
	v_add_f64 v[14:15], v[14:15], -v[16:17]
	v_fma_f64 v[16:17], v[19:20], s[2:3], v[14:15]
	v_cvt_i32_f64_e32 v19, v[19:20]
	v_add_f64 v[14:15], v[23:24], v[16:17]
	v_add_f64 v[21:22], v[14:15], -v[23:24]
	v_add_f64 v[16:17], v[16:17], -v[21:22]
.LBB1_38:
	s_or_b32 exec_lo, exec_lo, s0
	v_mul_f64 v[20:21], v[14:15], v[14:15]
	s_mov_b32 s2, 0xb42fdfa7
	s_mov_b32 s4, 0xf9a43bb8
	;; [unrolled: 1-line block ×6, first 2 shown]
	v_mul_f64 v[30:31], v[16:17], 0.5
	v_fma_f64 v[22:23], v[20:21], s[4:5], s[2:3]
	s_mov_b32 s2, 0x9037ab78
	s_mov_b32 s4, 0x46cc5e42
	s_mov_b32 s3, 0x3e21eeb6
	s_mov_b32 s5, 0xbda907db
	v_mul_f64 v[26:27], v[20:21], 0.5
	v_fma_f64 v[24:25], v[20:21], s[4:5], s[2:3]
	s_mov_b32 s2, 0xa17f65f6
	s_mov_b32 s4, 0x19e83e5c
	;; [unrolled: 1-line block ×4, first 2 shown]
	v_mul_f64 v[32:33], v[14:15], -v[20:21]
	v_fma_f64 v[22:23], v[20:21], v[22:23], s[6:7]
	v_add_f64 v[28:29], -v[26:27], 1.0
	v_fma_f64 v[24:25], v[20:21], v[24:25], s[2:3]
	s_mov_b32 s2, 0x19f4ec90
	s_mov_b32 s3, 0x3efa01a0
	v_fma_f64 v[22:23], v[20:21], v[22:23], s[4:5]
	s_mov_b32 s4, 0x11110bb3
	s_mov_b32 s5, 0x3f811111
	v_add_f64 v[34:35], -v[28:29], 1.0
	v_fma_f64 v[24:25], v[20:21], v[24:25], s[2:3]
	s_mov_b32 s2, 0x16c16967
	s_mov_b32 s3, 0xbf56c16c
	v_fma_f64 v[22:23], v[20:21], v[22:23], s[4:5]
	v_add_f64 v[26:27], v[34:35], -v[26:27]
	v_fma_f64 v[24:25], v[20:21], v[24:25], s[2:3]
	s_mov_b32 s3, 0x3fa55555
	s_mov_b32 s2, 0x55555555
	v_fma_f64 v[22:23], v[32:33], v[22:23], v[30:31]
	v_mul_f64 v[30:31], v[20:21], v[20:21]
	v_fma_f64 v[26:27], v[14:15], -v[16:17], v[26:27]
	v_fma_f64 v[24:25], v[20:21], v[24:25], s[2:3]
	s_mov_b32 s3, 0xbfc55555
	v_fma_f64 v[16:17], v[20:21], v[22:23], -v[16:17]
	v_fma_f64 v[20:21], v[30:31], v[24:25], v[26:27]
	v_fma_f64 v[16:17], v[32:33], s[2:3], v[16:17]
	v_add_f64 v[20:21], v[28:29], v[20:21]
	v_add_f64 v[14:15], v[14:15], -v[16:17]
	v_and_b32_e32 v17, 1, v19
	v_lshlrev_b32_e32 v16, 30, v19
	v_cmp_eq_u32_e64 s0, 0, v17
	v_xor_b32_e32 v16, v16, v13
	v_and_b32_e32 v16, 0x80000000, v16
	v_cndmask_b32_e64 v14, v20, v14, s0
	v_cndmask_b32_e64 v15, v21, v15, s0
	v_cmp_class_f64_e64 s0, v[12:13], 0x1f8
	v_xor_b32_e32 v15, v15, v16
	v_cndmask_b32_e64 v15, 0x7ff80000, v15, s0
	v_cndmask_b32_e64 v14, 0, v14, s0
.LBB1_39:
	s_or_b32 exec_lo, exec_lo, s1
	s_waitcnt vmcnt(0)
	v_or_b32_e32 v12, 0x200, v0
	s_mov_b32 s1, exec_lo
	v_cmpx_gt_i32_e64 s33, v12
	s_cbranch_execz .LBB1_45
; %bb.40:
	s_mov_b32 s2, exec_lo
                                        ; implicit-def: $vgpr16
                                        ; implicit-def: $vgpr10_vgpr11
                                        ; implicit-def: $vgpr12_vgpr13
	v_cmpx_ngt_f64_e64 0x41d00000, |v[6:7]|
	s_xor_b32 s2, exec_lo, s2
	s_cbranch_execz .LBB1_42
; %bb.41:
	v_ldexp_f64 v[10:11], |v[6:7]|, 0xffffff80
	v_cmp_le_f64_e64 s0, 0x7b000000, |v[6:7]|
	v_trig_preop_f64 v[12:13], |v[6:7]|, 0
	v_and_b32_e32 v16, 0x7fffffff, v7
	v_trig_preop_f64 v[27:28], |v[6:7]|, 2
	v_mov_b32_e32 v35, 0
	s_mov_b32 s4, 0x54442d18
	s_mov_b32 s5, 0x3ff921fb
	;; [unrolled: 1-line block ×4, first 2 shown]
	v_cndmask_b32_e64 v11, v16, v11, s0
	v_cndmask_b32_e64 v10, v6, v10, s0
	v_trig_preop_f64 v[16:17], |v[6:7]|, 1
	v_mul_f64 v[19:20], v[12:13], v[10:11]
	v_mul_f64 v[33:34], v[27:28], v[10:11]
	;; [unrolled: 1-line block ×3, first 2 shown]
	v_fma_f64 v[12:13], v[12:13], v[10:11], -v[19:20]
	v_fma_f64 v[16:17], v[16:17], v[10:11], -v[21:22]
	;; [unrolled: 1-line block ×3, first 2 shown]
	v_add_f64 v[23:24], v[21:22], v[12:13]
	v_add_f64 v[25:26], v[23:24], -v[21:22]
	v_add_f64 v[31:32], v[19:20], v[23:24]
	v_add_f64 v[29:30], v[23:24], -v[25:26]
	v_add_f64 v[12:13], v[12:13], -v[25:26]
	v_ldexp_f64 v[25:26], v[31:32], -2
	v_add_f64 v[19:20], v[31:32], -v[19:20]
	v_add_f64 v[21:22], v[21:22], -v[29:30]
	v_add_f64 v[29:30], v[33:34], v[16:17]
	v_cmp_neq_f64_e64 s0, 0x7ff00000, |v[25:26]|
	v_add_f64 v[19:20], v[23:24], -v[19:20]
	v_add_f64 v[12:13], v[12:13], v[21:22]
	v_fract_f64_e32 v[21:22], v[25:26]
	v_add_f64 v[23:24], v[29:30], v[12:13]
	v_ldexp_f64 v[21:22], v[21:22], 2
	v_add_f64 v[25:26], v[19:20], v[23:24]
	v_cndmask_b32_e64 v22, 0, v22, s0
	v_cndmask_b32_e64 v21, 0, v21, s0
	v_add_f64 v[31:32], v[25:26], v[21:22]
	v_add_f64 v[19:20], v[25:26], -v[19:20]
	v_cmp_gt_f64_e64 s0, 0, v[31:32]
	v_add_f64 v[31:32], v[29:30], -v[33:34]
	v_cndmask_b32_e64 v36, 0, 0x40100000, s0
	v_add_f64 v[40:41], v[29:30], -v[31:32]
	v_add_f64 v[16:17], v[16:17], -v[31:32]
	v_add_f64 v[21:22], v[21:22], v[35:36]
	v_add_f64 v[36:37], v[23:24], -v[29:30]
	v_add_f64 v[31:32], v[33:34], -v[40:41]
	v_add_f64 v[38:39], v[25:26], v[21:22]
	;; [unrolled: 3-line block ×3, first 2 shown]
	v_cvt_i32_f64_e32 v38, v[38:39]
	v_add_f64 v[29:30], v[29:30], -v[42:43]
	v_cvt_f64_i32_e32 v[36:37], v38
	v_add_f64 v[12:13], v[12:13], v[29:30]
	v_add_f64 v[21:22], v[21:22], -v[36:37]
	v_add_f64 v[12:13], v[16:17], v[12:13]
	v_add_f64 v[16:17], v[23:24], -v[19:20]
	v_add_f64 v[27:28], v[25:26], v[21:22]
	v_add_f64 v[10:11], v[10:11], v[12:13]
	v_add_f64 v[12:13], v[27:28], -v[21:22]
	v_cmp_le_f64_e64 s0, 0.5, v[27:28]
	v_add_f64 v[10:11], v[16:17], v[10:11]
	v_add_f64 v[12:13], v[25:26], -v[12:13]
	v_cndmask_b32_e64 v36, 0, 0x3ff00000, s0
	v_add_co_ci_u32_e64 v16, null, 0, v38, s0
	v_add_f64 v[10:11], v[10:11], v[12:13]
	v_add_f64 v[12:13], v[27:28], -v[35:36]
	v_add_f64 v[19:20], v[12:13], v[10:11]
	v_mul_f64 v[21:22], v[19:20], s[4:5]
	v_add_f64 v[12:13], v[19:20], -v[12:13]
	v_fma_f64 v[23:24], v[19:20], s[4:5], -v[21:22]
	v_add_f64 v[10:11], v[10:11], -v[12:13]
	v_fma_f64 v[12:13], v[19:20], s[6:7], v[23:24]
	v_fma_f64 v[12:13], v[10:11], s[4:5], v[12:13]
	v_add_f64 v[10:11], v[21:22], v[12:13]
	v_add_f64 v[19:20], v[10:11], -v[21:22]
	v_add_f64 v[12:13], v[12:13], -v[19:20]
.LBB1_42:
	s_andn2_saveexec_b32 s0, s2
	s_cbranch_execz .LBB1_44
; %bb.43:
	s_mov_b32 s2, 0x6dc9c883
	s_mov_b32 s3, 0x3fe45f30
	s_mov_b32 s5, 0xbc91a626
	v_mul_f64 v[10:11], |v[6:7]|, s[2:3]
	s_mov_b32 s2, 0x54442d18
	s_mov_b32 s3, 0xbff921fb
	;; [unrolled: 1-line block ×3, first 2 shown]
	v_rndne_f64_e32 v[16:17], v[10:11]
	v_fma_f64 v[10:11], v[16:17], s[2:3], |v[6:7]|
	v_mul_f64 v[12:13], v[16:17], s[4:5]
	s_mov_b32 s2, 0x252049c0
	s_mov_b32 s3, 0xb97b839a
	v_fma_f64 v[21:22], v[16:17], s[4:5], v[10:11]
	v_add_f64 v[19:20], v[10:11], v[12:13]
	s_mov_b32 s5, 0x3c91a626
	v_add_f64 v[10:11], v[10:11], -v[19:20]
	v_add_f64 v[19:20], v[19:20], -v[21:22]
	v_add_f64 v[10:11], v[10:11], v[12:13]
	v_fma_f64 v[12:13], v[16:17], s[4:5], v[12:13]
	v_add_f64 v[10:11], v[19:20], v[10:11]
	v_add_f64 v[10:11], v[10:11], -v[12:13]
	v_fma_f64 v[12:13], v[16:17], s[2:3], v[10:11]
	v_cvt_i32_f64_e32 v16, v[16:17]
	v_add_f64 v[10:11], v[21:22], v[12:13]
	v_add_f64 v[19:20], v[10:11], -v[21:22]
	v_add_f64 v[12:13], v[12:13], -v[19:20]
.LBB1_44:
	s_or_b32 exec_lo, exec_lo, s0
	v_mul_f64 v[19:20], v[10:11], v[10:11]
	s_mov_b32 s2, 0xb42fdfa7
	s_mov_b32 s4, 0xf9a43bb8
	;; [unrolled: 1-line block ×6, first 2 shown]
	v_mul_f64 v[29:30], v[12:13], 0.5
	v_fma_f64 v[21:22], v[19:20], s[4:5], s[2:3]
	s_mov_b32 s2, 0x9037ab78
	s_mov_b32 s4, 0x46cc5e42
	;; [unrolled: 1-line block ×4, first 2 shown]
	v_mul_f64 v[25:26], v[19:20], 0.5
	v_fma_f64 v[23:24], v[19:20], s[4:5], s[2:3]
	s_mov_b32 s2, 0xa17f65f6
	s_mov_b32 s4, 0x19e83e5c
	;; [unrolled: 1-line block ×4, first 2 shown]
	v_mul_f64 v[31:32], v[10:11], -v[19:20]
	v_fma_f64 v[21:22], v[19:20], v[21:22], s[6:7]
	v_add_f64 v[27:28], -v[25:26], 1.0
	v_fma_f64 v[23:24], v[19:20], v[23:24], s[2:3]
	s_mov_b32 s2, 0x19f4ec90
	s_mov_b32 s3, 0x3efa01a0
	v_fma_f64 v[21:22], v[19:20], v[21:22], s[4:5]
	s_mov_b32 s4, 0x11110bb3
	s_mov_b32 s5, 0x3f811111
	v_add_f64 v[33:34], -v[27:28], 1.0
	v_fma_f64 v[23:24], v[19:20], v[23:24], s[2:3]
	s_mov_b32 s2, 0x16c16967
	s_mov_b32 s3, 0xbf56c16c
	v_fma_f64 v[21:22], v[19:20], v[21:22], s[4:5]
	v_add_f64 v[25:26], v[33:34], -v[25:26]
	v_fma_f64 v[23:24], v[19:20], v[23:24], s[2:3]
	s_mov_b32 s3, 0x3fa55555
	s_mov_b32 s2, 0x55555555
	v_fma_f64 v[21:22], v[31:32], v[21:22], v[29:30]
	v_mul_f64 v[29:30], v[19:20], v[19:20]
	v_fma_f64 v[25:26], v[10:11], -v[12:13], v[25:26]
	v_fma_f64 v[23:24], v[19:20], v[23:24], s[2:3]
	s_mov_b32 s3, 0xbfc55555
	v_fma_f64 v[12:13], v[19:20], v[21:22], -v[12:13]
	v_fma_f64 v[19:20], v[29:30], v[23:24], v[25:26]
	v_fma_f64 v[12:13], v[31:32], s[2:3], v[12:13]
	v_add_f64 v[19:20], v[27:28], v[19:20]
	v_add_f64 v[10:11], v[10:11], -v[12:13]
	v_and_b32_e32 v13, 1, v16
	v_lshlrev_b32_e32 v12, 30, v16
	v_cmp_eq_u32_e64 s0, 0, v13
	v_xor_b32_e32 v12, v12, v7
	v_and_b32_e32 v12, 0x80000000, v12
	v_cndmask_b32_e64 v10, v19, v10, s0
	v_cndmask_b32_e64 v11, v20, v11, s0
	v_cmp_class_f64_e64 s0, v[6:7], 0x1f8
	v_xor_b32_e32 v11, v11, v12
	v_cndmask_b32_e64 v11, 0x7ff80000, v11, s0
	v_cndmask_b32_e64 v10, 0, v10, s0
.LBB1_45:
	s_or_b32 exec_lo, exec_lo, s1
	v_or_b32_e32 v6, 0x300, v0
	s_mov_b32 s1, exec_lo
	v_cmpx_gt_i32_e64 s33, v6
	s_cbranch_execnz .LBB1_52
; %bb.46:
	s_or_b32 exec_lo, exec_lo, s1
	s_and_saveexec_b32 s0, vcc_lo
	s_xor_b32 s0, exec_lo, s0
	s_cbranch_execnz .LBB1_57
.LBB1_47:
	s_or_b32 exec_lo, exec_lo, s0
	s_mov_b32 s0, exec_lo
	v_cmpx_gt_i32_e64 s33, v0
	s_cbranch_execnz .LBB1_58
.LBB1_48:
	s_or_b32 exec_lo, exec_lo, s0
	s_mov_b32 s0, exec_lo
	v_cmpx_gt_i32_e64 s33, v0
	s_cbranch_execnz .LBB1_59
.LBB1_49:
	s_or_b32 exec_lo, exec_lo, s0
	s_mov_b32 s0, exec_lo
	v_cmpx_gt_i32_e64 s33, v0
	s_cbranch_execz .LBB1_51
.LBB1_50:
	v_add_nc_u32_e32 v0, s12, v0
	v_mov_b32_e32 v1, 0
	v_lshlrev_b64 v[0:1], 3, v[0:1]
	v_add_co_u32 v0, vcc_lo, s8, v0
	v_add_co_ci_u32_e64 v1, null, s9, v1, vcc_lo
	global_store_dwordx2 v[0:1], v[8:9], off
.LBB1_51:
	s_endpgm
.LBB1_52:
	s_mov_b32 s2, exec_lo
                                        ; implicit-def: $vgpr12
                                        ; implicit-def: $vgpr6_vgpr7
                                        ; implicit-def: $vgpr8_vgpr9
	v_cmpx_ngt_f64_e64 0x41d00000, |v[2:3]|
	s_xor_b32 s2, exec_lo, s2
	s_cbranch_execz .LBB1_54
; %bb.53:
	v_ldexp_f64 v[6:7], |v[2:3]|, 0xffffff80
	v_cmp_le_f64_e64 s0, 0x7b000000, |v[2:3]|
	v_trig_preop_f64 v[8:9], |v[2:3]|, 0
	v_and_b32_e32 v12, 0x7fffffff, v3
	v_trig_preop_f64 v[25:26], |v[2:3]|, 2
	v_mov_b32_e32 v33, 0
	s_mov_b32 s4, 0x54442d18
	s_mov_b32 s5, 0x3ff921fb
	;; [unrolled: 1-line block ×4, first 2 shown]
	v_cndmask_b32_e64 v7, v12, v7, s0
	v_cndmask_b32_e64 v6, v2, v6, s0
	v_trig_preop_f64 v[12:13], |v[2:3]|, 1
	v_mul_f64 v[16:17], v[8:9], v[6:7]
	v_mul_f64 v[31:32], v[25:26], v[6:7]
	;; [unrolled: 1-line block ×3, first 2 shown]
	v_fma_f64 v[8:9], v[8:9], v[6:7], -v[16:17]
	v_fma_f64 v[12:13], v[12:13], v[6:7], -v[19:20]
	;; [unrolled: 1-line block ×3, first 2 shown]
	v_add_f64 v[21:22], v[19:20], v[8:9]
	v_add_f64 v[23:24], v[21:22], -v[19:20]
	v_add_f64 v[29:30], v[16:17], v[21:22]
	v_add_f64 v[27:28], v[21:22], -v[23:24]
	v_add_f64 v[8:9], v[8:9], -v[23:24]
	v_ldexp_f64 v[23:24], v[29:30], -2
	v_add_f64 v[16:17], v[29:30], -v[16:17]
	v_add_f64 v[19:20], v[19:20], -v[27:28]
	v_add_f64 v[27:28], v[31:32], v[12:13]
	v_cmp_neq_f64_e64 s0, 0x7ff00000, |v[23:24]|
	v_add_f64 v[16:17], v[21:22], -v[16:17]
	v_add_f64 v[8:9], v[8:9], v[19:20]
	v_fract_f64_e32 v[19:20], v[23:24]
	v_add_f64 v[21:22], v[27:28], v[8:9]
	v_ldexp_f64 v[19:20], v[19:20], 2
	v_add_f64 v[23:24], v[16:17], v[21:22]
	v_cndmask_b32_e64 v20, 0, v20, s0
	v_cndmask_b32_e64 v19, 0, v19, s0
	v_add_f64 v[29:30], v[23:24], v[19:20]
	v_add_f64 v[16:17], v[23:24], -v[16:17]
	v_cmp_gt_f64_e64 s0, 0, v[29:30]
	v_add_f64 v[29:30], v[27:28], -v[31:32]
	v_cndmask_b32_e64 v34, 0, 0x40100000, s0
	v_add_f64 v[38:39], v[27:28], -v[29:30]
	v_add_f64 v[12:13], v[12:13], -v[29:30]
	v_add_f64 v[19:20], v[19:20], v[33:34]
	v_add_f64 v[34:35], v[21:22], -v[27:28]
	v_add_f64 v[29:30], v[31:32], -v[38:39]
	v_add_f64 v[36:37], v[23:24], v[19:20]
	;; [unrolled: 3-line block ×3, first 2 shown]
	v_cvt_i32_f64_e32 v36, v[36:37]
	v_add_f64 v[27:28], v[27:28], -v[40:41]
	v_cvt_f64_i32_e32 v[34:35], v36
	v_add_f64 v[8:9], v[8:9], v[27:28]
	v_add_f64 v[19:20], v[19:20], -v[34:35]
	v_add_f64 v[8:9], v[12:13], v[8:9]
	v_add_f64 v[12:13], v[21:22], -v[16:17]
	v_add_f64 v[25:26], v[23:24], v[19:20]
	v_add_f64 v[6:7], v[6:7], v[8:9]
	v_add_f64 v[8:9], v[25:26], -v[19:20]
	v_cmp_le_f64_e64 s0, 0.5, v[25:26]
	v_add_f64 v[6:7], v[12:13], v[6:7]
	v_add_f64 v[8:9], v[23:24], -v[8:9]
	v_cndmask_b32_e64 v34, 0, 0x3ff00000, s0
	v_add_co_ci_u32_e64 v12, null, 0, v36, s0
	v_add_f64 v[6:7], v[6:7], v[8:9]
	v_add_f64 v[8:9], v[25:26], -v[33:34]
	v_add_f64 v[16:17], v[8:9], v[6:7]
	v_mul_f64 v[19:20], v[16:17], s[4:5]
	v_add_f64 v[8:9], v[16:17], -v[8:9]
	v_fma_f64 v[21:22], v[16:17], s[4:5], -v[19:20]
	v_add_f64 v[6:7], v[6:7], -v[8:9]
	v_fma_f64 v[8:9], v[16:17], s[6:7], v[21:22]
	v_fma_f64 v[8:9], v[6:7], s[4:5], v[8:9]
	v_add_f64 v[6:7], v[19:20], v[8:9]
	v_add_f64 v[16:17], v[6:7], -v[19:20]
	v_add_f64 v[8:9], v[8:9], -v[16:17]
.LBB1_54:
	s_andn2_saveexec_b32 s0, s2
	s_cbranch_execz .LBB1_56
; %bb.55:
	s_mov_b32 s2, 0x6dc9c883
	s_mov_b32 s3, 0x3fe45f30
	;; [unrolled: 1-line block ×3, first 2 shown]
	v_mul_f64 v[6:7], |v[2:3]|, s[2:3]
	s_mov_b32 s2, 0x54442d18
	s_mov_b32 s3, 0xbff921fb
	;; [unrolled: 1-line block ×3, first 2 shown]
	v_rndne_f64_e32 v[12:13], v[6:7]
	v_fma_f64 v[6:7], v[12:13], s[2:3], |v[2:3]|
	v_mul_f64 v[8:9], v[12:13], s[4:5]
	s_mov_b32 s2, 0x252049c0
	s_mov_b32 s3, 0xb97b839a
	v_fma_f64 v[19:20], v[12:13], s[4:5], v[6:7]
	v_add_f64 v[16:17], v[6:7], v[8:9]
	s_mov_b32 s5, 0x3c91a626
	v_add_f64 v[6:7], v[6:7], -v[16:17]
	v_add_f64 v[16:17], v[16:17], -v[19:20]
	v_add_f64 v[6:7], v[6:7], v[8:9]
	v_fma_f64 v[8:9], v[12:13], s[4:5], v[8:9]
	v_add_f64 v[6:7], v[16:17], v[6:7]
	v_add_f64 v[6:7], v[6:7], -v[8:9]
	v_fma_f64 v[8:9], v[12:13], s[2:3], v[6:7]
	v_cvt_i32_f64_e32 v12, v[12:13]
	v_add_f64 v[6:7], v[19:20], v[8:9]
	v_add_f64 v[16:17], v[6:7], -v[19:20]
	v_add_f64 v[8:9], v[8:9], -v[16:17]
.LBB1_56:
	s_or_b32 exec_lo, exec_lo, s0
	v_mul_f64 v[16:17], v[6:7], v[6:7]
	s_mov_b32 s2, 0xb42fdfa7
	s_mov_b32 s4, 0xf9a43bb8
	;; [unrolled: 1-line block ×6, first 2 shown]
	v_mul_f64 v[27:28], v[8:9], 0.5
	v_fma_f64 v[19:20], v[16:17], s[4:5], s[2:3]
	s_mov_b32 s2, 0x9037ab78
	s_mov_b32 s4, 0x46cc5e42
	;; [unrolled: 1-line block ×4, first 2 shown]
	v_mul_f64 v[23:24], v[16:17], 0.5
	v_fma_f64 v[21:22], v[16:17], s[4:5], s[2:3]
	s_mov_b32 s2, 0xa17f65f6
	s_mov_b32 s4, 0x19e83e5c
	;; [unrolled: 1-line block ×4, first 2 shown]
	v_mul_f64 v[29:30], v[6:7], -v[16:17]
	v_fma_f64 v[19:20], v[16:17], v[19:20], s[6:7]
	v_add_f64 v[25:26], -v[23:24], 1.0
	v_fma_f64 v[21:22], v[16:17], v[21:22], s[2:3]
	s_mov_b32 s2, 0x19f4ec90
	s_mov_b32 s3, 0x3efa01a0
	v_fma_f64 v[19:20], v[16:17], v[19:20], s[4:5]
	s_mov_b32 s4, 0x11110bb3
	s_mov_b32 s5, 0x3f811111
	v_add_f64 v[31:32], -v[25:26], 1.0
	v_fma_f64 v[21:22], v[16:17], v[21:22], s[2:3]
	s_mov_b32 s2, 0x16c16967
	s_mov_b32 s3, 0xbf56c16c
	v_fma_f64 v[19:20], v[16:17], v[19:20], s[4:5]
	v_add_f64 v[23:24], v[31:32], -v[23:24]
	v_fma_f64 v[21:22], v[16:17], v[21:22], s[2:3]
	s_mov_b32 s3, 0x3fa55555
	s_mov_b32 s2, 0x55555555
	v_fma_f64 v[19:20], v[29:30], v[19:20], v[27:28]
	v_mul_f64 v[27:28], v[16:17], v[16:17]
	v_fma_f64 v[23:24], v[6:7], -v[8:9], v[23:24]
	v_fma_f64 v[21:22], v[16:17], v[21:22], s[2:3]
	s_mov_b32 s3, 0xbfc55555
	v_fma_f64 v[8:9], v[16:17], v[19:20], -v[8:9]
	v_fma_f64 v[16:17], v[27:28], v[21:22], v[23:24]
	v_fma_f64 v[8:9], v[29:30], s[2:3], v[8:9]
	v_add_f64 v[16:17], v[25:26], v[16:17]
	v_add_f64 v[6:7], v[6:7], -v[8:9]
	v_and_b32_e32 v9, 1, v12
	v_lshlrev_b32_e32 v8, 30, v12
	v_cmp_eq_u32_e64 s0, 0, v9
	v_xor_b32_e32 v8, v8, v3
	v_and_b32_e32 v8, 0x80000000, v8
	v_cndmask_b32_e64 v6, v16, v6, s0
	v_cndmask_b32_e64 v7, v17, v7, s0
	v_cmp_class_f64_e64 s0, v[2:3], 0x1f8
	v_xor_b32_e32 v7, v7, v8
	v_cndmask_b32_e64 v9, 0x7ff80000, v7, s0
	v_cndmask_b32_e64 v8, 0, v6, s0
	s_or_b32 exec_lo, exec_lo, s1
	s_and_saveexec_b32 s0, vcc_lo
	s_xor_b32 s0, exec_lo, s0
	s_cbranch_execz .LBB1_47
.LBB1_57:
	v_mov_b32_e32 v2, 0
	v_lshlrev_b64 v[0:1], 3, v[1:2]
	v_add_co_u32 v2, vcc_lo, s8, v0
	v_add_co_ci_u32_e64 v3, null, s9, v1, vcc_lo
	v_mov_b32_e32 v0, v18
	global_store_dwordx2 v[2:3], v[4:5], off
	s_or_b32 exec_lo, exec_lo, s0
	s_mov_b32 s0, exec_lo
	v_cmpx_gt_i32_e64 s33, v0
	s_cbranch_execz .LBB1_48
.LBB1_58:
	v_add_nc_u32_e32 v1, s12, v0
	v_mov_b32_e32 v2, 0
	v_add_nc_u32_e32 v0, 0x100, v0
	v_lshlrev_b64 v[1:2], 3, v[1:2]
	v_add_co_u32 v1, vcc_lo, s8, v1
	v_add_co_ci_u32_e64 v2, null, s9, v2, vcc_lo
	global_store_dwordx2 v[1:2], v[14:15], off
	s_or_b32 exec_lo, exec_lo, s0
	s_mov_b32 s0, exec_lo
	v_cmpx_gt_i32_e64 s33, v0
	s_cbranch_execz .LBB1_49
.LBB1_59:
	v_add_nc_u32_e32 v1, s12, v0
	v_mov_b32_e32 v2, 0
	v_add_nc_u32_e32 v0, 0x100, v0
	v_lshlrev_b64 v[1:2], 3, v[1:2]
	v_add_co_u32 v1, vcc_lo, s8, v1
	v_add_co_ci_u32_e64 v2, null, s9, v2, vcc_lo
	global_store_dwordx2 v[1:2], v[10:11], off
	s_or_b32 exec_lo, exec_lo, s0
	s_mov_b32 s0, exec_lo
	v_cmpx_gt_i32_e64 s33, v0
	s_cbranch_execnz .LBB1_50
	s_branch .LBB1_51
	.section	.rodata,"a",@progbits
	.p2align	6, 0x0
	.amdhsa_kernel _ZN2at6native29vectorized_elementwise_kernelILi8EZZZNS0_15sin_kernel_cudaERNS_18TensorIteratorBaseEENKUlvE0_clEvENKUlvE_clEvEUldE_St5arrayIPcLm2EEEEviT0_T1_
		.amdhsa_group_segment_fixed_size 0
		.amdhsa_private_segment_fixed_size 0
		.amdhsa_kernarg_size 24
		.amdhsa_user_sgpr_count 6
		.amdhsa_user_sgpr_private_segment_buffer 1
		.amdhsa_user_sgpr_dispatch_ptr 0
		.amdhsa_user_sgpr_queue_ptr 0
		.amdhsa_user_sgpr_kernarg_segment_ptr 1
		.amdhsa_user_sgpr_dispatch_id 0
		.amdhsa_user_sgpr_flat_scratch_init 0
		.amdhsa_user_sgpr_private_segment_size 0
		.amdhsa_wavefront_size32 1
		.amdhsa_uses_dynamic_stack 0
		.amdhsa_system_sgpr_private_segment_wavefront_offset 0
		.amdhsa_system_sgpr_workgroup_id_x 1
		.amdhsa_system_sgpr_workgroup_id_y 0
		.amdhsa_system_sgpr_workgroup_id_z 0
		.amdhsa_system_sgpr_workgroup_info 0
		.amdhsa_system_vgpr_workitem_id 0
		.amdhsa_next_free_vgpr 64
		.amdhsa_next_free_sgpr 34
		.amdhsa_reserve_vcc 1
		.amdhsa_reserve_flat_scratch 0
		.amdhsa_float_round_mode_32 0
		.amdhsa_float_round_mode_16_64 0
		.amdhsa_float_denorm_mode_32 3
		.amdhsa_float_denorm_mode_16_64 3
		.amdhsa_dx10_clamp 1
		.amdhsa_ieee_mode 1
		.amdhsa_fp16_overflow 0
		.amdhsa_workgroup_processor_mode 1
		.amdhsa_memory_ordered 1
		.amdhsa_forward_progress 1
		.amdhsa_shared_vgpr_count 0
		.amdhsa_exception_fp_ieee_invalid_op 0
		.amdhsa_exception_fp_denorm_src 0
		.amdhsa_exception_fp_ieee_div_zero 0
		.amdhsa_exception_fp_ieee_overflow 0
		.amdhsa_exception_fp_ieee_underflow 0
		.amdhsa_exception_fp_ieee_inexact 0
		.amdhsa_exception_int_div_zero 0
	.end_amdhsa_kernel
	.section	.text._ZN2at6native29vectorized_elementwise_kernelILi8EZZZNS0_15sin_kernel_cudaERNS_18TensorIteratorBaseEENKUlvE0_clEvENKUlvE_clEvEUldE_St5arrayIPcLm2EEEEviT0_T1_,"axG",@progbits,_ZN2at6native29vectorized_elementwise_kernelILi8EZZZNS0_15sin_kernel_cudaERNS_18TensorIteratorBaseEENKUlvE0_clEvENKUlvE_clEvEUldE_St5arrayIPcLm2EEEEviT0_T1_,comdat
.Lfunc_end1:
	.size	_ZN2at6native29vectorized_elementwise_kernelILi8EZZZNS0_15sin_kernel_cudaERNS_18TensorIteratorBaseEENKUlvE0_clEvENKUlvE_clEvEUldE_St5arrayIPcLm2EEEEviT0_T1_, .Lfunc_end1-_ZN2at6native29vectorized_elementwise_kernelILi8EZZZNS0_15sin_kernel_cudaERNS_18TensorIteratorBaseEENKUlvE0_clEvENKUlvE_clEvEUldE_St5arrayIPcLm2EEEEviT0_T1_
                                        ; -- End function
	.set _ZN2at6native29vectorized_elementwise_kernelILi8EZZZNS0_15sin_kernel_cudaERNS_18TensorIteratorBaseEENKUlvE0_clEvENKUlvE_clEvEUldE_St5arrayIPcLm2EEEEviT0_T1_.num_vgpr, 64
	.set _ZN2at6native29vectorized_elementwise_kernelILi8EZZZNS0_15sin_kernel_cudaERNS_18TensorIteratorBaseEENKUlvE0_clEvENKUlvE_clEvEUldE_St5arrayIPcLm2EEEEviT0_T1_.num_agpr, 0
	.set _ZN2at6native29vectorized_elementwise_kernelILi8EZZZNS0_15sin_kernel_cudaERNS_18TensorIteratorBaseEENKUlvE0_clEvENKUlvE_clEvEUldE_St5arrayIPcLm2EEEEviT0_T1_.numbered_sgpr, 34
	.set _ZN2at6native29vectorized_elementwise_kernelILi8EZZZNS0_15sin_kernel_cudaERNS_18TensorIteratorBaseEENKUlvE0_clEvENKUlvE_clEvEUldE_St5arrayIPcLm2EEEEviT0_T1_.num_named_barrier, 0
	.set _ZN2at6native29vectorized_elementwise_kernelILi8EZZZNS0_15sin_kernel_cudaERNS_18TensorIteratorBaseEENKUlvE0_clEvENKUlvE_clEvEUldE_St5arrayIPcLm2EEEEviT0_T1_.private_seg_size, 0
	.set _ZN2at6native29vectorized_elementwise_kernelILi8EZZZNS0_15sin_kernel_cudaERNS_18TensorIteratorBaseEENKUlvE0_clEvENKUlvE_clEvEUldE_St5arrayIPcLm2EEEEviT0_T1_.uses_vcc, 1
	.set _ZN2at6native29vectorized_elementwise_kernelILi8EZZZNS0_15sin_kernel_cudaERNS_18TensorIteratorBaseEENKUlvE0_clEvENKUlvE_clEvEUldE_St5arrayIPcLm2EEEEviT0_T1_.uses_flat_scratch, 0
	.set _ZN2at6native29vectorized_elementwise_kernelILi8EZZZNS0_15sin_kernel_cudaERNS_18TensorIteratorBaseEENKUlvE0_clEvENKUlvE_clEvEUldE_St5arrayIPcLm2EEEEviT0_T1_.has_dyn_sized_stack, 0
	.set _ZN2at6native29vectorized_elementwise_kernelILi8EZZZNS0_15sin_kernel_cudaERNS_18TensorIteratorBaseEENKUlvE0_clEvENKUlvE_clEvEUldE_St5arrayIPcLm2EEEEviT0_T1_.has_recursion, 0
	.set _ZN2at6native29vectorized_elementwise_kernelILi8EZZZNS0_15sin_kernel_cudaERNS_18TensorIteratorBaseEENKUlvE0_clEvENKUlvE_clEvEUldE_St5arrayIPcLm2EEEEviT0_T1_.has_indirect_call, 0
	.section	.AMDGPU.csdata,"",@progbits
; Kernel info:
; codeLenInByte = 10824
; TotalNumSgprs: 36
; NumVgprs: 64
; ScratchSize: 0
; MemoryBound: 1
; FloatMode: 240
; IeeeMode: 1
; LDSByteSize: 0 bytes/workgroup (compile time only)
; SGPRBlocks: 0
; VGPRBlocks: 7
; NumSGPRsForWavesPerEU: 36
; NumVGPRsForWavesPerEU: 64
; Occupancy: 16
; WaveLimiterHint : 0
; COMPUTE_PGM_RSRC2:SCRATCH_EN: 0
; COMPUTE_PGM_RSRC2:USER_SGPR: 6
; COMPUTE_PGM_RSRC2:TRAP_HANDLER: 0
; COMPUTE_PGM_RSRC2:TGID_X_EN: 1
; COMPUTE_PGM_RSRC2:TGID_Y_EN: 0
; COMPUTE_PGM_RSRC2:TGID_Z_EN: 0
; COMPUTE_PGM_RSRC2:TIDIG_COMP_CNT: 0
	.section	.text._ZN2at6native29vectorized_elementwise_kernelILi4EZZZNS0_15sin_kernel_cudaERNS_18TensorIteratorBaseEENKUlvE0_clEvENKUlvE_clEvEUldE_St5arrayIPcLm2EEEEviT0_T1_,"axG",@progbits,_ZN2at6native29vectorized_elementwise_kernelILi4EZZZNS0_15sin_kernel_cudaERNS_18TensorIteratorBaseEENKUlvE0_clEvENKUlvE_clEvEUldE_St5arrayIPcLm2EEEEviT0_T1_,comdat
	.globl	_ZN2at6native29vectorized_elementwise_kernelILi4EZZZNS0_15sin_kernel_cudaERNS_18TensorIteratorBaseEENKUlvE0_clEvENKUlvE_clEvEUldE_St5arrayIPcLm2EEEEviT0_T1_ ; -- Begin function _ZN2at6native29vectorized_elementwise_kernelILi4EZZZNS0_15sin_kernel_cudaERNS_18TensorIteratorBaseEENKUlvE0_clEvENKUlvE_clEvEUldE_St5arrayIPcLm2EEEEviT0_T1_
	.p2align	8
	.type	_ZN2at6native29vectorized_elementwise_kernelILi4EZZZNS0_15sin_kernel_cudaERNS_18TensorIteratorBaseEENKUlvE0_clEvENKUlvE_clEvEUldE_St5arrayIPcLm2EEEEviT0_T1_,@function
_ZN2at6native29vectorized_elementwise_kernelILi4EZZZNS0_15sin_kernel_cudaERNS_18TensorIteratorBaseEENKUlvE0_clEvENKUlvE_clEvEUldE_St5arrayIPcLm2EEEEviT0_T1_: ; @_ZN2at6native29vectorized_elementwise_kernelILi4EZZZNS0_15sin_kernel_cudaERNS_18TensorIteratorBaseEENKUlvE0_clEvENKUlvE_clEvEUldE_St5arrayIPcLm2EEEEviT0_T1_
; %bb.0:
	s_clause 0x1
	s_load_dword s0, s[4:5], 0x0
	s_load_dwordx4 s[8:11], s[4:5], 0x8
	s_lshl_b32 s12, s6, 10
	s_waitcnt lgkmcnt(0)
	s_sub_i32 s33, s0, s12
	s_mov_b32 s0, -1
	s_cmpk_gt_i32 s33, 0x3ff
	s_cbranch_scc0 .LBB2_18
; %bb.1:
	s_ashr_i32 s13, s12, 31
	v_lshlrev_b32_e32 v25, 5, v0
	s_lshl_b64 s[14:15], s[12:13], 3
	v_mov_b32_e32 v13, 0
	s_add_u32 s0, s10, s14
	s_addc_u32 s1, s11, s15
                                        ; implicit-def: $vgpr26
                                        ; implicit-def: $vgpr9_vgpr10
                                        ; implicit-def: $vgpr11_vgpr12
	s_clause 0x1
	global_load_dwordx4 v[5:8], v25, s[0:1]
	global_load_dwordx4 v[1:4], v25, s[0:1] offset:16
	s_waitcnt vmcnt(1)
	v_cmp_ngt_f64_e64 s0, 0x41d00000, |v[5:6]|
	s_and_saveexec_b32 s1, s0
	s_xor_b32 s0, exec_lo, s1
	s_cbranch_execz .LBB2_3
; %bb.2:
	v_ldexp_f64 v[9:10], |v[5:6]|, 0xffffff80
	v_cmp_le_f64_e64 vcc_lo, 0x7b000000, |v[5:6]|
	v_trig_preop_f64 v[11:12], |v[5:6]|, 0
	v_and_b32_e32 v14, 0x7fffffff, v6
	v_trig_preop_f64 v[26:27], |v[5:6]|, 2
	s_mov_b32 s2, 0x54442d18
	s_mov_b32 s3, 0x3ff921fb
	;; [unrolled: 1-line block ×4, first 2 shown]
	v_cndmask_b32_e32 v10, v14, v10, vcc_lo
	v_cndmask_b32_e32 v9, v5, v9, vcc_lo
	v_trig_preop_f64 v[14:15], |v[5:6]|, 1
	v_mul_f64 v[16:17], v[11:12], v[9:10]
	v_mul_f64 v[32:33], v[26:27], v[9:10]
	;; [unrolled: 1-line block ×3, first 2 shown]
	v_fma_f64 v[11:12], v[11:12], v[9:10], -v[16:17]
	v_fma_f64 v[34:35], v[14:15], v[9:10], -v[18:19]
	;; [unrolled: 1-line block ×3, first 2 shown]
	v_add_f64 v[20:21], v[18:19], v[11:12]
	v_add_f64 v[22:23], v[20:21], -v[18:19]
	v_add_f64 v[30:31], v[16:17], v[20:21]
	v_add_f64 v[28:29], v[20:21], -v[22:23]
	v_add_f64 v[11:12], v[11:12], -v[22:23]
	v_add_f64 v[22:23], v[32:33], v[34:35]
	v_add_f64 v[16:17], v[30:31], -v[16:17]
	v_add_f64 v[14:15], v[18:19], -v[28:29]
	v_ldexp_f64 v[18:19], v[30:31], -2
	v_add_f64 v[16:17], v[20:21], -v[16:17]
	v_add_f64 v[11:12], v[11:12], v[14:15]
	v_fract_f64_e32 v[14:15], v[18:19]
	v_cmp_neq_f64_e64 vcc_lo, 0x7ff00000, |v[18:19]|
	v_add_f64 v[20:21], v[22:23], v[11:12]
	v_ldexp_f64 v[14:15], v[14:15], 2
	v_add_f64 v[18:19], v[16:17], v[20:21]
	v_cndmask_b32_e32 v29, 0, v15, vcc_lo
	v_cndmask_b32_e32 v28, 0, v14, vcc_lo
	v_add_f64 v[30:31], v[20:21], -v[22:23]
	v_add_f64 v[14:15], v[18:19], v[28:29]
	v_add_f64 v[16:17], v[18:19], -v[16:17]
	v_add_f64 v[40:41], v[20:21], -v[30:31]
	;; [unrolled: 1-line block ×3, first 2 shown]
	v_cmp_gt_f64_e32 vcc_lo, 0, v[14:15]
	v_add_f64 v[16:17], v[20:21], -v[16:17]
	v_cndmask_b32_e64 v14, 0, 0x40100000, vcc_lo
	v_add_f64 v[14:15], v[28:29], v[13:14]
	v_add_f64 v[28:29], v[22:23], -v[32:33]
	v_add_f64 v[36:37], v[18:19], v[14:15]
	v_add_f64 v[38:39], v[22:23], -v[28:29]
	v_add_f64 v[28:29], v[34:35], -v[28:29]
	;; [unrolled: 1-line block ×3, first 2 shown]
	v_cvt_i32_f64_e32 v24, v[36:37]
	v_add_f64 v[34:35], v[32:33], -v[38:39]
	v_add_f64 v[11:12], v[11:12], v[22:23]
	v_cvt_f64_i32_e32 v[30:31], v24
	v_add_f64 v[28:29], v[28:29], v[34:35]
	v_add_f64 v[14:15], v[14:15], -v[30:31]
	v_add_f64 v[11:12], v[28:29], v[11:12]
	v_add_f64 v[22:23], v[18:19], v[14:15]
	;; [unrolled: 1-line block ×3, first 2 shown]
	v_add_f64 v[11:12], v[22:23], -v[14:15]
	v_cmp_le_f64_e32 vcc_lo, 0.5, v[22:23]
	v_add_f64 v[9:10], v[16:17], v[9:10]
	v_add_f64 v[11:12], v[18:19], -v[11:12]
	v_cndmask_b32_e64 v14, 0, 0x3ff00000, vcc_lo
	v_add_co_ci_u32_e64 v26, null, 0, v24, vcc_lo
	v_add_f64 v[9:10], v[9:10], v[11:12]
	v_add_f64 v[11:12], v[22:23], -v[13:14]
	v_add_f64 v[13:14], v[11:12], v[9:10]
	v_mul_f64 v[15:16], v[13:14], s[2:3]
	v_add_f64 v[11:12], v[13:14], -v[11:12]
	v_fma_f64 v[17:18], v[13:14], s[2:3], -v[15:16]
	v_add_f64 v[9:10], v[9:10], -v[11:12]
	v_fma_f64 v[11:12], v[13:14], s[4:5], v[17:18]
	v_fma_f64 v[11:12], v[9:10], s[2:3], v[11:12]
	v_add_f64 v[9:10], v[15:16], v[11:12]
	v_add_f64 v[13:14], v[9:10], -v[15:16]
	v_add_f64 v[11:12], v[11:12], -v[13:14]
.LBB2_3:
	s_andn2_saveexec_b32 s0, s0
	s_cbranch_execz .LBB2_5
; %bb.4:
	s_mov_b32 s2, 0x6dc9c883
	s_mov_b32 s3, 0x3fe45f30
	;; [unrolled: 1-line block ×3, first 2 shown]
	v_mul_f64 v[9:10], |v[5:6]|, s[2:3]
	s_mov_b32 s2, 0x54442d18
	s_mov_b32 s3, 0xbff921fb
	;; [unrolled: 1-line block ×3, first 2 shown]
	v_rndne_f64_e32 v[13:14], v[9:10]
	v_fma_f64 v[9:10], v[13:14], s[2:3], |v[5:6]|
	v_mul_f64 v[11:12], v[13:14], s[4:5]
	s_mov_b32 s2, 0x252049c0
	s_mov_b32 s3, 0xb97b839a
	v_cvt_i32_f64_e32 v26, v[13:14]
	v_fma_f64 v[17:18], v[13:14], s[4:5], v[9:10]
	v_add_f64 v[15:16], v[9:10], v[11:12]
	s_mov_b32 s5, 0x3c91a626
	v_add_f64 v[9:10], v[9:10], -v[15:16]
	v_add_f64 v[15:16], v[15:16], -v[17:18]
	v_add_f64 v[9:10], v[9:10], v[11:12]
	v_fma_f64 v[11:12], v[13:14], s[4:5], v[11:12]
	v_add_f64 v[9:10], v[15:16], v[9:10]
	v_add_f64 v[9:10], v[9:10], -v[11:12]
	v_fma_f64 v[11:12], v[13:14], s[2:3], v[9:10]
	v_add_f64 v[9:10], v[17:18], v[11:12]
	v_add_f64 v[15:16], v[9:10], -v[17:18]
	v_add_f64 v[11:12], v[11:12], -v[15:16]
.LBB2_5:
	s_or_b32 exec_lo, exec_lo, s0
	v_cmp_ngt_f64_e64 s0, 0x41d00000, |v[7:8]|
                                        ; implicit-def: $vgpr27
                                        ; implicit-def: $vgpr13_vgpr14
                                        ; implicit-def: $vgpr15_vgpr16
	s_and_saveexec_b32 s1, s0
	s_xor_b32 s0, exec_lo, s1
	s_cbranch_execz .LBB2_7
; %bb.6:
	v_ldexp_f64 v[13:14], |v[7:8]|, 0xffffff80
	v_cmp_le_f64_e64 vcc_lo, 0x7b000000, |v[7:8]|
	v_trig_preop_f64 v[15:16], |v[7:8]|, 0
	v_and_b32_e32 v17, 0x7fffffff, v8
	v_trig_preop_f64 v[29:30], |v[7:8]|, 2
	v_mov_b32_e32 v37, 0
	s_mov_b32 s2, 0x54442d18
	s_mov_b32 s3, 0x3ff921fb
	;; [unrolled: 1-line block ×4, first 2 shown]
	v_cndmask_b32_e32 v14, v17, v14, vcc_lo
	v_cndmask_b32_e32 v13, v7, v13, vcc_lo
	v_trig_preop_f64 v[17:18], |v[7:8]|, 1
	v_mul_f64 v[19:20], v[15:16], v[13:14]
	v_mul_f64 v[35:36], v[29:30], v[13:14]
	;; [unrolled: 1-line block ×3, first 2 shown]
	v_fma_f64 v[15:16], v[15:16], v[13:14], -v[19:20]
	v_fma_f64 v[17:18], v[17:18], v[13:14], -v[21:22]
	;; [unrolled: 1-line block ×3, first 2 shown]
	v_add_f64 v[23:24], v[21:22], v[15:16]
	v_add_f64 v[27:28], v[23:24], -v[21:22]
	v_add_f64 v[33:34], v[19:20], v[23:24]
	v_add_f64 v[31:32], v[23:24], -v[27:28]
	v_add_f64 v[15:16], v[15:16], -v[27:28]
	v_ldexp_f64 v[27:28], v[33:34], -2
	v_add_f64 v[19:20], v[33:34], -v[19:20]
	v_add_f64 v[21:22], v[21:22], -v[31:32]
	v_add_f64 v[31:32], v[35:36], v[17:18]
	v_cmp_neq_f64_e64 vcc_lo, 0x7ff00000, |v[27:28]|
	v_add_f64 v[19:20], v[23:24], -v[19:20]
	v_add_f64 v[15:16], v[15:16], v[21:22]
	v_fract_f64_e32 v[21:22], v[27:28]
	v_add_f64 v[23:24], v[31:32], v[15:16]
	v_ldexp_f64 v[21:22], v[21:22], 2
	v_add_f64 v[27:28], v[19:20], v[23:24]
	v_cndmask_b32_e32 v22, 0, v22, vcc_lo
	v_cndmask_b32_e32 v21, 0, v21, vcc_lo
	v_add_f64 v[33:34], v[27:28], v[21:22]
	v_add_f64 v[19:20], v[27:28], -v[19:20]
	v_cmp_gt_f64_e32 vcc_lo, 0, v[33:34]
	v_add_f64 v[33:34], v[31:32], -v[35:36]
	v_add_f64 v[19:20], v[23:24], -v[19:20]
	v_cndmask_b32_e64 v38, 0, 0x40100000, vcc_lo
	v_add_f64 v[42:43], v[31:32], -v[33:34]
	v_add_f64 v[17:18], v[17:18], -v[33:34]
	v_add_f64 v[21:22], v[21:22], v[37:38]
	v_add_f64 v[38:39], v[23:24], -v[31:32]
	v_add_f64 v[33:34], v[35:36], -v[42:43]
	v_add_f64 v[40:41], v[27:28], v[21:22]
	;; [unrolled: 3-line block ×3, first 2 shown]
	v_cvt_i32_f64_e32 v40, v[40:41]
	v_add_f64 v[31:32], v[31:32], -v[44:45]
	v_cvt_f64_i32_e32 v[38:39], v40
	v_add_f64 v[15:16], v[15:16], v[31:32]
	v_add_f64 v[21:22], v[21:22], -v[38:39]
	v_add_f64 v[15:16], v[17:18], v[15:16]
	v_add_f64 v[17:18], v[27:28], v[21:22]
	;; [unrolled: 1-line block ×3, first 2 shown]
	v_add_f64 v[15:16], v[17:18], -v[21:22]
	v_cmp_le_f64_e32 vcc_lo, 0.5, v[17:18]
	v_add_f64 v[13:14], v[19:20], v[13:14]
	v_add_f64 v[15:16], v[27:28], -v[15:16]
	v_cndmask_b32_e64 v38, 0, 0x3ff00000, vcc_lo
	v_add_co_ci_u32_e64 v27, null, 0, v40, vcc_lo
	v_add_f64 v[13:14], v[13:14], v[15:16]
	v_add_f64 v[15:16], v[17:18], -v[37:38]
	v_add_f64 v[17:18], v[15:16], v[13:14]
	v_mul_f64 v[19:20], v[17:18], s[2:3]
	v_add_f64 v[15:16], v[17:18], -v[15:16]
	v_fma_f64 v[21:22], v[17:18], s[2:3], -v[19:20]
	v_add_f64 v[13:14], v[13:14], -v[15:16]
	v_fma_f64 v[15:16], v[17:18], s[4:5], v[21:22]
	v_fma_f64 v[15:16], v[13:14], s[2:3], v[15:16]
	v_add_f64 v[13:14], v[19:20], v[15:16]
	v_add_f64 v[17:18], v[13:14], -v[19:20]
	v_add_f64 v[15:16], v[15:16], -v[17:18]
.LBB2_7:
	s_andn2_saveexec_b32 s0, s0
	s_cbranch_execz .LBB2_9
; %bb.8:
	s_mov_b32 s2, 0x6dc9c883
	s_mov_b32 s3, 0x3fe45f30
	s_mov_b32 s5, 0xbc91a626
	v_mul_f64 v[13:14], |v[7:8]|, s[2:3]
	s_mov_b32 s2, 0x54442d18
	s_mov_b32 s3, 0xbff921fb
	;; [unrolled: 1-line block ×3, first 2 shown]
	v_rndne_f64_e32 v[17:18], v[13:14]
	v_fma_f64 v[13:14], v[17:18], s[2:3], |v[7:8]|
	v_mul_f64 v[15:16], v[17:18], s[4:5]
	s_mov_b32 s2, 0x252049c0
	s_mov_b32 s3, 0xb97b839a
	v_cvt_i32_f64_e32 v27, v[17:18]
	v_fma_f64 v[21:22], v[17:18], s[4:5], v[13:14]
	v_add_f64 v[19:20], v[13:14], v[15:16]
	s_mov_b32 s5, 0x3c91a626
	v_add_f64 v[13:14], v[13:14], -v[19:20]
	v_add_f64 v[19:20], v[19:20], -v[21:22]
	v_add_f64 v[13:14], v[13:14], v[15:16]
	v_fma_f64 v[15:16], v[17:18], s[4:5], v[15:16]
	v_add_f64 v[13:14], v[19:20], v[13:14]
	v_add_f64 v[13:14], v[13:14], -v[15:16]
	v_fma_f64 v[15:16], v[17:18], s[2:3], v[13:14]
	v_add_f64 v[13:14], v[21:22], v[15:16]
	v_add_f64 v[19:20], v[13:14], -v[21:22]
	v_add_f64 v[15:16], v[15:16], -v[19:20]
.LBB2_9:
	s_or_b32 exec_lo, exec_lo, s0
	s_waitcnt vmcnt(0)
	v_cmp_ngt_f64_e64 s0, 0x41d00000, |v[1:2]|
                                        ; implicit-def: $vgpr28
                                        ; implicit-def: $vgpr17_vgpr18
                                        ; implicit-def: $vgpr19_vgpr20
	s_and_saveexec_b32 s1, s0
	s_xor_b32 s0, exec_lo, s1
	s_cbranch_execz .LBB2_11
; %bb.10:
	v_ldexp_f64 v[17:18], |v[1:2]|, 0xffffff80
	v_cmp_le_f64_e64 vcc_lo, 0x7b000000, |v[1:2]|
	v_trig_preop_f64 v[19:20], |v[1:2]|, 0
	v_and_b32_e32 v21, 0x7fffffff, v2
	v_trig_preop_f64 v[34:35], |v[1:2]|, 2
	v_mov_b32_e32 v42, 0
	s_mov_b32 s2, 0x54442d18
	s_mov_b32 s3, 0x3ff921fb
	s_mov_b32 s4, 0x33145c07
	s_mov_b32 s5, 0x3c91a626
	v_cndmask_b32_e32 v18, v21, v18, vcc_lo
	v_cndmask_b32_e32 v17, v1, v17, vcc_lo
	v_trig_preop_f64 v[21:22], |v[1:2]|, 1
	v_mul_f64 v[23:24], v[19:20], v[17:18]
	v_mul_f64 v[40:41], v[34:35], v[17:18]
	;; [unrolled: 1-line block ×3, first 2 shown]
	v_fma_f64 v[19:20], v[19:20], v[17:18], -v[23:24]
	v_fma_f64 v[21:22], v[21:22], v[17:18], -v[28:29]
	;; [unrolled: 1-line block ×3, first 2 shown]
	v_add_f64 v[30:31], v[28:29], v[19:20]
	v_add_f64 v[32:33], v[30:31], -v[28:29]
	v_add_f64 v[38:39], v[23:24], v[30:31]
	v_add_f64 v[36:37], v[30:31], -v[32:33]
	v_add_f64 v[19:20], v[19:20], -v[32:33]
	v_ldexp_f64 v[32:33], v[38:39], -2
	v_add_f64 v[23:24], v[38:39], -v[23:24]
	v_add_f64 v[28:29], v[28:29], -v[36:37]
	v_add_f64 v[36:37], v[40:41], v[21:22]
	v_cmp_neq_f64_e64 vcc_lo, 0x7ff00000, |v[32:33]|
	v_add_f64 v[23:24], v[30:31], -v[23:24]
	v_add_f64 v[19:20], v[19:20], v[28:29]
	v_fract_f64_e32 v[28:29], v[32:33]
	v_add_f64 v[30:31], v[36:37], v[19:20]
	v_ldexp_f64 v[28:29], v[28:29], 2
	v_add_f64 v[32:33], v[23:24], v[30:31]
	v_cndmask_b32_e32 v29, 0, v29, vcc_lo
	v_cndmask_b32_e32 v28, 0, v28, vcc_lo
	v_add_f64 v[38:39], v[32:33], v[28:29]
	v_add_f64 v[23:24], v[32:33], -v[23:24]
	v_cmp_gt_f64_e32 vcc_lo, 0, v[38:39]
	v_add_f64 v[38:39], v[36:37], -v[40:41]
	v_add_f64 v[23:24], v[30:31], -v[23:24]
	v_cndmask_b32_e64 v43, 0, 0x40100000, vcc_lo
	v_add_f64 v[47:48], v[36:37], -v[38:39]
	v_add_f64 v[21:22], v[21:22], -v[38:39]
	v_add_f64 v[28:29], v[28:29], v[42:43]
	v_add_f64 v[43:44], v[30:31], -v[36:37]
	v_add_f64 v[38:39], v[40:41], -v[47:48]
	v_add_f64 v[45:46], v[32:33], v[28:29]
	v_add_f64 v[49:50], v[30:31], -v[43:44]
	v_add_f64 v[19:20], v[19:20], -v[43:44]
	v_add_f64 v[21:22], v[21:22], v[38:39]
	v_cvt_i32_f64_e32 v45, v[45:46]
	v_add_f64 v[36:37], v[36:37], -v[49:50]
	v_cvt_f64_i32_e32 v[43:44], v45
	v_add_f64 v[19:20], v[19:20], v[36:37]
	v_add_f64 v[28:29], v[28:29], -v[43:44]
	v_add_f64 v[19:20], v[21:22], v[19:20]
	v_add_f64 v[21:22], v[32:33], v[28:29]
	;; [unrolled: 1-line block ×3, first 2 shown]
	v_add_f64 v[19:20], v[21:22], -v[28:29]
	v_cmp_le_f64_e32 vcc_lo, 0.5, v[21:22]
	v_add_f64 v[17:18], v[23:24], v[17:18]
	v_add_f64 v[19:20], v[32:33], -v[19:20]
	v_cndmask_b32_e64 v43, 0, 0x3ff00000, vcc_lo
	v_add_co_ci_u32_e64 v28, null, 0, v45, vcc_lo
	v_add_f64 v[17:18], v[17:18], v[19:20]
	v_add_f64 v[19:20], v[21:22], -v[42:43]
	v_add_f64 v[21:22], v[19:20], v[17:18]
	v_mul_f64 v[23:24], v[21:22], s[2:3]
	v_add_f64 v[19:20], v[21:22], -v[19:20]
	v_fma_f64 v[29:30], v[21:22], s[2:3], -v[23:24]
	v_add_f64 v[17:18], v[17:18], -v[19:20]
	v_fma_f64 v[19:20], v[21:22], s[4:5], v[29:30]
	v_fma_f64 v[19:20], v[17:18], s[2:3], v[19:20]
	v_add_f64 v[17:18], v[23:24], v[19:20]
	v_add_f64 v[21:22], v[17:18], -v[23:24]
	v_add_f64 v[19:20], v[19:20], -v[21:22]
.LBB2_11:
	s_andn2_saveexec_b32 s0, s0
	s_cbranch_execz .LBB2_13
; %bb.12:
	s_mov_b32 s2, 0x6dc9c883
	s_mov_b32 s3, 0x3fe45f30
	;; [unrolled: 1-line block ×3, first 2 shown]
	v_mul_f64 v[17:18], |v[1:2]|, s[2:3]
	s_mov_b32 s2, 0x54442d18
	s_mov_b32 s3, 0xbff921fb
	;; [unrolled: 1-line block ×3, first 2 shown]
	v_rndne_f64_e32 v[21:22], v[17:18]
	v_fma_f64 v[17:18], v[21:22], s[2:3], |v[1:2]|
	v_mul_f64 v[19:20], v[21:22], s[4:5]
	s_mov_b32 s2, 0x252049c0
	s_mov_b32 s3, 0xb97b839a
	v_fma_f64 v[28:29], v[21:22], s[4:5], v[17:18]
	v_add_f64 v[23:24], v[17:18], v[19:20]
	s_mov_b32 s5, 0x3c91a626
	v_add_f64 v[17:18], v[17:18], -v[23:24]
	v_add_f64 v[23:24], v[23:24], -v[28:29]
	v_add_f64 v[17:18], v[17:18], v[19:20]
	v_fma_f64 v[19:20], v[21:22], s[4:5], v[19:20]
	v_add_f64 v[17:18], v[23:24], v[17:18]
	v_add_f64 v[17:18], v[17:18], -v[19:20]
	v_fma_f64 v[19:20], v[21:22], s[2:3], v[17:18]
	v_add_f64 v[17:18], v[28:29], v[19:20]
	v_add_f64 v[23:24], v[17:18], -v[28:29]
	v_cvt_i32_f64_e32 v28, v[21:22]
	v_add_f64 v[19:20], v[19:20], -v[23:24]
.LBB2_13:
	s_or_b32 exec_lo, exec_lo, s0
	v_cmp_ngt_f64_e64 s0, 0x41d00000, |v[3:4]|
                                        ; implicit-def: $vgpr29
                                        ; implicit-def: $vgpr21_vgpr22
                                        ; implicit-def: $vgpr23_vgpr24
	s_and_saveexec_b32 s1, s0
	s_xor_b32 s0, exec_lo, s1
	s_cbranch_execz .LBB2_15
; %bb.14:
	v_ldexp_f64 v[21:22], |v[3:4]|, 0xffffff80
	v_cmp_le_f64_e64 vcc_lo, 0x7b000000, |v[3:4]|
	v_trig_preop_f64 v[23:24], |v[3:4]|, 0
	v_and_b32_e32 v29, 0x7fffffff, v4
	v_trig_preop_f64 v[39:40], |v[3:4]|, 2
	v_mov_b32_e32 v47, 0
	s_mov_b32 s2, 0x54442d18
	s_mov_b32 s3, 0x3ff921fb
	;; [unrolled: 1-line block ×4, first 2 shown]
	v_cndmask_b32_e32 v22, v29, v22, vcc_lo
	v_cndmask_b32_e32 v21, v3, v21, vcc_lo
	v_trig_preop_f64 v[29:30], |v[3:4]|, 1
	v_mul_f64 v[31:32], v[23:24], v[21:22]
	v_mul_f64 v[45:46], v[39:40], v[21:22]
	;; [unrolled: 1-line block ×3, first 2 shown]
	v_fma_f64 v[23:24], v[23:24], v[21:22], -v[31:32]
	v_fma_f64 v[29:30], v[29:30], v[21:22], -v[33:34]
	;; [unrolled: 1-line block ×3, first 2 shown]
	v_add_f64 v[35:36], v[33:34], v[23:24]
	v_add_f64 v[37:38], v[35:36], -v[33:34]
	v_add_f64 v[43:44], v[31:32], v[35:36]
	v_add_f64 v[41:42], v[35:36], -v[37:38]
	v_add_f64 v[23:24], v[23:24], -v[37:38]
	v_ldexp_f64 v[37:38], v[43:44], -2
	v_add_f64 v[31:32], v[43:44], -v[31:32]
	v_add_f64 v[33:34], v[33:34], -v[41:42]
	v_add_f64 v[41:42], v[45:46], v[29:30]
	v_cmp_neq_f64_e64 vcc_lo, 0x7ff00000, |v[37:38]|
	v_add_f64 v[31:32], v[35:36], -v[31:32]
	v_add_f64 v[23:24], v[23:24], v[33:34]
	v_fract_f64_e32 v[33:34], v[37:38]
	v_add_f64 v[35:36], v[41:42], v[23:24]
	v_ldexp_f64 v[33:34], v[33:34], 2
	v_add_f64 v[37:38], v[31:32], v[35:36]
	v_cndmask_b32_e32 v34, 0, v34, vcc_lo
	v_cndmask_b32_e32 v33, 0, v33, vcc_lo
	v_add_f64 v[43:44], v[37:38], v[33:34]
	v_add_f64 v[31:32], v[37:38], -v[31:32]
	v_cmp_gt_f64_e32 vcc_lo, 0, v[43:44]
	v_add_f64 v[43:44], v[41:42], -v[45:46]
	v_cndmask_b32_e64 v48, 0, 0x40100000, vcc_lo
	v_add_f64 v[52:53], v[41:42], -v[43:44]
	v_add_f64 v[29:30], v[29:30], -v[43:44]
	v_add_f64 v[33:34], v[33:34], v[47:48]
	v_add_f64 v[48:49], v[35:36], -v[41:42]
	v_add_f64 v[43:44], v[45:46], -v[52:53]
	v_add_f64 v[50:51], v[37:38], v[33:34]
	;; [unrolled: 3-line block ×3, first 2 shown]
	v_cvt_i32_f64_e32 v50, v[50:51]
	v_add_f64 v[41:42], v[41:42], -v[54:55]
	v_cvt_f64_i32_e32 v[48:49], v50
	v_add_f64 v[23:24], v[23:24], v[41:42]
	v_add_f64 v[33:34], v[33:34], -v[48:49]
	v_add_f64 v[23:24], v[29:30], v[23:24]
	v_add_f64 v[29:30], v[35:36], -v[31:32]
	v_add_f64 v[39:40], v[37:38], v[33:34]
	v_add_f64 v[21:22], v[21:22], v[23:24]
	v_add_f64 v[23:24], v[39:40], -v[33:34]
	v_cmp_le_f64_e32 vcc_lo, 0.5, v[39:40]
	v_add_f64 v[21:22], v[29:30], v[21:22]
	v_add_f64 v[23:24], v[37:38], -v[23:24]
	v_cndmask_b32_e64 v48, 0, 0x3ff00000, vcc_lo
	v_add_co_ci_u32_e64 v29, null, 0, v50, vcc_lo
	v_add_f64 v[21:22], v[21:22], v[23:24]
	v_add_f64 v[23:24], v[39:40], -v[47:48]
	v_add_f64 v[30:31], v[23:24], v[21:22]
	v_mul_f64 v[32:33], v[30:31], s[2:3]
	v_add_f64 v[23:24], v[30:31], -v[23:24]
	v_fma_f64 v[34:35], v[30:31], s[2:3], -v[32:33]
	v_add_f64 v[21:22], v[21:22], -v[23:24]
	v_fma_f64 v[23:24], v[30:31], s[4:5], v[34:35]
	v_fma_f64 v[23:24], v[21:22], s[2:3], v[23:24]
	v_add_f64 v[21:22], v[32:33], v[23:24]
	v_add_f64 v[30:31], v[21:22], -v[32:33]
	v_add_f64 v[23:24], v[23:24], -v[30:31]
.LBB2_15:
	s_andn2_saveexec_b32 s0, s0
	s_cbranch_execz .LBB2_17
; %bb.16:
	s_mov_b32 s2, 0x6dc9c883
	s_mov_b32 s3, 0x3fe45f30
	;; [unrolled: 1-line block ×3, first 2 shown]
	v_mul_f64 v[21:22], |v[3:4]|, s[2:3]
	s_mov_b32 s2, 0x54442d18
	s_mov_b32 s3, 0xbff921fb
	;; [unrolled: 1-line block ×3, first 2 shown]
	v_rndne_f64_e32 v[29:30], v[21:22]
	v_fma_f64 v[21:22], v[29:30], s[2:3], |v[3:4]|
	v_mul_f64 v[23:24], v[29:30], s[4:5]
	s_mov_b32 s2, 0x252049c0
	s_mov_b32 s3, 0xb97b839a
	v_fma_f64 v[33:34], v[29:30], s[4:5], v[21:22]
	v_add_f64 v[31:32], v[21:22], v[23:24]
	s_mov_b32 s5, 0x3c91a626
	v_add_f64 v[21:22], v[21:22], -v[31:32]
	v_add_f64 v[31:32], v[31:32], -v[33:34]
	v_add_f64 v[21:22], v[21:22], v[23:24]
	v_fma_f64 v[23:24], v[29:30], s[4:5], v[23:24]
	v_add_f64 v[21:22], v[31:32], v[21:22]
	v_add_f64 v[21:22], v[21:22], -v[23:24]
	v_fma_f64 v[23:24], v[29:30], s[2:3], v[21:22]
	v_cvt_i32_f64_e32 v29, v[29:30]
	v_add_f64 v[21:22], v[33:34], v[23:24]
	v_add_f64 v[31:32], v[21:22], -v[33:34]
	v_add_f64 v[23:24], v[23:24], -v[31:32]
.LBB2_17:
	s_or_b32 exec_lo, exec_lo, s0
	v_mul_f64 v[30:31], v[17:18], v[17:18]
	v_mul_f64 v[32:33], v[13:14], v[13:14]
	s_mov_b32 s4, 0xb42fdfa7
	s_mov_b32 s6, 0xf9a43bb8
	;; [unrolled: 1-line block ×20, first 2 shown]
	v_fma_f64 v[34:35], v[30:31], s[6:7], s[4:5]
	v_mul_f64 v[36:37], v[30:31], 0.5
	v_fma_f64 v[38:39], v[32:33], s[6:7], s[4:5]
	v_fma_f64 v[40:41], v[30:31], s[2:3], s[0:1]
	v_mul_f64 v[42:43], v[32:33], 0.5
	v_fma_f64 v[48:49], v[32:33], s[2:3], s[0:1]
	v_mul_f64 v[52:53], v[19:20], 0.5
	v_mul_f64 v[54:55], v[15:16], 0.5
	v_mul_f64 v[58:59], v[17:18], -v[30:31]
	s_mov_b32 s26, 0x55555555
	s_mov_b32 s27, 0xbfc55555
	;; [unrolled: 1-line block ×4, first 2 shown]
	v_mul_f64 v[60:61], v[23:24], 0.5
	v_fma_f64 v[34:35], v[30:31], v[34:35], s[18:19]
	v_add_f64 v[44:45], -v[36:37], 1.0
	v_fma_f64 v[38:39], v[32:33], v[38:39], s[18:19]
	v_fma_f64 v[40:41], v[30:31], v[40:41], s[16:17]
	v_add_f64 v[46:47], -v[42:43], 1.0
	v_fma_f64 v[48:49], v[32:33], v[48:49], s[16:17]
	;; [unrolled: 3-line block ×4, first 2 shown]
	v_fma_f64 v[34:35], v[30:31], v[34:35], s[30:31]
	v_add_f64 v[36:37], v[50:51], -v[36:37]
	v_mul_f64 v[50:51], v[13:14], -v[32:33]
	v_fma_f64 v[38:39], v[32:33], v[38:39], s[30:31]
	v_fma_f64 v[40:41], v[30:31], v[40:41], s[24:25]
	v_add_f64 v[42:43], v[56:57], -v[42:43]
	v_mul_f64 v[56:57], v[9:10], v[9:10]
	v_fma_f64 v[48:49], v[32:33], v[48:49], s[24:25]
	v_fma_f64 v[34:35], v[58:59], v[34:35], v[52:53]
	v_mul_f64 v[52:53], v[21:22], v[21:22]
	v_fma_f64 v[36:37], v[17:18], -v[19:20], v[36:37]
	v_fma_f64 v[38:39], v[50:51], v[38:39], v[54:55]
	v_mul_f64 v[54:55], v[30:31], v[30:31]
	v_fma_f64 v[40:41], v[30:31], v[40:41], s[28:29]
	v_fma_f64 v[42:43], v[13:14], -v[15:16], v[42:43]
	v_fma_f64 v[48:49], v[32:33], v[48:49], s[28:29]
	v_fma_f64 v[19:20], v[30:31], v[34:35], -v[19:20]
	v_mul_f64 v[30:31], v[56:57], 0.5
	v_mul_f64 v[34:35], v[52:53], 0.5
	v_fma_f64 v[15:16], v[32:33], v[38:39], -v[15:16]
	v_mul_f64 v[62:63], v[21:22], -v[52:53]
	v_fma_f64 v[36:37], v[54:55], v[40:41], v[36:37]
	v_fma_f64 v[40:41], v[56:57], s[6:7], s[4:5]
	v_mul_f64 v[54:55], v[32:33], v[32:33]
	v_fma_f64 v[19:20], v[58:59], s[26:27], v[19:20]
	v_add_f64 v[32:33], -v[30:31], 1.0
	v_add_f64 v[38:39], -v[34:35], 1.0
	v_fma_f64 v[15:16], v[50:51], s[26:27], v[15:16]
	v_add_f64 v[36:37], v[44:45], v[36:37]
	v_fma_f64 v[40:41], v[56:57], v[40:41], s[18:19]
	v_fma_f64 v[42:43], v[54:55], v[48:49], v[42:43]
	v_add_f64 v[17:18], v[17:18], -v[19:20]
	v_add_f64 v[48:49], -v[32:33], 1.0
	v_add_f64 v[54:55], -v[38:39], 1.0
	v_add_f64 v[13:14], v[13:14], -v[15:16]
	v_fma_f64 v[40:41], v[56:57], v[40:41], s[22:23]
	v_add_f64 v[19:20], v[46:47], v[42:43]
	v_add_f64 v[30:31], v[48:49], -v[30:31]
	v_mul_f64 v[48:49], v[11:12], 0.5
	v_add_f64 v[34:35], v[54:55], -v[34:35]
	v_mul_f64 v[54:55], v[9:10], -v[56:57]
	v_fma_f64 v[40:41], v[56:57], v[40:41], s[30:31]
	v_fma_f64 v[30:31], v[9:10], -v[11:12], v[30:31]
	v_fma_f64 v[34:35], v[21:22], -v[23:24], v[34:35]
	v_fma_f64 v[40:41], v[54:55], v[40:41], v[48:49]
	v_fma_f64 v[48:49], v[52:53], s[6:7], s[4:5]
	v_cmp_class_f64_e64 s4, v[5:6], 0x1f8
	v_cmp_class_f64_e64 s6, v[3:4], 0x1f8
	v_fma_f64 v[11:12], v[56:57], v[40:41], -v[11:12]
	v_fma_f64 v[48:49], v[52:53], v[48:49], s[18:19]
	v_fma_f64 v[40:41], v[56:57], s[2:3], s[0:1]
	;; [unrolled: 1-line block ×5, first 2 shown]
	v_add_f64 v[9:10], v[9:10], -v[11:12]
	v_fma_f64 v[48:49], v[52:53], v[48:49], s[30:31]
	v_fma_f64 v[40:41], v[56:57], v[40:41], s[20:21]
	v_fma_f64 v[48:49], v[62:63], v[48:49], v[60:61]
	v_fma_f64 v[40:41], v[56:57], v[40:41], s[24:25]
	v_fma_f64 v[23:24], v[52:53], v[48:49], -v[23:24]
	v_fma_f64 v[48:49], v[52:53], s[2:3], s[0:1]
	v_fma_f64 v[40:41], v[56:57], v[40:41], s[28:29]
	v_mul_f64 v[56:57], v[56:57], v[56:57]
	v_cmp_class_f64_e64 s2, v[7:8], 0x1f8
	v_cmp_class_f64_e64 s0, v[1:2], 0x1f8
	v_fma_f64 v[23:24], v[62:63], s[26:27], v[23:24]
	v_fma_f64 v[48:49], v[52:53], v[48:49], s[16:17]
	;; [unrolled: 1-line block ×3, first 2 shown]
	v_add_f64 v[21:22], v[21:22], -v[23:24]
	v_fma_f64 v[48:49], v[52:53], v[48:49], s[20:21]
	v_and_b32_e32 v23, 1, v28
	v_add_f64 v[15:16], v[32:33], v[30:31]
	v_lshlrev_b32_e32 v24, 30, v28
	v_and_b32_e32 v28, 1, v27
	v_lshlrev_b32_e32 v27, 30, v27
	v_and_b32_e32 v30, 1, v26
	;; [unrolled: 2-line block ×3, first 2 shown]
	v_lshlrev_b32_e32 v29, 30, v29
	v_xor_b32_e32 v27, v27, v8
	v_cmp_eq_u32_e64 s1, 0, v28
	v_cmp_eq_u32_e64 s3, 0, v30
	v_xor_b32_e32 v1, v26, v6
	v_xor_b32_e32 v24, v24, v2
	v_cmp_eq_u32_e32 vcc_lo, 0, v23
	v_cmp_eq_u32_e64 s5, 0, v31
	v_xor_b32_e32 v3, v29, v4
	v_and_b32_e32 v5, 0x80000000, v27
	v_and_b32_e32 v6, 0x80000000, v1
	v_cndmask_b32_e64 v7, v20, v14, s1
	v_and_b32_e32 v4, 0x80000000, v24
	v_fma_f64 v[48:49], v[52:53], v[48:49], s[24:25]
	v_cndmask_b32_e32 v1, v37, v18, vcc_lo
	v_cndmask_b32_e64 v10, v16, v10, s3
	v_cndmask_b32_e64 v8, v15, v9, s3
	v_and_b32_e32 v3, 0x80000000, v3
	v_cndmask_b32_e64 v2, v19, v13, s1
	v_cndmask_b32_e32 v17, v36, v17, vcc_lo
	v_xor_b32_e32 v6, v10, v6
	v_xor_b32_e32 v4, v1, v4
	v_cndmask_b32_e64 v1, 0, v17, s0
	v_cndmask_b32_e64 v6, 0x7ff80000, v6, s4
	v_fma_f64 v[48:49], v[52:53], v[48:49], s[28:29]
	v_mul_f64 v[52:53], v[52:53], v[52:53]
	v_fma_f64 v[34:35], v[52:53], v[48:49], v[34:35]
	v_add_f64 v[11:12], v[38:39], v[34:35]
	v_cndmask_b32_e64 v9, v11, v21, s5
	v_cndmask_b32_e64 v11, v12, v22, s5
	v_xor_b32_e32 v12, v7, v5
	v_cndmask_b32_e64 v7, 0, v2, s2
	v_cndmask_b32_e64 v5, 0, v8, s4
	v_cndmask_b32_e64 v2, 0x7ff80000, v4, s0
	v_xor_b32_e32 v10, v11, v3
	v_cndmask_b32_e64 v8, 0x7ff80000, v12, s2
	v_cndmask_b32_e64 v3, 0, v9, s6
	s_add_u32 s2, s8, s14
	s_addc_u32 s3, s9, s15
	v_cndmask_b32_e64 v4, 0x7ff80000, v10, s6
	s_mov_b32 s0, 0
	global_store_dwordx4 v25, v[5:8], s[2:3]
	global_store_dwordx4 v25, v[1:4], s[2:3] offset:16
.LBB2_18:
	s_and_b32 vcc_lo, exec_lo, s0
	s_cbranch_vccz .LBB2_51
; %bb.19:
	v_mov_b32_e32 v12, 0
	v_mov_b32_e32 v16, 0
	v_cmp_gt_i32_e32 vcc_lo, s33, v0
	v_mov_b32_e32 v13, 0
	v_or_b32_e32 v1, s12, v0
	v_or_b32_e32 v18, 0x100, v0
	v_mov_b32_e32 v17, 0
	v_mov_b32_e32 v4, v0
	s_and_saveexec_b32 s1, vcc_lo
	s_cbranch_execz .LBB2_21
; %bb.20:
	v_mov_b32_e32 v2, 0
	v_or_b32_e32 v4, 0x100, v0
	v_lshlrev_b64 v[2:3], 3, v[1:2]
	v_add_co_u32 v2, s0, s10, v2
	v_add_co_ci_u32_e64 v3, null, s11, v3, s0
	global_load_dwordx2 v[16:17], v[2:3], off
.LBB2_21:
	s_or_b32 exec_lo, exec_lo, s1
	s_mov_b32 s1, exec_lo
	v_cmpx_gt_i32_e64 s33, v4
	s_cbranch_execz .LBB2_23
; %bb.22:
	v_add_nc_u32_e32 v2, s12, v4
	v_mov_b32_e32 v3, 0
	v_add_nc_u32_e32 v4, 0x100, v4
	v_lshlrev_b64 v[2:3], 3, v[2:3]
	v_add_co_u32 v2, s0, s10, v2
	v_add_co_ci_u32_e64 v3, null, s11, v3, s0
	global_load_dwordx2 v[12:13], v[2:3], off
.LBB2_23:
	s_or_b32 exec_lo, exec_lo, s1
	v_mov_b32_e32 v2, 0
	v_mov_b32_e32 v6, 0
	;; [unrolled: 1-line block ×4, first 2 shown]
	s_mov_b32 s1, exec_lo
	v_cmpx_gt_i32_e64 s33, v4
	s_cbranch_execz .LBB2_25
; %bb.24:
	v_add_nc_u32_e32 v5, s12, v4
	v_mov_b32_e32 v6, 0
	v_add_nc_u32_e32 v4, 0x100, v4
	v_lshlrev_b64 v[5:6], 3, v[5:6]
	v_add_co_u32 v5, s0, s10, v5
	v_add_co_ci_u32_e64 v6, null, s11, v6, s0
	global_load_dwordx2 v[6:7], v[5:6], off
.LBB2_25:
	s_or_b32 exec_lo, exec_lo, s1
	s_mov_b32 s1, exec_lo
	v_cmpx_gt_i32_e64 s33, v4
	s_cbranch_execz .LBB2_27
; %bb.26:
	v_add_nc_u32_e32 v2, s12, v4
	v_mov_b32_e32 v3, 0
	v_lshlrev_b64 v[2:3], 3, v[2:3]
	v_add_co_u32 v2, s0, s10, v2
	v_add_co_ci_u32_e64 v3, null, s11, v3, s0
	global_load_dwordx2 v[2:3], v[2:3], off
.LBB2_27:
	s_or_b32 exec_lo, exec_lo, s1
	v_mov_b32_e32 v4, 0
	v_mov_b32_e32 v5, v4
	;; [unrolled: 1-line block ×8, first 2 shown]
	s_and_saveexec_b32 s2, vcc_lo
	s_cbranch_execz .LBB2_33
; %bb.28:
	s_mov_b32 s1, exec_lo
                                        ; implicit-def: $vgpr10
                                        ; implicit-def: $vgpr4_vgpr5
                                        ; implicit-def: $vgpr8_vgpr9
	s_waitcnt vmcnt(0)
	v_cmpx_ngt_f64_e64 0x41d00000, |v[16:17]|
	s_xor_b32 s1, exec_lo, s1
	s_cbranch_execz .LBB2_30
; %bb.29:
	v_ldexp_f64 v[4:5], |v[16:17]|, 0xffffff80
	v_cmp_le_f64_e64 s0, 0x7b000000, |v[16:17]|
	v_trig_preop_f64 v[8:9], |v[16:17]|, 0
	v_and_b32_e32 v10, 0x7fffffff, v17
	v_trig_preop_f64 v[25:26], |v[16:17]|, 2
	v_mov_b32_e32 v33, 0
	s_mov_b32 s4, 0x54442d18
	s_mov_b32 s5, 0x3ff921fb
	;; [unrolled: 1-line block ×4, first 2 shown]
	v_cndmask_b32_e64 v5, v10, v5, s0
	v_cndmask_b32_e64 v4, v16, v4, s0
	v_trig_preop_f64 v[10:11], |v[16:17]|, 1
	v_mul_f64 v[14:15], v[8:9], v[4:5]
	v_mul_f64 v[31:32], v[25:26], v[4:5]
	;; [unrolled: 1-line block ×3, first 2 shown]
	v_fma_f64 v[8:9], v[8:9], v[4:5], -v[14:15]
	v_fma_f64 v[10:11], v[10:11], v[4:5], -v[19:20]
	;; [unrolled: 1-line block ×3, first 2 shown]
	v_add_f64 v[21:22], v[19:20], v[8:9]
	v_add_f64 v[23:24], v[21:22], -v[19:20]
	v_add_f64 v[29:30], v[14:15], v[21:22]
	v_add_f64 v[27:28], v[21:22], -v[23:24]
	v_add_f64 v[8:9], v[8:9], -v[23:24]
	v_ldexp_f64 v[23:24], v[29:30], -2
	v_add_f64 v[14:15], v[29:30], -v[14:15]
	v_add_f64 v[19:20], v[19:20], -v[27:28]
	v_add_f64 v[27:28], v[31:32], v[10:11]
	v_cmp_neq_f64_e64 s0, 0x7ff00000, |v[23:24]|
	v_add_f64 v[14:15], v[21:22], -v[14:15]
	v_add_f64 v[8:9], v[8:9], v[19:20]
	v_fract_f64_e32 v[19:20], v[23:24]
	v_add_f64 v[21:22], v[27:28], v[8:9]
	v_ldexp_f64 v[19:20], v[19:20], 2
	v_add_f64 v[23:24], v[14:15], v[21:22]
	v_cndmask_b32_e64 v20, 0, v20, s0
	v_cndmask_b32_e64 v19, 0, v19, s0
	v_add_f64 v[29:30], v[23:24], v[19:20]
	v_add_f64 v[14:15], v[23:24], -v[14:15]
	v_cmp_gt_f64_e64 s0, 0, v[29:30]
	v_add_f64 v[29:30], v[27:28], -v[31:32]
	v_cndmask_b32_e64 v34, 0, 0x40100000, s0
	v_add_f64 v[38:39], v[27:28], -v[29:30]
	v_add_f64 v[10:11], v[10:11], -v[29:30]
	v_add_f64 v[19:20], v[19:20], v[33:34]
	v_add_f64 v[34:35], v[21:22], -v[27:28]
	v_add_f64 v[29:30], v[31:32], -v[38:39]
	v_add_f64 v[36:37], v[23:24], v[19:20]
	;; [unrolled: 3-line block ×3, first 2 shown]
	v_cvt_i32_f64_e32 v36, v[36:37]
	v_add_f64 v[27:28], v[27:28], -v[40:41]
	v_cvt_f64_i32_e32 v[34:35], v36
	v_add_f64 v[8:9], v[8:9], v[27:28]
	v_add_f64 v[19:20], v[19:20], -v[34:35]
	v_add_f64 v[8:9], v[10:11], v[8:9]
	v_add_f64 v[10:11], v[21:22], -v[14:15]
	v_add_f64 v[25:26], v[23:24], v[19:20]
	v_add_f64 v[4:5], v[4:5], v[8:9]
	v_add_f64 v[8:9], v[25:26], -v[19:20]
	v_cmp_le_f64_e64 s0, 0.5, v[25:26]
	v_add_f64 v[4:5], v[10:11], v[4:5]
	v_add_f64 v[8:9], v[23:24], -v[8:9]
	v_cndmask_b32_e64 v34, 0, 0x3ff00000, s0
	v_add_co_ci_u32_e64 v10, null, 0, v36, s0
	v_add_f64 v[4:5], v[4:5], v[8:9]
	v_add_f64 v[8:9], v[25:26], -v[33:34]
	v_add_f64 v[14:15], v[8:9], v[4:5]
	v_mul_f64 v[19:20], v[14:15], s[4:5]
	v_add_f64 v[8:9], v[14:15], -v[8:9]
	v_fma_f64 v[21:22], v[14:15], s[4:5], -v[19:20]
	v_add_f64 v[4:5], v[4:5], -v[8:9]
	v_fma_f64 v[8:9], v[14:15], s[6:7], v[21:22]
	v_fma_f64 v[8:9], v[4:5], s[4:5], v[8:9]
	v_add_f64 v[4:5], v[19:20], v[8:9]
	v_add_f64 v[14:15], v[4:5], -v[19:20]
	v_add_f64 v[8:9], v[8:9], -v[14:15]
.LBB2_30:
	s_andn2_saveexec_b32 s0, s1
	s_cbranch_execz .LBB2_32
; %bb.31:
	s_mov_b32 s4, 0x6dc9c883
	s_mov_b32 s5, 0x3fe45f30
	;; [unrolled: 1-line block ×3, first 2 shown]
	v_mul_f64 v[4:5], |v[16:17]|, s[4:5]
	s_mov_b32 s4, 0x54442d18
	s_mov_b32 s5, 0xbff921fb
	;; [unrolled: 1-line block ×3, first 2 shown]
	v_rndne_f64_e32 v[10:11], v[4:5]
	v_fma_f64 v[4:5], v[10:11], s[4:5], |v[16:17]|
	v_mul_f64 v[8:9], v[10:11], s[6:7]
	s_mov_b32 s4, 0x252049c0
	s_mov_b32 s5, 0xb97b839a
	v_fma_f64 v[19:20], v[10:11], s[6:7], v[4:5]
	v_add_f64 v[14:15], v[4:5], v[8:9]
	s_mov_b32 s7, 0x3c91a626
	v_add_f64 v[4:5], v[4:5], -v[14:15]
	v_add_f64 v[14:15], v[14:15], -v[19:20]
	v_add_f64 v[4:5], v[4:5], v[8:9]
	v_fma_f64 v[8:9], v[10:11], s[6:7], v[8:9]
	v_add_f64 v[4:5], v[14:15], v[4:5]
	v_add_f64 v[4:5], v[4:5], -v[8:9]
	v_fma_f64 v[8:9], v[10:11], s[4:5], v[4:5]
	v_cvt_i32_f64_e32 v10, v[10:11]
	v_add_f64 v[4:5], v[19:20], v[8:9]
	v_add_f64 v[14:15], v[4:5], -v[19:20]
	v_add_f64 v[8:9], v[8:9], -v[14:15]
.LBB2_32:
	s_or_b32 exec_lo, exec_lo, s0
	v_mul_f64 v[14:15], v[4:5], v[4:5]
	s_mov_b32 s0, 0xb42fdfa7
	s_mov_b32 s4, 0xf9a43bb8
	;; [unrolled: 1-line block ×6, first 2 shown]
	v_mul_f64 v[27:28], v[8:9], 0.5
	v_fma_f64 v[19:20], v[14:15], s[4:5], s[0:1]
	s_mov_b32 s0, 0x9037ab78
	s_mov_b32 s4, 0x46cc5e42
	s_mov_b32 s1, 0x3e21eeb6
	s_mov_b32 s5, 0xbda907db
	v_mul_f64 v[23:24], v[14:15], 0.5
	v_fma_f64 v[21:22], v[14:15], s[4:5], s[0:1]
	s_mov_b32 s0, 0xa17f65f6
	s_mov_b32 s4, 0x19e83e5c
	;; [unrolled: 1-line block ×4, first 2 shown]
	v_mul_f64 v[29:30], v[4:5], -v[14:15]
	v_fma_f64 v[19:20], v[14:15], v[19:20], s[6:7]
	v_add_f64 v[25:26], -v[23:24], 1.0
	v_fma_f64 v[21:22], v[14:15], v[21:22], s[0:1]
	s_mov_b32 s0, 0x19f4ec90
	s_mov_b32 s1, 0x3efa01a0
	v_fma_f64 v[19:20], v[14:15], v[19:20], s[4:5]
	s_mov_b32 s4, 0x11110bb3
	s_mov_b32 s5, 0x3f811111
	v_add_f64 v[31:32], -v[25:26], 1.0
	v_fma_f64 v[21:22], v[14:15], v[21:22], s[0:1]
	s_mov_b32 s0, 0x16c16967
	s_mov_b32 s1, 0xbf56c16c
	v_fma_f64 v[19:20], v[14:15], v[19:20], s[4:5]
	v_add_f64 v[23:24], v[31:32], -v[23:24]
	v_fma_f64 v[21:22], v[14:15], v[21:22], s[0:1]
	s_mov_b32 s1, 0x3fa55555
	s_mov_b32 s0, 0x55555555
	v_fma_f64 v[19:20], v[29:30], v[19:20], v[27:28]
	v_mul_f64 v[27:28], v[14:15], v[14:15]
	v_fma_f64 v[23:24], v[4:5], -v[8:9], v[23:24]
	v_fma_f64 v[21:22], v[14:15], v[21:22], s[0:1]
	s_mov_b32 s1, 0xbfc55555
	v_fma_f64 v[8:9], v[14:15], v[19:20], -v[8:9]
	v_fma_f64 v[14:15], v[27:28], v[21:22], v[23:24]
	v_fma_f64 v[8:9], v[29:30], s[0:1], v[8:9]
	v_cmp_class_f64_e64 s1, v[16:17], 0x1f8
	v_add_f64 v[14:15], v[25:26], v[14:15]
	v_add_f64 v[4:5], v[4:5], -v[8:9]
	v_and_b32_e32 v8, 1, v10
	v_cmp_eq_u32_e64 s0, 0, v8
	v_lshlrev_b32_e32 v8, 30, v10
	v_xor_b32_e32 v8, v8, v17
	v_and_b32_e32 v8, 0x80000000, v8
	v_cndmask_b32_e64 v5, v15, v5, s0
	v_cndmask_b32_e64 v4, v14, v4, s0
	v_mov_b32_e32 v14, 0
	v_xor_b32_e32 v5, v5, v8
	v_cndmask_b32_e64 v4, 0, v4, s1
	v_mov_b32_e32 v15, v14
	v_mov_b32_e32 v10, v14
	;; [unrolled: 1-line block ×4, first 2 shown]
	v_cndmask_b32_e64 v5, 0x7ff80000, v5, s1
	v_mov_b32_e32 v9, v14
.LBB2_33:
	s_or_b32 exec_lo, exec_lo, s2
	s_mov_b32 s1, exec_lo
	v_cmpx_gt_i32_e64 s33, v18
	s_cbranch_execz .LBB2_39
; %bb.34:
	s_mov_b32 s2, exec_lo
                                        ; implicit-def: $vgpr19
                                        ; implicit-def: $vgpr14_vgpr15
                                        ; implicit-def: $vgpr16_vgpr17
	s_waitcnt vmcnt(0)
	v_cmpx_ngt_f64_e64 0x41d00000, |v[12:13]|
	s_xor_b32 s2, exec_lo, s2
	s_cbranch_execz .LBB2_36
; %bb.35:
	v_ldexp_f64 v[14:15], |v[12:13]|, 0xffffff80
	v_cmp_le_f64_e64 s0, 0x7b000000, |v[12:13]|
	v_trig_preop_f64 v[16:17], |v[12:13]|, 0
	v_and_b32_e32 v19, 0x7fffffff, v13
	v_trig_preop_f64 v[29:30], |v[12:13]|, 2
	v_mov_b32_e32 v37, 0
	s_mov_b32 s4, 0x54442d18
	s_mov_b32 s5, 0x3ff921fb
	;; [unrolled: 1-line block ×4, first 2 shown]
	v_cndmask_b32_e64 v15, v19, v15, s0
	v_cndmask_b32_e64 v14, v12, v14, s0
	v_trig_preop_f64 v[19:20], |v[12:13]|, 1
	v_mul_f64 v[21:22], v[16:17], v[14:15]
	v_mul_f64 v[35:36], v[29:30], v[14:15]
	;; [unrolled: 1-line block ×3, first 2 shown]
	v_fma_f64 v[16:17], v[16:17], v[14:15], -v[21:22]
	v_fma_f64 v[19:20], v[19:20], v[14:15], -v[23:24]
	;; [unrolled: 1-line block ×3, first 2 shown]
	v_add_f64 v[25:26], v[23:24], v[16:17]
	v_add_f64 v[27:28], v[25:26], -v[23:24]
	v_add_f64 v[33:34], v[21:22], v[25:26]
	v_add_f64 v[31:32], v[25:26], -v[27:28]
	v_add_f64 v[16:17], v[16:17], -v[27:28]
	v_ldexp_f64 v[27:28], v[33:34], -2
	v_add_f64 v[21:22], v[33:34], -v[21:22]
	v_add_f64 v[23:24], v[23:24], -v[31:32]
	v_add_f64 v[31:32], v[35:36], v[19:20]
	v_cmp_neq_f64_e64 s0, 0x7ff00000, |v[27:28]|
	v_add_f64 v[21:22], v[25:26], -v[21:22]
	v_add_f64 v[16:17], v[16:17], v[23:24]
	v_fract_f64_e32 v[23:24], v[27:28]
	v_add_f64 v[25:26], v[31:32], v[16:17]
	v_ldexp_f64 v[23:24], v[23:24], 2
	v_add_f64 v[27:28], v[21:22], v[25:26]
	v_cndmask_b32_e64 v24, 0, v24, s0
	v_cndmask_b32_e64 v23, 0, v23, s0
	v_add_f64 v[33:34], v[27:28], v[23:24]
	v_add_f64 v[21:22], v[27:28], -v[21:22]
	v_cmp_gt_f64_e64 s0, 0, v[33:34]
	v_add_f64 v[33:34], v[31:32], -v[35:36]
	v_cndmask_b32_e64 v38, 0, 0x40100000, s0
	v_add_f64 v[42:43], v[31:32], -v[33:34]
	v_add_f64 v[19:20], v[19:20], -v[33:34]
	v_add_f64 v[23:24], v[23:24], v[37:38]
	v_add_f64 v[38:39], v[25:26], -v[31:32]
	v_add_f64 v[33:34], v[35:36], -v[42:43]
	v_add_f64 v[40:41], v[27:28], v[23:24]
	;; [unrolled: 3-line block ×3, first 2 shown]
	v_cvt_i32_f64_e32 v40, v[40:41]
	v_add_f64 v[31:32], v[31:32], -v[44:45]
	v_cvt_f64_i32_e32 v[38:39], v40
	v_add_f64 v[16:17], v[16:17], v[31:32]
	v_add_f64 v[23:24], v[23:24], -v[38:39]
	v_add_f64 v[16:17], v[19:20], v[16:17]
	v_add_f64 v[19:20], v[25:26], -v[21:22]
	v_add_f64 v[29:30], v[27:28], v[23:24]
	v_add_f64 v[14:15], v[14:15], v[16:17]
	v_add_f64 v[16:17], v[29:30], -v[23:24]
	v_cmp_le_f64_e64 s0, 0.5, v[29:30]
	v_add_f64 v[14:15], v[19:20], v[14:15]
	v_add_f64 v[16:17], v[27:28], -v[16:17]
	v_cndmask_b32_e64 v38, 0, 0x3ff00000, s0
	v_add_co_ci_u32_e64 v19, null, 0, v40, s0
	v_add_f64 v[14:15], v[14:15], v[16:17]
	v_add_f64 v[16:17], v[29:30], -v[37:38]
	v_add_f64 v[20:21], v[16:17], v[14:15]
	v_mul_f64 v[22:23], v[20:21], s[4:5]
	v_add_f64 v[16:17], v[20:21], -v[16:17]
	v_fma_f64 v[24:25], v[20:21], s[4:5], -v[22:23]
	v_add_f64 v[14:15], v[14:15], -v[16:17]
	v_fma_f64 v[16:17], v[20:21], s[6:7], v[24:25]
	v_fma_f64 v[16:17], v[14:15], s[4:5], v[16:17]
	v_add_f64 v[14:15], v[22:23], v[16:17]
	v_add_f64 v[20:21], v[14:15], -v[22:23]
	v_add_f64 v[16:17], v[16:17], -v[20:21]
.LBB2_36:
	s_andn2_saveexec_b32 s0, s2
	s_cbranch_execz .LBB2_38
; %bb.37:
	s_mov_b32 s2, 0x6dc9c883
	s_mov_b32 s3, 0x3fe45f30
	;; [unrolled: 1-line block ×3, first 2 shown]
	v_mul_f64 v[14:15], |v[12:13]|, s[2:3]
	s_mov_b32 s2, 0x54442d18
	s_mov_b32 s3, 0xbff921fb
	;; [unrolled: 1-line block ×3, first 2 shown]
	v_rndne_f64_e32 v[19:20], v[14:15]
	v_fma_f64 v[14:15], v[19:20], s[2:3], |v[12:13]|
	v_mul_f64 v[16:17], v[19:20], s[4:5]
	s_mov_b32 s2, 0x252049c0
	s_mov_b32 s3, 0xb97b839a
	v_fma_f64 v[23:24], v[19:20], s[4:5], v[14:15]
	v_add_f64 v[21:22], v[14:15], v[16:17]
	s_mov_b32 s5, 0x3c91a626
	v_add_f64 v[14:15], v[14:15], -v[21:22]
	v_add_f64 v[21:22], v[21:22], -v[23:24]
	v_add_f64 v[14:15], v[14:15], v[16:17]
	v_fma_f64 v[16:17], v[19:20], s[4:5], v[16:17]
	v_add_f64 v[14:15], v[21:22], v[14:15]
	v_add_f64 v[14:15], v[14:15], -v[16:17]
	v_fma_f64 v[16:17], v[19:20], s[2:3], v[14:15]
	v_cvt_i32_f64_e32 v19, v[19:20]
	v_add_f64 v[14:15], v[23:24], v[16:17]
	v_add_f64 v[21:22], v[14:15], -v[23:24]
	v_add_f64 v[16:17], v[16:17], -v[21:22]
.LBB2_38:
	s_or_b32 exec_lo, exec_lo, s0
	v_mul_f64 v[20:21], v[14:15], v[14:15]
	s_mov_b32 s2, 0xb42fdfa7
	s_mov_b32 s4, 0xf9a43bb8
	;; [unrolled: 1-line block ×6, first 2 shown]
	v_mul_f64 v[30:31], v[16:17], 0.5
	v_fma_f64 v[22:23], v[20:21], s[4:5], s[2:3]
	s_mov_b32 s2, 0x9037ab78
	s_mov_b32 s4, 0x46cc5e42
	;; [unrolled: 1-line block ×4, first 2 shown]
	v_mul_f64 v[26:27], v[20:21], 0.5
	v_fma_f64 v[24:25], v[20:21], s[4:5], s[2:3]
	s_mov_b32 s2, 0xa17f65f6
	s_mov_b32 s4, 0x19e83e5c
	;; [unrolled: 1-line block ×4, first 2 shown]
	v_mul_f64 v[32:33], v[14:15], -v[20:21]
	v_fma_f64 v[22:23], v[20:21], v[22:23], s[6:7]
	v_add_f64 v[28:29], -v[26:27], 1.0
	v_fma_f64 v[24:25], v[20:21], v[24:25], s[2:3]
	s_mov_b32 s2, 0x19f4ec90
	s_mov_b32 s3, 0x3efa01a0
	v_fma_f64 v[22:23], v[20:21], v[22:23], s[4:5]
	s_mov_b32 s4, 0x11110bb3
	s_mov_b32 s5, 0x3f811111
	v_add_f64 v[34:35], -v[28:29], 1.0
	v_fma_f64 v[24:25], v[20:21], v[24:25], s[2:3]
	s_mov_b32 s2, 0x16c16967
	s_mov_b32 s3, 0xbf56c16c
	v_fma_f64 v[22:23], v[20:21], v[22:23], s[4:5]
	v_add_f64 v[26:27], v[34:35], -v[26:27]
	v_fma_f64 v[24:25], v[20:21], v[24:25], s[2:3]
	s_mov_b32 s3, 0x3fa55555
	s_mov_b32 s2, 0x55555555
	v_fma_f64 v[22:23], v[32:33], v[22:23], v[30:31]
	v_mul_f64 v[30:31], v[20:21], v[20:21]
	v_fma_f64 v[26:27], v[14:15], -v[16:17], v[26:27]
	v_fma_f64 v[24:25], v[20:21], v[24:25], s[2:3]
	s_mov_b32 s3, 0xbfc55555
	v_fma_f64 v[16:17], v[20:21], v[22:23], -v[16:17]
	v_fma_f64 v[20:21], v[30:31], v[24:25], v[26:27]
	v_fma_f64 v[16:17], v[32:33], s[2:3], v[16:17]
	v_add_f64 v[20:21], v[28:29], v[20:21]
	v_add_f64 v[14:15], v[14:15], -v[16:17]
	v_and_b32_e32 v17, 1, v19
	v_lshlrev_b32_e32 v16, 30, v19
	v_cmp_eq_u32_e64 s0, 0, v17
	v_xor_b32_e32 v16, v16, v13
	v_and_b32_e32 v16, 0x80000000, v16
	v_cndmask_b32_e64 v14, v20, v14, s0
	v_cndmask_b32_e64 v15, v21, v15, s0
	v_cmp_class_f64_e64 s0, v[12:13], 0x1f8
	v_xor_b32_e32 v15, v15, v16
	v_cndmask_b32_e64 v15, 0x7ff80000, v15, s0
	v_cndmask_b32_e64 v14, 0, v14, s0
.LBB2_39:
	s_or_b32 exec_lo, exec_lo, s1
	s_waitcnt vmcnt(0)
	v_or_b32_e32 v12, 0x200, v0
	s_mov_b32 s1, exec_lo
	v_cmpx_gt_i32_e64 s33, v12
	s_cbranch_execz .LBB2_45
; %bb.40:
	s_mov_b32 s2, exec_lo
                                        ; implicit-def: $vgpr16
                                        ; implicit-def: $vgpr10_vgpr11
                                        ; implicit-def: $vgpr12_vgpr13
	v_cmpx_ngt_f64_e64 0x41d00000, |v[6:7]|
	s_xor_b32 s2, exec_lo, s2
	s_cbranch_execz .LBB2_42
; %bb.41:
	v_ldexp_f64 v[10:11], |v[6:7]|, 0xffffff80
	v_cmp_le_f64_e64 s0, 0x7b000000, |v[6:7]|
	v_trig_preop_f64 v[12:13], |v[6:7]|, 0
	v_and_b32_e32 v16, 0x7fffffff, v7
	v_trig_preop_f64 v[27:28], |v[6:7]|, 2
	v_mov_b32_e32 v35, 0
	s_mov_b32 s4, 0x54442d18
	s_mov_b32 s5, 0x3ff921fb
	;; [unrolled: 1-line block ×4, first 2 shown]
	v_cndmask_b32_e64 v11, v16, v11, s0
	v_cndmask_b32_e64 v10, v6, v10, s0
	v_trig_preop_f64 v[16:17], |v[6:7]|, 1
	v_mul_f64 v[19:20], v[12:13], v[10:11]
	v_mul_f64 v[33:34], v[27:28], v[10:11]
	;; [unrolled: 1-line block ×3, first 2 shown]
	v_fma_f64 v[12:13], v[12:13], v[10:11], -v[19:20]
	v_fma_f64 v[16:17], v[16:17], v[10:11], -v[21:22]
	;; [unrolled: 1-line block ×3, first 2 shown]
	v_add_f64 v[23:24], v[21:22], v[12:13]
	v_add_f64 v[25:26], v[23:24], -v[21:22]
	v_add_f64 v[31:32], v[19:20], v[23:24]
	v_add_f64 v[29:30], v[23:24], -v[25:26]
	v_add_f64 v[12:13], v[12:13], -v[25:26]
	v_ldexp_f64 v[25:26], v[31:32], -2
	v_add_f64 v[19:20], v[31:32], -v[19:20]
	v_add_f64 v[21:22], v[21:22], -v[29:30]
	v_add_f64 v[29:30], v[33:34], v[16:17]
	v_cmp_neq_f64_e64 s0, 0x7ff00000, |v[25:26]|
	v_add_f64 v[19:20], v[23:24], -v[19:20]
	v_add_f64 v[12:13], v[12:13], v[21:22]
	v_fract_f64_e32 v[21:22], v[25:26]
	v_add_f64 v[23:24], v[29:30], v[12:13]
	v_ldexp_f64 v[21:22], v[21:22], 2
	v_add_f64 v[25:26], v[19:20], v[23:24]
	v_cndmask_b32_e64 v22, 0, v22, s0
	v_cndmask_b32_e64 v21, 0, v21, s0
	v_add_f64 v[31:32], v[25:26], v[21:22]
	v_add_f64 v[19:20], v[25:26], -v[19:20]
	v_cmp_gt_f64_e64 s0, 0, v[31:32]
	v_add_f64 v[31:32], v[29:30], -v[33:34]
	v_cndmask_b32_e64 v36, 0, 0x40100000, s0
	v_add_f64 v[40:41], v[29:30], -v[31:32]
	v_add_f64 v[16:17], v[16:17], -v[31:32]
	v_add_f64 v[21:22], v[21:22], v[35:36]
	v_add_f64 v[36:37], v[23:24], -v[29:30]
	v_add_f64 v[31:32], v[33:34], -v[40:41]
	v_add_f64 v[38:39], v[25:26], v[21:22]
	;; [unrolled: 3-line block ×3, first 2 shown]
	v_cvt_i32_f64_e32 v38, v[38:39]
	v_add_f64 v[29:30], v[29:30], -v[42:43]
	v_cvt_f64_i32_e32 v[36:37], v38
	v_add_f64 v[12:13], v[12:13], v[29:30]
	v_add_f64 v[21:22], v[21:22], -v[36:37]
	v_add_f64 v[12:13], v[16:17], v[12:13]
	v_add_f64 v[16:17], v[23:24], -v[19:20]
	v_add_f64 v[27:28], v[25:26], v[21:22]
	v_add_f64 v[10:11], v[10:11], v[12:13]
	v_add_f64 v[12:13], v[27:28], -v[21:22]
	v_cmp_le_f64_e64 s0, 0.5, v[27:28]
	v_add_f64 v[10:11], v[16:17], v[10:11]
	v_add_f64 v[12:13], v[25:26], -v[12:13]
	v_cndmask_b32_e64 v36, 0, 0x3ff00000, s0
	v_add_co_ci_u32_e64 v16, null, 0, v38, s0
	v_add_f64 v[10:11], v[10:11], v[12:13]
	v_add_f64 v[12:13], v[27:28], -v[35:36]
	v_add_f64 v[19:20], v[12:13], v[10:11]
	v_mul_f64 v[21:22], v[19:20], s[4:5]
	v_add_f64 v[12:13], v[19:20], -v[12:13]
	v_fma_f64 v[23:24], v[19:20], s[4:5], -v[21:22]
	v_add_f64 v[10:11], v[10:11], -v[12:13]
	v_fma_f64 v[12:13], v[19:20], s[6:7], v[23:24]
	v_fma_f64 v[12:13], v[10:11], s[4:5], v[12:13]
	v_add_f64 v[10:11], v[21:22], v[12:13]
	v_add_f64 v[19:20], v[10:11], -v[21:22]
	v_add_f64 v[12:13], v[12:13], -v[19:20]
.LBB2_42:
	s_andn2_saveexec_b32 s0, s2
	s_cbranch_execz .LBB2_44
; %bb.43:
	s_mov_b32 s2, 0x6dc9c883
	s_mov_b32 s3, 0x3fe45f30
	;; [unrolled: 1-line block ×3, first 2 shown]
	v_mul_f64 v[10:11], |v[6:7]|, s[2:3]
	s_mov_b32 s2, 0x54442d18
	s_mov_b32 s3, 0xbff921fb
	;; [unrolled: 1-line block ×3, first 2 shown]
	v_rndne_f64_e32 v[16:17], v[10:11]
	v_fma_f64 v[10:11], v[16:17], s[2:3], |v[6:7]|
	v_mul_f64 v[12:13], v[16:17], s[4:5]
	s_mov_b32 s2, 0x252049c0
	s_mov_b32 s3, 0xb97b839a
	v_fma_f64 v[21:22], v[16:17], s[4:5], v[10:11]
	v_add_f64 v[19:20], v[10:11], v[12:13]
	s_mov_b32 s5, 0x3c91a626
	v_add_f64 v[10:11], v[10:11], -v[19:20]
	v_add_f64 v[19:20], v[19:20], -v[21:22]
	v_add_f64 v[10:11], v[10:11], v[12:13]
	v_fma_f64 v[12:13], v[16:17], s[4:5], v[12:13]
	v_add_f64 v[10:11], v[19:20], v[10:11]
	v_add_f64 v[10:11], v[10:11], -v[12:13]
	v_fma_f64 v[12:13], v[16:17], s[2:3], v[10:11]
	v_cvt_i32_f64_e32 v16, v[16:17]
	v_add_f64 v[10:11], v[21:22], v[12:13]
	v_add_f64 v[19:20], v[10:11], -v[21:22]
	v_add_f64 v[12:13], v[12:13], -v[19:20]
.LBB2_44:
	s_or_b32 exec_lo, exec_lo, s0
	v_mul_f64 v[19:20], v[10:11], v[10:11]
	s_mov_b32 s2, 0xb42fdfa7
	s_mov_b32 s4, 0xf9a43bb8
	;; [unrolled: 1-line block ×6, first 2 shown]
	v_mul_f64 v[29:30], v[12:13], 0.5
	v_fma_f64 v[21:22], v[19:20], s[4:5], s[2:3]
	s_mov_b32 s2, 0x9037ab78
	s_mov_b32 s4, 0x46cc5e42
	;; [unrolled: 1-line block ×4, first 2 shown]
	v_mul_f64 v[25:26], v[19:20], 0.5
	v_fma_f64 v[23:24], v[19:20], s[4:5], s[2:3]
	s_mov_b32 s2, 0xa17f65f6
	s_mov_b32 s4, 0x19e83e5c
	;; [unrolled: 1-line block ×4, first 2 shown]
	v_mul_f64 v[31:32], v[10:11], -v[19:20]
	v_fma_f64 v[21:22], v[19:20], v[21:22], s[6:7]
	v_add_f64 v[27:28], -v[25:26], 1.0
	v_fma_f64 v[23:24], v[19:20], v[23:24], s[2:3]
	s_mov_b32 s2, 0x19f4ec90
	s_mov_b32 s3, 0x3efa01a0
	v_fma_f64 v[21:22], v[19:20], v[21:22], s[4:5]
	s_mov_b32 s4, 0x11110bb3
	s_mov_b32 s5, 0x3f811111
	v_add_f64 v[33:34], -v[27:28], 1.0
	v_fma_f64 v[23:24], v[19:20], v[23:24], s[2:3]
	s_mov_b32 s2, 0x16c16967
	s_mov_b32 s3, 0xbf56c16c
	v_fma_f64 v[21:22], v[19:20], v[21:22], s[4:5]
	v_add_f64 v[25:26], v[33:34], -v[25:26]
	v_fma_f64 v[23:24], v[19:20], v[23:24], s[2:3]
	s_mov_b32 s3, 0x3fa55555
	s_mov_b32 s2, 0x55555555
	v_fma_f64 v[21:22], v[31:32], v[21:22], v[29:30]
	v_mul_f64 v[29:30], v[19:20], v[19:20]
	v_fma_f64 v[25:26], v[10:11], -v[12:13], v[25:26]
	v_fma_f64 v[23:24], v[19:20], v[23:24], s[2:3]
	s_mov_b32 s3, 0xbfc55555
	v_fma_f64 v[12:13], v[19:20], v[21:22], -v[12:13]
	v_fma_f64 v[19:20], v[29:30], v[23:24], v[25:26]
	v_fma_f64 v[12:13], v[31:32], s[2:3], v[12:13]
	v_add_f64 v[19:20], v[27:28], v[19:20]
	v_add_f64 v[10:11], v[10:11], -v[12:13]
	v_and_b32_e32 v13, 1, v16
	v_lshlrev_b32_e32 v12, 30, v16
	v_cmp_eq_u32_e64 s0, 0, v13
	v_xor_b32_e32 v12, v12, v7
	v_and_b32_e32 v12, 0x80000000, v12
	v_cndmask_b32_e64 v10, v19, v10, s0
	v_cndmask_b32_e64 v11, v20, v11, s0
	v_cmp_class_f64_e64 s0, v[6:7], 0x1f8
	v_xor_b32_e32 v11, v11, v12
	v_cndmask_b32_e64 v11, 0x7ff80000, v11, s0
	v_cndmask_b32_e64 v10, 0, v10, s0
.LBB2_45:
	s_or_b32 exec_lo, exec_lo, s1
	v_or_b32_e32 v6, 0x300, v0
	s_mov_b32 s1, exec_lo
	v_cmpx_gt_i32_e64 s33, v6
	s_cbranch_execnz .LBB2_52
; %bb.46:
	s_or_b32 exec_lo, exec_lo, s1
	s_and_saveexec_b32 s0, vcc_lo
	s_xor_b32 s0, exec_lo, s0
	s_cbranch_execnz .LBB2_57
.LBB2_47:
	s_or_b32 exec_lo, exec_lo, s0
	s_mov_b32 s0, exec_lo
	v_cmpx_gt_i32_e64 s33, v0
	s_cbranch_execnz .LBB2_58
.LBB2_48:
	s_or_b32 exec_lo, exec_lo, s0
	s_mov_b32 s0, exec_lo
	v_cmpx_gt_i32_e64 s33, v0
	s_cbranch_execnz .LBB2_59
.LBB2_49:
	s_or_b32 exec_lo, exec_lo, s0
	s_mov_b32 s0, exec_lo
	v_cmpx_gt_i32_e64 s33, v0
	s_cbranch_execz .LBB2_51
.LBB2_50:
	v_add_nc_u32_e32 v0, s12, v0
	v_mov_b32_e32 v1, 0
	v_lshlrev_b64 v[0:1], 3, v[0:1]
	v_add_co_u32 v0, vcc_lo, s8, v0
	v_add_co_ci_u32_e64 v1, null, s9, v1, vcc_lo
	global_store_dwordx2 v[0:1], v[8:9], off
.LBB2_51:
	s_endpgm
.LBB2_52:
	s_mov_b32 s2, exec_lo
                                        ; implicit-def: $vgpr12
                                        ; implicit-def: $vgpr6_vgpr7
                                        ; implicit-def: $vgpr8_vgpr9
	v_cmpx_ngt_f64_e64 0x41d00000, |v[2:3]|
	s_xor_b32 s2, exec_lo, s2
	s_cbranch_execz .LBB2_54
; %bb.53:
	v_ldexp_f64 v[6:7], |v[2:3]|, 0xffffff80
	v_cmp_le_f64_e64 s0, 0x7b000000, |v[2:3]|
	v_trig_preop_f64 v[8:9], |v[2:3]|, 0
	v_and_b32_e32 v12, 0x7fffffff, v3
	v_trig_preop_f64 v[25:26], |v[2:3]|, 2
	v_mov_b32_e32 v33, 0
	s_mov_b32 s4, 0x54442d18
	s_mov_b32 s5, 0x3ff921fb
	;; [unrolled: 1-line block ×4, first 2 shown]
	v_cndmask_b32_e64 v7, v12, v7, s0
	v_cndmask_b32_e64 v6, v2, v6, s0
	v_trig_preop_f64 v[12:13], |v[2:3]|, 1
	v_mul_f64 v[16:17], v[8:9], v[6:7]
	v_mul_f64 v[31:32], v[25:26], v[6:7]
	;; [unrolled: 1-line block ×3, first 2 shown]
	v_fma_f64 v[8:9], v[8:9], v[6:7], -v[16:17]
	v_fma_f64 v[12:13], v[12:13], v[6:7], -v[19:20]
	;; [unrolled: 1-line block ×3, first 2 shown]
	v_add_f64 v[21:22], v[19:20], v[8:9]
	v_add_f64 v[23:24], v[21:22], -v[19:20]
	v_add_f64 v[29:30], v[16:17], v[21:22]
	v_add_f64 v[27:28], v[21:22], -v[23:24]
	v_add_f64 v[8:9], v[8:9], -v[23:24]
	v_ldexp_f64 v[23:24], v[29:30], -2
	v_add_f64 v[16:17], v[29:30], -v[16:17]
	v_add_f64 v[19:20], v[19:20], -v[27:28]
	v_add_f64 v[27:28], v[31:32], v[12:13]
	v_cmp_neq_f64_e64 s0, 0x7ff00000, |v[23:24]|
	v_add_f64 v[16:17], v[21:22], -v[16:17]
	v_add_f64 v[8:9], v[8:9], v[19:20]
	v_fract_f64_e32 v[19:20], v[23:24]
	v_add_f64 v[21:22], v[27:28], v[8:9]
	v_ldexp_f64 v[19:20], v[19:20], 2
	v_add_f64 v[23:24], v[16:17], v[21:22]
	v_cndmask_b32_e64 v20, 0, v20, s0
	v_cndmask_b32_e64 v19, 0, v19, s0
	v_add_f64 v[29:30], v[23:24], v[19:20]
	v_add_f64 v[16:17], v[23:24], -v[16:17]
	v_cmp_gt_f64_e64 s0, 0, v[29:30]
	v_add_f64 v[29:30], v[27:28], -v[31:32]
	v_cndmask_b32_e64 v34, 0, 0x40100000, s0
	v_add_f64 v[38:39], v[27:28], -v[29:30]
	v_add_f64 v[12:13], v[12:13], -v[29:30]
	v_add_f64 v[19:20], v[19:20], v[33:34]
	v_add_f64 v[34:35], v[21:22], -v[27:28]
	v_add_f64 v[29:30], v[31:32], -v[38:39]
	v_add_f64 v[36:37], v[23:24], v[19:20]
	;; [unrolled: 3-line block ×3, first 2 shown]
	v_cvt_i32_f64_e32 v36, v[36:37]
	v_add_f64 v[27:28], v[27:28], -v[40:41]
	v_cvt_f64_i32_e32 v[34:35], v36
	v_add_f64 v[8:9], v[8:9], v[27:28]
	v_add_f64 v[19:20], v[19:20], -v[34:35]
	v_add_f64 v[8:9], v[12:13], v[8:9]
	v_add_f64 v[12:13], v[21:22], -v[16:17]
	v_add_f64 v[25:26], v[23:24], v[19:20]
	v_add_f64 v[6:7], v[6:7], v[8:9]
	v_add_f64 v[8:9], v[25:26], -v[19:20]
	v_cmp_le_f64_e64 s0, 0.5, v[25:26]
	v_add_f64 v[6:7], v[12:13], v[6:7]
	v_add_f64 v[8:9], v[23:24], -v[8:9]
	v_cndmask_b32_e64 v34, 0, 0x3ff00000, s0
	v_add_co_ci_u32_e64 v12, null, 0, v36, s0
	v_add_f64 v[6:7], v[6:7], v[8:9]
	v_add_f64 v[8:9], v[25:26], -v[33:34]
	v_add_f64 v[16:17], v[8:9], v[6:7]
	v_mul_f64 v[19:20], v[16:17], s[4:5]
	v_add_f64 v[8:9], v[16:17], -v[8:9]
	v_fma_f64 v[21:22], v[16:17], s[4:5], -v[19:20]
	v_add_f64 v[6:7], v[6:7], -v[8:9]
	v_fma_f64 v[8:9], v[16:17], s[6:7], v[21:22]
	v_fma_f64 v[8:9], v[6:7], s[4:5], v[8:9]
	v_add_f64 v[6:7], v[19:20], v[8:9]
	v_add_f64 v[16:17], v[6:7], -v[19:20]
	v_add_f64 v[8:9], v[8:9], -v[16:17]
.LBB2_54:
	s_andn2_saveexec_b32 s0, s2
	s_cbranch_execz .LBB2_56
; %bb.55:
	s_mov_b32 s2, 0x6dc9c883
	s_mov_b32 s3, 0x3fe45f30
	;; [unrolled: 1-line block ×3, first 2 shown]
	v_mul_f64 v[6:7], |v[2:3]|, s[2:3]
	s_mov_b32 s2, 0x54442d18
	s_mov_b32 s3, 0xbff921fb
	;; [unrolled: 1-line block ×3, first 2 shown]
	v_rndne_f64_e32 v[12:13], v[6:7]
	v_fma_f64 v[6:7], v[12:13], s[2:3], |v[2:3]|
	v_mul_f64 v[8:9], v[12:13], s[4:5]
	s_mov_b32 s2, 0x252049c0
	s_mov_b32 s3, 0xb97b839a
	v_fma_f64 v[19:20], v[12:13], s[4:5], v[6:7]
	v_add_f64 v[16:17], v[6:7], v[8:9]
	s_mov_b32 s5, 0x3c91a626
	v_add_f64 v[6:7], v[6:7], -v[16:17]
	v_add_f64 v[16:17], v[16:17], -v[19:20]
	v_add_f64 v[6:7], v[6:7], v[8:9]
	v_fma_f64 v[8:9], v[12:13], s[4:5], v[8:9]
	v_add_f64 v[6:7], v[16:17], v[6:7]
	v_add_f64 v[6:7], v[6:7], -v[8:9]
	v_fma_f64 v[8:9], v[12:13], s[2:3], v[6:7]
	v_cvt_i32_f64_e32 v12, v[12:13]
	v_add_f64 v[6:7], v[19:20], v[8:9]
	v_add_f64 v[16:17], v[6:7], -v[19:20]
	v_add_f64 v[8:9], v[8:9], -v[16:17]
.LBB2_56:
	s_or_b32 exec_lo, exec_lo, s0
	v_mul_f64 v[16:17], v[6:7], v[6:7]
	s_mov_b32 s2, 0xb42fdfa7
	s_mov_b32 s4, 0xf9a43bb8
	s_mov_b32 s3, 0xbe5ae600
	s_mov_b32 s5, 0x3de5e0b2
	s_mov_b32 s6, 0x796cde01
	s_mov_b32 s7, 0x3ec71de3
	v_mul_f64 v[27:28], v[8:9], 0.5
	v_fma_f64 v[19:20], v[16:17], s[4:5], s[2:3]
	s_mov_b32 s2, 0x9037ab78
	s_mov_b32 s4, 0x46cc5e42
	;; [unrolled: 1-line block ×4, first 2 shown]
	v_mul_f64 v[23:24], v[16:17], 0.5
	v_fma_f64 v[21:22], v[16:17], s[4:5], s[2:3]
	s_mov_b32 s2, 0xa17f65f6
	s_mov_b32 s4, 0x19e83e5c
	s_mov_b32 s3, 0xbe927e4f
	s_mov_b32 s5, 0xbf2a01a0
	v_mul_f64 v[29:30], v[6:7], -v[16:17]
	v_fma_f64 v[19:20], v[16:17], v[19:20], s[6:7]
	v_add_f64 v[25:26], -v[23:24], 1.0
	v_fma_f64 v[21:22], v[16:17], v[21:22], s[2:3]
	s_mov_b32 s2, 0x19f4ec90
	s_mov_b32 s3, 0x3efa01a0
	v_fma_f64 v[19:20], v[16:17], v[19:20], s[4:5]
	s_mov_b32 s4, 0x11110bb3
	s_mov_b32 s5, 0x3f811111
	v_add_f64 v[31:32], -v[25:26], 1.0
	v_fma_f64 v[21:22], v[16:17], v[21:22], s[2:3]
	s_mov_b32 s2, 0x16c16967
	s_mov_b32 s3, 0xbf56c16c
	v_fma_f64 v[19:20], v[16:17], v[19:20], s[4:5]
	v_add_f64 v[23:24], v[31:32], -v[23:24]
	v_fma_f64 v[21:22], v[16:17], v[21:22], s[2:3]
	s_mov_b32 s3, 0x3fa55555
	s_mov_b32 s2, 0x55555555
	v_fma_f64 v[19:20], v[29:30], v[19:20], v[27:28]
	v_mul_f64 v[27:28], v[16:17], v[16:17]
	v_fma_f64 v[23:24], v[6:7], -v[8:9], v[23:24]
	v_fma_f64 v[21:22], v[16:17], v[21:22], s[2:3]
	s_mov_b32 s3, 0xbfc55555
	v_fma_f64 v[8:9], v[16:17], v[19:20], -v[8:9]
	v_fma_f64 v[16:17], v[27:28], v[21:22], v[23:24]
	v_fma_f64 v[8:9], v[29:30], s[2:3], v[8:9]
	v_add_f64 v[16:17], v[25:26], v[16:17]
	v_add_f64 v[6:7], v[6:7], -v[8:9]
	v_and_b32_e32 v9, 1, v12
	v_lshlrev_b32_e32 v8, 30, v12
	v_cmp_eq_u32_e64 s0, 0, v9
	v_xor_b32_e32 v8, v8, v3
	v_and_b32_e32 v8, 0x80000000, v8
	v_cndmask_b32_e64 v6, v16, v6, s0
	v_cndmask_b32_e64 v7, v17, v7, s0
	v_cmp_class_f64_e64 s0, v[2:3], 0x1f8
	v_xor_b32_e32 v7, v7, v8
	v_cndmask_b32_e64 v9, 0x7ff80000, v7, s0
	v_cndmask_b32_e64 v8, 0, v6, s0
	s_or_b32 exec_lo, exec_lo, s1
	s_and_saveexec_b32 s0, vcc_lo
	s_xor_b32 s0, exec_lo, s0
	s_cbranch_execz .LBB2_47
.LBB2_57:
	v_mov_b32_e32 v2, 0
	v_lshlrev_b64 v[0:1], 3, v[1:2]
	v_add_co_u32 v2, vcc_lo, s8, v0
	v_add_co_ci_u32_e64 v3, null, s9, v1, vcc_lo
	v_mov_b32_e32 v0, v18
	global_store_dwordx2 v[2:3], v[4:5], off
	s_or_b32 exec_lo, exec_lo, s0
	s_mov_b32 s0, exec_lo
	v_cmpx_gt_i32_e64 s33, v0
	s_cbranch_execz .LBB2_48
.LBB2_58:
	v_add_nc_u32_e32 v1, s12, v0
	v_mov_b32_e32 v2, 0
	v_add_nc_u32_e32 v0, 0x100, v0
	v_lshlrev_b64 v[1:2], 3, v[1:2]
	v_add_co_u32 v1, vcc_lo, s8, v1
	v_add_co_ci_u32_e64 v2, null, s9, v2, vcc_lo
	global_store_dwordx2 v[1:2], v[14:15], off
	s_or_b32 exec_lo, exec_lo, s0
	s_mov_b32 s0, exec_lo
	v_cmpx_gt_i32_e64 s33, v0
	s_cbranch_execz .LBB2_49
.LBB2_59:
	v_add_nc_u32_e32 v1, s12, v0
	v_mov_b32_e32 v2, 0
	v_add_nc_u32_e32 v0, 0x100, v0
	v_lshlrev_b64 v[1:2], 3, v[1:2]
	v_add_co_u32 v1, vcc_lo, s8, v1
	v_add_co_ci_u32_e64 v2, null, s9, v2, vcc_lo
	global_store_dwordx2 v[1:2], v[10:11], off
	s_or_b32 exec_lo, exec_lo, s0
	s_mov_b32 s0, exec_lo
	v_cmpx_gt_i32_e64 s33, v0
	s_cbranch_execnz .LBB2_50
	s_branch .LBB2_51
	.section	.rodata,"a",@progbits
	.p2align	6, 0x0
	.amdhsa_kernel _ZN2at6native29vectorized_elementwise_kernelILi4EZZZNS0_15sin_kernel_cudaERNS_18TensorIteratorBaseEENKUlvE0_clEvENKUlvE_clEvEUldE_St5arrayIPcLm2EEEEviT0_T1_
		.amdhsa_group_segment_fixed_size 0
		.amdhsa_private_segment_fixed_size 0
		.amdhsa_kernarg_size 24
		.amdhsa_user_sgpr_count 6
		.amdhsa_user_sgpr_private_segment_buffer 1
		.amdhsa_user_sgpr_dispatch_ptr 0
		.amdhsa_user_sgpr_queue_ptr 0
		.amdhsa_user_sgpr_kernarg_segment_ptr 1
		.amdhsa_user_sgpr_dispatch_id 0
		.amdhsa_user_sgpr_flat_scratch_init 0
		.amdhsa_user_sgpr_private_segment_size 0
		.amdhsa_wavefront_size32 1
		.amdhsa_uses_dynamic_stack 0
		.amdhsa_system_sgpr_private_segment_wavefront_offset 0
		.amdhsa_system_sgpr_workgroup_id_x 1
		.amdhsa_system_sgpr_workgroup_id_y 0
		.amdhsa_system_sgpr_workgroup_id_z 0
		.amdhsa_system_sgpr_workgroup_info 0
		.amdhsa_system_vgpr_workitem_id 0
		.amdhsa_next_free_vgpr 64
		.amdhsa_next_free_sgpr 34
		.amdhsa_reserve_vcc 1
		.amdhsa_reserve_flat_scratch 0
		.amdhsa_float_round_mode_32 0
		.amdhsa_float_round_mode_16_64 0
		.amdhsa_float_denorm_mode_32 3
		.amdhsa_float_denorm_mode_16_64 3
		.amdhsa_dx10_clamp 1
		.amdhsa_ieee_mode 1
		.amdhsa_fp16_overflow 0
		.amdhsa_workgroup_processor_mode 1
		.amdhsa_memory_ordered 1
		.amdhsa_forward_progress 1
		.amdhsa_shared_vgpr_count 0
		.amdhsa_exception_fp_ieee_invalid_op 0
		.amdhsa_exception_fp_denorm_src 0
		.amdhsa_exception_fp_ieee_div_zero 0
		.amdhsa_exception_fp_ieee_overflow 0
		.amdhsa_exception_fp_ieee_underflow 0
		.amdhsa_exception_fp_ieee_inexact 0
		.amdhsa_exception_int_div_zero 0
	.end_amdhsa_kernel
	.section	.text._ZN2at6native29vectorized_elementwise_kernelILi4EZZZNS0_15sin_kernel_cudaERNS_18TensorIteratorBaseEENKUlvE0_clEvENKUlvE_clEvEUldE_St5arrayIPcLm2EEEEviT0_T1_,"axG",@progbits,_ZN2at6native29vectorized_elementwise_kernelILi4EZZZNS0_15sin_kernel_cudaERNS_18TensorIteratorBaseEENKUlvE0_clEvENKUlvE_clEvEUldE_St5arrayIPcLm2EEEEviT0_T1_,comdat
.Lfunc_end2:
	.size	_ZN2at6native29vectorized_elementwise_kernelILi4EZZZNS0_15sin_kernel_cudaERNS_18TensorIteratorBaseEENKUlvE0_clEvENKUlvE_clEvEUldE_St5arrayIPcLm2EEEEviT0_T1_, .Lfunc_end2-_ZN2at6native29vectorized_elementwise_kernelILi4EZZZNS0_15sin_kernel_cudaERNS_18TensorIteratorBaseEENKUlvE0_clEvENKUlvE_clEvEUldE_St5arrayIPcLm2EEEEviT0_T1_
                                        ; -- End function
	.set _ZN2at6native29vectorized_elementwise_kernelILi4EZZZNS0_15sin_kernel_cudaERNS_18TensorIteratorBaseEENKUlvE0_clEvENKUlvE_clEvEUldE_St5arrayIPcLm2EEEEviT0_T1_.num_vgpr, 64
	.set _ZN2at6native29vectorized_elementwise_kernelILi4EZZZNS0_15sin_kernel_cudaERNS_18TensorIteratorBaseEENKUlvE0_clEvENKUlvE_clEvEUldE_St5arrayIPcLm2EEEEviT0_T1_.num_agpr, 0
	.set _ZN2at6native29vectorized_elementwise_kernelILi4EZZZNS0_15sin_kernel_cudaERNS_18TensorIteratorBaseEENKUlvE0_clEvENKUlvE_clEvEUldE_St5arrayIPcLm2EEEEviT0_T1_.numbered_sgpr, 34
	.set _ZN2at6native29vectorized_elementwise_kernelILi4EZZZNS0_15sin_kernel_cudaERNS_18TensorIteratorBaseEENKUlvE0_clEvENKUlvE_clEvEUldE_St5arrayIPcLm2EEEEviT0_T1_.num_named_barrier, 0
	.set _ZN2at6native29vectorized_elementwise_kernelILi4EZZZNS0_15sin_kernel_cudaERNS_18TensorIteratorBaseEENKUlvE0_clEvENKUlvE_clEvEUldE_St5arrayIPcLm2EEEEviT0_T1_.private_seg_size, 0
	.set _ZN2at6native29vectorized_elementwise_kernelILi4EZZZNS0_15sin_kernel_cudaERNS_18TensorIteratorBaseEENKUlvE0_clEvENKUlvE_clEvEUldE_St5arrayIPcLm2EEEEviT0_T1_.uses_vcc, 1
	.set _ZN2at6native29vectorized_elementwise_kernelILi4EZZZNS0_15sin_kernel_cudaERNS_18TensorIteratorBaseEENKUlvE0_clEvENKUlvE_clEvEUldE_St5arrayIPcLm2EEEEviT0_T1_.uses_flat_scratch, 0
	.set _ZN2at6native29vectorized_elementwise_kernelILi4EZZZNS0_15sin_kernel_cudaERNS_18TensorIteratorBaseEENKUlvE0_clEvENKUlvE_clEvEUldE_St5arrayIPcLm2EEEEviT0_T1_.has_dyn_sized_stack, 0
	.set _ZN2at6native29vectorized_elementwise_kernelILi4EZZZNS0_15sin_kernel_cudaERNS_18TensorIteratorBaseEENKUlvE0_clEvENKUlvE_clEvEUldE_St5arrayIPcLm2EEEEviT0_T1_.has_recursion, 0
	.set _ZN2at6native29vectorized_elementwise_kernelILi4EZZZNS0_15sin_kernel_cudaERNS_18TensorIteratorBaseEENKUlvE0_clEvENKUlvE_clEvEUldE_St5arrayIPcLm2EEEEviT0_T1_.has_indirect_call, 0
	.section	.AMDGPU.csdata,"",@progbits
; Kernel info:
; codeLenInByte = 10824
; TotalNumSgprs: 36
; NumVgprs: 64
; ScratchSize: 0
; MemoryBound: 1
; FloatMode: 240
; IeeeMode: 1
; LDSByteSize: 0 bytes/workgroup (compile time only)
; SGPRBlocks: 0
; VGPRBlocks: 7
; NumSGPRsForWavesPerEU: 36
; NumVGPRsForWavesPerEU: 64
; Occupancy: 16
; WaveLimiterHint : 0
; COMPUTE_PGM_RSRC2:SCRATCH_EN: 0
; COMPUTE_PGM_RSRC2:USER_SGPR: 6
; COMPUTE_PGM_RSRC2:TRAP_HANDLER: 0
; COMPUTE_PGM_RSRC2:TGID_X_EN: 1
; COMPUTE_PGM_RSRC2:TGID_Y_EN: 0
; COMPUTE_PGM_RSRC2:TGID_Z_EN: 0
; COMPUTE_PGM_RSRC2:TIDIG_COMP_CNT: 0
	.section	.text._ZN2at6native29vectorized_elementwise_kernelILi2EZZZNS0_15sin_kernel_cudaERNS_18TensorIteratorBaseEENKUlvE0_clEvENKUlvE_clEvEUldE_St5arrayIPcLm2EEEEviT0_T1_,"axG",@progbits,_ZN2at6native29vectorized_elementwise_kernelILi2EZZZNS0_15sin_kernel_cudaERNS_18TensorIteratorBaseEENKUlvE0_clEvENKUlvE_clEvEUldE_St5arrayIPcLm2EEEEviT0_T1_,comdat
	.globl	_ZN2at6native29vectorized_elementwise_kernelILi2EZZZNS0_15sin_kernel_cudaERNS_18TensorIteratorBaseEENKUlvE0_clEvENKUlvE_clEvEUldE_St5arrayIPcLm2EEEEviT0_T1_ ; -- Begin function _ZN2at6native29vectorized_elementwise_kernelILi2EZZZNS0_15sin_kernel_cudaERNS_18TensorIteratorBaseEENKUlvE0_clEvENKUlvE_clEvEUldE_St5arrayIPcLm2EEEEviT0_T1_
	.p2align	8
	.type	_ZN2at6native29vectorized_elementwise_kernelILi2EZZZNS0_15sin_kernel_cudaERNS_18TensorIteratorBaseEENKUlvE0_clEvENKUlvE_clEvEUldE_St5arrayIPcLm2EEEEviT0_T1_,@function
_ZN2at6native29vectorized_elementwise_kernelILi2EZZZNS0_15sin_kernel_cudaERNS_18TensorIteratorBaseEENKUlvE0_clEvENKUlvE_clEvEUldE_St5arrayIPcLm2EEEEviT0_T1_: ; @_ZN2at6native29vectorized_elementwise_kernelILi2EZZZNS0_15sin_kernel_cudaERNS_18TensorIteratorBaseEENKUlvE0_clEvENKUlvE_clEvEUldE_St5arrayIPcLm2EEEEviT0_T1_
; %bb.0:
	s_clause 0x1
	s_load_dword s0, s[4:5], 0x0
	s_load_dwordx4 s[8:11], s[4:5], 0x8
	s_lshl_b32 s12, s6, 10
	s_waitcnt lgkmcnt(0)
	s_sub_i32 s33, s0, s12
	s_mov_b32 s0, -1
	s_cmpk_gt_i32 s33, 0x3ff
	s_cbranch_scc0 .LBB3_18
; %bb.1:
	s_ashr_i32 s13, s12, 31
	v_lshlrev_b32_e32 v25, 4, v0
	s_lshl_b64 s[0:1], s[12:13], 3
	v_mov_b32_e32 v13, 0
	s_add_u32 s2, s10, s0
	s_addc_u32 s3, s11, s1
                                        ; implicit-def: $vgpr26
                                        ; implicit-def: $vgpr9_vgpr10
                                        ; implicit-def: $vgpr11_vgpr12
	global_load_dwordx4 v[1:4], v25, s[2:3]
	v_add_co_u32 v5, s2, s2, v25
	v_add_co_ci_u32_e64 v6, null, s3, 0, s2
	v_add_co_u32 v5, vcc_lo, 0x1000, v5
	v_add_co_ci_u32_e64 v6, null, 0, v6, vcc_lo
	global_load_dwordx4 v[5:8], v[5:6], off
	s_waitcnt vmcnt(1)
	v_cmp_ngt_f64_e64 s2, 0x41d00000, |v[1:2]|
	s_and_saveexec_b32 s3, s2
	s_xor_b32 s2, exec_lo, s3
	s_cbranch_execz .LBB3_3
; %bb.2:
	v_ldexp_f64 v[9:10], |v[1:2]|, 0xffffff80
	v_cmp_le_f64_e64 vcc_lo, 0x7b000000, |v[1:2]|
	v_trig_preop_f64 v[11:12], |v[1:2]|, 0
	v_and_b32_e32 v14, 0x7fffffff, v2
	v_trig_preop_f64 v[26:27], |v[1:2]|, 2
	s_mov_b32 s4, 0x54442d18
	s_mov_b32 s5, 0x3ff921fb
	;; [unrolled: 1-line block ×4, first 2 shown]
	v_cndmask_b32_e32 v10, v14, v10, vcc_lo
	v_cndmask_b32_e32 v9, v1, v9, vcc_lo
	v_trig_preop_f64 v[14:15], |v[1:2]|, 1
	v_mul_f64 v[16:17], v[11:12], v[9:10]
	v_mul_f64 v[32:33], v[26:27], v[9:10]
	;; [unrolled: 1-line block ×3, first 2 shown]
	v_fma_f64 v[11:12], v[11:12], v[9:10], -v[16:17]
	v_fma_f64 v[34:35], v[14:15], v[9:10], -v[18:19]
	;; [unrolled: 1-line block ×3, first 2 shown]
	v_add_f64 v[20:21], v[18:19], v[11:12]
	v_add_f64 v[22:23], v[20:21], -v[18:19]
	v_add_f64 v[30:31], v[16:17], v[20:21]
	v_add_f64 v[28:29], v[20:21], -v[22:23]
	v_add_f64 v[11:12], v[11:12], -v[22:23]
	v_add_f64 v[22:23], v[32:33], v[34:35]
	v_add_f64 v[16:17], v[30:31], -v[16:17]
	v_add_f64 v[14:15], v[18:19], -v[28:29]
	v_ldexp_f64 v[18:19], v[30:31], -2
	v_add_f64 v[16:17], v[20:21], -v[16:17]
	v_add_f64 v[11:12], v[11:12], v[14:15]
	v_fract_f64_e32 v[14:15], v[18:19]
	v_cmp_neq_f64_e64 vcc_lo, 0x7ff00000, |v[18:19]|
	v_add_f64 v[20:21], v[22:23], v[11:12]
	v_ldexp_f64 v[14:15], v[14:15], 2
	v_add_f64 v[18:19], v[16:17], v[20:21]
	v_cndmask_b32_e32 v29, 0, v15, vcc_lo
	v_cndmask_b32_e32 v28, 0, v14, vcc_lo
	v_add_f64 v[30:31], v[20:21], -v[22:23]
	v_add_f64 v[14:15], v[18:19], v[28:29]
	v_add_f64 v[16:17], v[18:19], -v[16:17]
	v_add_f64 v[40:41], v[20:21], -v[30:31]
	;; [unrolled: 1-line block ×3, first 2 shown]
	v_cmp_gt_f64_e32 vcc_lo, 0, v[14:15]
	v_add_f64 v[16:17], v[20:21], -v[16:17]
	v_cndmask_b32_e64 v14, 0, 0x40100000, vcc_lo
	v_add_f64 v[14:15], v[28:29], v[13:14]
	v_add_f64 v[28:29], v[22:23], -v[32:33]
	v_add_f64 v[36:37], v[18:19], v[14:15]
	v_add_f64 v[38:39], v[22:23], -v[28:29]
	v_add_f64 v[28:29], v[34:35], -v[28:29]
	;; [unrolled: 1-line block ×3, first 2 shown]
	v_cvt_i32_f64_e32 v24, v[36:37]
	v_add_f64 v[34:35], v[32:33], -v[38:39]
	v_add_f64 v[11:12], v[11:12], v[22:23]
	v_cvt_f64_i32_e32 v[30:31], v24
	v_add_f64 v[28:29], v[28:29], v[34:35]
	v_add_f64 v[14:15], v[14:15], -v[30:31]
	v_add_f64 v[11:12], v[28:29], v[11:12]
	v_add_f64 v[22:23], v[18:19], v[14:15]
	;; [unrolled: 1-line block ×3, first 2 shown]
	v_add_f64 v[11:12], v[22:23], -v[14:15]
	v_cmp_le_f64_e32 vcc_lo, 0.5, v[22:23]
	v_add_f64 v[9:10], v[16:17], v[9:10]
	v_add_f64 v[11:12], v[18:19], -v[11:12]
	v_cndmask_b32_e64 v14, 0, 0x3ff00000, vcc_lo
	v_add_co_ci_u32_e64 v26, null, 0, v24, vcc_lo
	v_add_f64 v[9:10], v[9:10], v[11:12]
	v_add_f64 v[11:12], v[22:23], -v[13:14]
	v_add_f64 v[13:14], v[11:12], v[9:10]
	v_mul_f64 v[15:16], v[13:14], s[4:5]
	v_add_f64 v[11:12], v[13:14], -v[11:12]
	v_fma_f64 v[17:18], v[13:14], s[4:5], -v[15:16]
	v_add_f64 v[9:10], v[9:10], -v[11:12]
	v_fma_f64 v[11:12], v[13:14], s[6:7], v[17:18]
	v_fma_f64 v[11:12], v[9:10], s[4:5], v[11:12]
	v_add_f64 v[9:10], v[15:16], v[11:12]
	v_add_f64 v[13:14], v[9:10], -v[15:16]
	v_add_f64 v[11:12], v[11:12], -v[13:14]
.LBB3_3:
	s_andn2_saveexec_b32 s2, s2
	s_cbranch_execz .LBB3_5
; %bb.4:
	s_mov_b32 s4, 0x6dc9c883
	s_mov_b32 s5, 0x3fe45f30
	;; [unrolled: 1-line block ×3, first 2 shown]
	v_mul_f64 v[9:10], |v[1:2]|, s[4:5]
	s_mov_b32 s4, 0x54442d18
	s_mov_b32 s5, 0xbff921fb
	s_mov_b32 s6, 0x33145c00
	v_rndne_f64_e32 v[13:14], v[9:10]
	v_fma_f64 v[9:10], v[13:14], s[4:5], |v[1:2]|
	v_mul_f64 v[11:12], v[13:14], s[6:7]
	s_mov_b32 s4, 0x252049c0
	s_mov_b32 s5, 0xb97b839a
	v_cvt_i32_f64_e32 v26, v[13:14]
	v_fma_f64 v[17:18], v[13:14], s[6:7], v[9:10]
	v_add_f64 v[15:16], v[9:10], v[11:12]
	s_mov_b32 s7, 0x3c91a626
	v_add_f64 v[9:10], v[9:10], -v[15:16]
	v_add_f64 v[15:16], v[15:16], -v[17:18]
	v_add_f64 v[9:10], v[9:10], v[11:12]
	v_fma_f64 v[11:12], v[13:14], s[6:7], v[11:12]
	v_add_f64 v[9:10], v[15:16], v[9:10]
	v_add_f64 v[9:10], v[9:10], -v[11:12]
	v_fma_f64 v[11:12], v[13:14], s[4:5], v[9:10]
	v_add_f64 v[9:10], v[17:18], v[11:12]
	v_add_f64 v[15:16], v[9:10], -v[17:18]
	v_add_f64 v[11:12], v[11:12], -v[15:16]
.LBB3_5:
	s_or_b32 exec_lo, exec_lo, s2
	v_cmp_ngt_f64_e64 s2, 0x41d00000, |v[3:4]|
                                        ; implicit-def: $vgpr27
                                        ; implicit-def: $vgpr13_vgpr14
                                        ; implicit-def: $vgpr15_vgpr16
	s_and_saveexec_b32 s3, s2
	s_xor_b32 s2, exec_lo, s3
	s_cbranch_execz .LBB3_7
; %bb.6:
	v_ldexp_f64 v[13:14], |v[3:4]|, 0xffffff80
	v_cmp_le_f64_e64 vcc_lo, 0x7b000000, |v[3:4]|
	v_trig_preop_f64 v[15:16], |v[3:4]|, 0
	v_and_b32_e32 v17, 0x7fffffff, v4
	v_trig_preop_f64 v[29:30], |v[3:4]|, 2
	v_mov_b32_e32 v37, 0
	s_mov_b32 s4, 0x54442d18
	s_mov_b32 s5, 0x3ff921fb
	;; [unrolled: 1-line block ×4, first 2 shown]
	v_cndmask_b32_e32 v14, v17, v14, vcc_lo
	v_cndmask_b32_e32 v13, v3, v13, vcc_lo
	v_trig_preop_f64 v[17:18], |v[3:4]|, 1
	v_mul_f64 v[19:20], v[15:16], v[13:14]
	v_mul_f64 v[35:36], v[29:30], v[13:14]
	;; [unrolled: 1-line block ×3, first 2 shown]
	v_fma_f64 v[15:16], v[15:16], v[13:14], -v[19:20]
	v_fma_f64 v[17:18], v[17:18], v[13:14], -v[21:22]
	v_fma_f64 v[13:14], v[29:30], v[13:14], -v[35:36]
	v_add_f64 v[23:24], v[21:22], v[15:16]
	v_add_f64 v[27:28], v[23:24], -v[21:22]
	v_add_f64 v[33:34], v[19:20], v[23:24]
	v_add_f64 v[31:32], v[23:24], -v[27:28]
	v_add_f64 v[15:16], v[15:16], -v[27:28]
	v_ldexp_f64 v[27:28], v[33:34], -2
	v_add_f64 v[19:20], v[33:34], -v[19:20]
	v_add_f64 v[21:22], v[21:22], -v[31:32]
	v_add_f64 v[31:32], v[35:36], v[17:18]
	v_cmp_neq_f64_e64 vcc_lo, 0x7ff00000, |v[27:28]|
	v_add_f64 v[19:20], v[23:24], -v[19:20]
	v_add_f64 v[15:16], v[15:16], v[21:22]
	v_fract_f64_e32 v[21:22], v[27:28]
	v_add_f64 v[23:24], v[31:32], v[15:16]
	v_ldexp_f64 v[21:22], v[21:22], 2
	v_add_f64 v[27:28], v[19:20], v[23:24]
	v_cndmask_b32_e32 v22, 0, v22, vcc_lo
	v_cndmask_b32_e32 v21, 0, v21, vcc_lo
	v_add_f64 v[33:34], v[27:28], v[21:22]
	v_add_f64 v[19:20], v[27:28], -v[19:20]
	v_cmp_gt_f64_e32 vcc_lo, 0, v[33:34]
	v_add_f64 v[33:34], v[31:32], -v[35:36]
	v_add_f64 v[19:20], v[23:24], -v[19:20]
	v_cndmask_b32_e64 v38, 0, 0x40100000, vcc_lo
	v_add_f64 v[42:43], v[31:32], -v[33:34]
	v_add_f64 v[17:18], v[17:18], -v[33:34]
	v_add_f64 v[21:22], v[21:22], v[37:38]
	v_add_f64 v[38:39], v[23:24], -v[31:32]
	v_add_f64 v[33:34], v[35:36], -v[42:43]
	v_add_f64 v[40:41], v[27:28], v[21:22]
	;; [unrolled: 3-line block ×3, first 2 shown]
	v_cvt_i32_f64_e32 v40, v[40:41]
	v_add_f64 v[31:32], v[31:32], -v[44:45]
	v_cvt_f64_i32_e32 v[38:39], v40
	v_add_f64 v[15:16], v[15:16], v[31:32]
	v_add_f64 v[21:22], v[21:22], -v[38:39]
	v_add_f64 v[15:16], v[17:18], v[15:16]
	v_add_f64 v[17:18], v[27:28], v[21:22]
	;; [unrolled: 1-line block ×3, first 2 shown]
	v_add_f64 v[15:16], v[17:18], -v[21:22]
	v_cmp_le_f64_e32 vcc_lo, 0.5, v[17:18]
	v_add_f64 v[13:14], v[19:20], v[13:14]
	v_add_f64 v[15:16], v[27:28], -v[15:16]
	v_cndmask_b32_e64 v38, 0, 0x3ff00000, vcc_lo
	v_add_co_ci_u32_e64 v27, null, 0, v40, vcc_lo
	v_add_f64 v[13:14], v[13:14], v[15:16]
	v_add_f64 v[15:16], v[17:18], -v[37:38]
	v_add_f64 v[17:18], v[15:16], v[13:14]
	v_mul_f64 v[19:20], v[17:18], s[4:5]
	v_add_f64 v[15:16], v[17:18], -v[15:16]
	v_fma_f64 v[21:22], v[17:18], s[4:5], -v[19:20]
	v_add_f64 v[13:14], v[13:14], -v[15:16]
	v_fma_f64 v[15:16], v[17:18], s[6:7], v[21:22]
	v_fma_f64 v[15:16], v[13:14], s[4:5], v[15:16]
	v_add_f64 v[13:14], v[19:20], v[15:16]
	v_add_f64 v[17:18], v[13:14], -v[19:20]
	v_add_f64 v[15:16], v[15:16], -v[17:18]
.LBB3_7:
	s_andn2_saveexec_b32 s2, s2
	s_cbranch_execz .LBB3_9
; %bb.8:
	s_mov_b32 s4, 0x6dc9c883
	s_mov_b32 s5, 0x3fe45f30
	;; [unrolled: 1-line block ×3, first 2 shown]
	v_mul_f64 v[13:14], |v[3:4]|, s[4:5]
	s_mov_b32 s4, 0x54442d18
	s_mov_b32 s5, 0xbff921fb
	;; [unrolled: 1-line block ×3, first 2 shown]
	v_rndne_f64_e32 v[17:18], v[13:14]
	v_fma_f64 v[13:14], v[17:18], s[4:5], |v[3:4]|
	v_mul_f64 v[15:16], v[17:18], s[6:7]
	s_mov_b32 s4, 0x252049c0
	s_mov_b32 s5, 0xb97b839a
	v_cvt_i32_f64_e32 v27, v[17:18]
	v_fma_f64 v[21:22], v[17:18], s[6:7], v[13:14]
	v_add_f64 v[19:20], v[13:14], v[15:16]
	s_mov_b32 s7, 0x3c91a626
	v_add_f64 v[13:14], v[13:14], -v[19:20]
	v_add_f64 v[19:20], v[19:20], -v[21:22]
	v_add_f64 v[13:14], v[13:14], v[15:16]
	v_fma_f64 v[15:16], v[17:18], s[6:7], v[15:16]
	v_add_f64 v[13:14], v[19:20], v[13:14]
	v_add_f64 v[13:14], v[13:14], -v[15:16]
	v_fma_f64 v[15:16], v[17:18], s[4:5], v[13:14]
	v_add_f64 v[13:14], v[21:22], v[15:16]
	v_add_f64 v[19:20], v[13:14], -v[21:22]
	v_add_f64 v[15:16], v[15:16], -v[19:20]
.LBB3_9:
	s_or_b32 exec_lo, exec_lo, s2
	s_waitcnt vmcnt(0)
	v_cmp_ngt_f64_e64 s2, 0x41d00000, |v[5:6]|
                                        ; implicit-def: $vgpr28
                                        ; implicit-def: $vgpr17_vgpr18
                                        ; implicit-def: $vgpr19_vgpr20
	s_and_saveexec_b32 s3, s2
	s_xor_b32 s2, exec_lo, s3
	s_cbranch_execz .LBB3_11
; %bb.10:
	v_ldexp_f64 v[17:18], |v[5:6]|, 0xffffff80
	v_cmp_le_f64_e64 vcc_lo, 0x7b000000, |v[5:6]|
	v_trig_preop_f64 v[19:20], |v[5:6]|, 0
	v_and_b32_e32 v21, 0x7fffffff, v6
	v_trig_preop_f64 v[34:35], |v[5:6]|, 2
	v_mov_b32_e32 v42, 0
	s_mov_b32 s4, 0x54442d18
	s_mov_b32 s5, 0x3ff921fb
	;; [unrolled: 1-line block ×4, first 2 shown]
	v_cndmask_b32_e32 v18, v21, v18, vcc_lo
	v_cndmask_b32_e32 v17, v5, v17, vcc_lo
	v_trig_preop_f64 v[21:22], |v[5:6]|, 1
	v_mul_f64 v[23:24], v[19:20], v[17:18]
	v_mul_f64 v[40:41], v[34:35], v[17:18]
	;; [unrolled: 1-line block ×3, first 2 shown]
	v_fma_f64 v[19:20], v[19:20], v[17:18], -v[23:24]
	v_fma_f64 v[21:22], v[21:22], v[17:18], -v[28:29]
	;; [unrolled: 1-line block ×3, first 2 shown]
	v_add_f64 v[30:31], v[28:29], v[19:20]
	v_add_f64 v[32:33], v[30:31], -v[28:29]
	v_add_f64 v[38:39], v[23:24], v[30:31]
	v_add_f64 v[36:37], v[30:31], -v[32:33]
	v_add_f64 v[19:20], v[19:20], -v[32:33]
	v_ldexp_f64 v[32:33], v[38:39], -2
	v_add_f64 v[23:24], v[38:39], -v[23:24]
	v_add_f64 v[28:29], v[28:29], -v[36:37]
	v_add_f64 v[36:37], v[40:41], v[21:22]
	v_cmp_neq_f64_e64 vcc_lo, 0x7ff00000, |v[32:33]|
	v_add_f64 v[23:24], v[30:31], -v[23:24]
	v_add_f64 v[19:20], v[19:20], v[28:29]
	v_fract_f64_e32 v[28:29], v[32:33]
	v_add_f64 v[30:31], v[36:37], v[19:20]
	v_ldexp_f64 v[28:29], v[28:29], 2
	v_add_f64 v[32:33], v[23:24], v[30:31]
	v_cndmask_b32_e32 v29, 0, v29, vcc_lo
	v_cndmask_b32_e32 v28, 0, v28, vcc_lo
	v_add_f64 v[38:39], v[32:33], v[28:29]
	v_add_f64 v[23:24], v[32:33], -v[23:24]
	v_cmp_gt_f64_e32 vcc_lo, 0, v[38:39]
	v_add_f64 v[38:39], v[36:37], -v[40:41]
	v_add_f64 v[23:24], v[30:31], -v[23:24]
	v_cndmask_b32_e64 v43, 0, 0x40100000, vcc_lo
	v_add_f64 v[47:48], v[36:37], -v[38:39]
	v_add_f64 v[21:22], v[21:22], -v[38:39]
	v_add_f64 v[28:29], v[28:29], v[42:43]
	v_add_f64 v[43:44], v[30:31], -v[36:37]
	v_add_f64 v[38:39], v[40:41], -v[47:48]
	v_add_f64 v[45:46], v[32:33], v[28:29]
	;; [unrolled: 3-line block ×3, first 2 shown]
	v_cvt_i32_f64_e32 v45, v[45:46]
	v_add_f64 v[36:37], v[36:37], -v[49:50]
	v_cvt_f64_i32_e32 v[43:44], v45
	v_add_f64 v[19:20], v[19:20], v[36:37]
	v_add_f64 v[28:29], v[28:29], -v[43:44]
	v_add_f64 v[19:20], v[21:22], v[19:20]
	v_add_f64 v[21:22], v[32:33], v[28:29]
	;; [unrolled: 1-line block ×3, first 2 shown]
	v_add_f64 v[19:20], v[21:22], -v[28:29]
	v_cmp_le_f64_e32 vcc_lo, 0.5, v[21:22]
	v_add_f64 v[17:18], v[23:24], v[17:18]
	v_add_f64 v[19:20], v[32:33], -v[19:20]
	v_cndmask_b32_e64 v43, 0, 0x3ff00000, vcc_lo
	v_add_co_ci_u32_e64 v28, null, 0, v45, vcc_lo
	v_add_f64 v[17:18], v[17:18], v[19:20]
	v_add_f64 v[19:20], v[21:22], -v[42:43]
	v_add_f64 v[21:22], v[19:20], v[17:18]
	v_mul_f64 v[23:24], v[21:22], s[4:5]
	v_add_f64 v[19:20], v[21:22], -v[19:20]
	v_fma_f64 v[29:30], v[21:22], s[4:5], -v[23:24]
	v_add_f64 v[17:18], v[17:18], -v[19:20]
	v_fma_f64 v[19:20], v[21:22], s[6:7], v[29:30]
	v_fma_f64 v[19:20], v[17:18], s[4:5], v[19:20]
	v_add_f64 v[17:18], v[23:24], v[19:20]
	v_add_f64 v[21:22], v[17:18], -v[23:24]
	v_add_f64 v[19:20], v[19:20], -v[21:22]
.LBB3_11:
	s_andn2_saveexec_b32 s2, s2
	s_cbranch_execz .LBB3_13
; %bb.12:
	s_mov_b32 s4, 0x6dc9c883
	s_mov_b32 s5, 0x3fe45f30
	;; [unrolled: 1-line block ×3, first 2 shown]
	v_mul_f64 v[17:18], |v[5:6]|, s[4:5]
	s_mov_b32 s4, 0x54442d18
	s_mov_b32 s5, 0xbff921fb
	;; [unrolled: 1-line block ×3, first 2 shown]
	v_rndne_f64_e32 v[21:22], v[17:18]
	v_fma_f64 v[17:18], v[21:22], s[4:5], |v[5:6]|
	v_mul_f64 v[19:20], v[21:22], s[6:7]
	s_mov_b32 s4, 0x252049c0
	s_mov_b32 s5, 0xb97b839a
	v_fma_f64 v[28:29], v[21:22], s[6:7], v[17:18]
	v_add_f64 v[23:24], v[17:18], v[19:20]
	s_mov_b32 s7, 0x3c91a626
	v_add_f64 v[17:18], v[17:18], -v[23:24]
	v_add_f64 v[23:24], v[23:24], -v[28:29]
	v_add_f64 v[17:18], v[17:18], v[19:20]
	v_fma_f64 v[19:20], v[21:22], s[6:7], v[19:20]
	v_add_f64 v[17:18], v[23:24], v[17:18]
	v_add_f64 v[17:18], v[17:18], -v[19:20]
	v_fma_f64 v[19:20], v[21:22], s[4:5], v[17:18]
	v_add_f64 v[17:18], v[28:29], v[19:20]
	v_add_f64 v[23:24], v[17:18], -v[28:29]
	v_cvt_i32_f64_e32 v28, v[21:22]
	v_add_f64 v[19:20], v[19:20], -v[23:24]
.LBB3_13:
	s_or_b32 exec_lo, exec_lo, s2
	v_cmp_ngt_f64_e64 s2, 0x41d00000, |v[7:8]|
                                        ; implicit-def: $vgpr29
                                        ; implicit-def: $vgpr21_vgpr22
                                        ; implicit-def: $vgpr23_vgpr24
	s_and_saveexec_b32 s3, s2
	s_xor_b32 s2, exec_lo, s3
	s_cbranch_execz .LBB3_15
; %bb.14:
	v_ldexp_f64 v[21:22], |v[7:8]|, 0xffffff80
	v_cmp_le_f64_e64 vcc_lo, 0x7b000000, |v[7:8]|
	v_trig_preop_f64 v[23:24], |v[7:8]|, 0
	v_and_b32_e32 v29, 0x7fffffff, v8
	v_trig_preop_f64 v[39:40], |v[7:8]|, 2
	v_mov_b32_e32 v47, 0
	s_mov_b32 s4, 0x54442d18
	s_mov_b32 s5, 0x3ff921fb
	;; [unrolled: 1-line block ×4, first 2 shown]
	v_cndmask_b32_e32 v22, v29, v22, vcc_lo
	v_cndmask_b32_e32 v21, v7, v21, vcc_lo
	v_trig_preop_f64 v[29:30], |v[7:8]|, 1
	v_mul_f64 v[31:32], v[23:24], v[21:22]
	v_mul_f64 v[45:46], v[39:40], v[21:22]
	;; [unrolled: 1-line block ×3, first 2 shown]
	v_fma_f64 v[23:24], v[23:24], v[21:22], -v[31:32]
	v_fma_f64 v[29:30], v[29:30], v[21:22], -v[33:34]
	;; [unrolled: 1-line block ×3, first 2 shown]
	v_add_f64 v[35:36], v[33:34], v[23:24]
	v_add_f64 v[37:38], v[35:36], -v[33:34]
	v_add_f64 v[43:44], v[31:32], v[35:36]
	v_add_f64 v[41:42], v[35:36], -v[37:38]
	v_add_f64 v[23:24], v[23:24], -v[37:38]
	v_ldexp_f64 v[37:38], v[43:44], -2
	v_add_f64 v[31:32], v[43:44], -v[31:32]
	v_add_f64 v[33:34], v[33:34], -v[41:42]
	v_add_f64 v[41:42], v[45:46], v[29:30]
	v_cmp_neq_f64_e64 vcc_lo, 0x7ff00000, |v[37:38]|
	v_add_f64 v[31:32], v[35:36], -v[31:32]
	v_add_f64 v[23:24], v[23:24], v[33:34]
	v_fract_f64_e32 v[33:34], v[37:38]
	v_add_f64 v[35:36], v[41:42], v[23:24]
	v_ldexp_f64 v[33:34], v[33:34], 2
	v_add_f64 v[37:38], v[31:32], v[35:36]
	v_cndmask_b32_e32 v34, 0, v34, vcc_lo
	v_cndmask_b32_e32 v33, 0, v33, vcc_lo
	v_add_f64 v[43:44], v[37:38], v[33:34]
	v_add_f64 v[31:32], v[37:38], -v[31:32]
	v_cmp_gt_f64_e32 vcc_lo, 0, v[43:44]
	v_add_f64 v[43:44], v[41:42], -v[45:46]
	v_cndmask_b32_e64 v48, 0, 0x40100000, vcc_lo
	v_add_f64 v[52:53], v[41:42], -v[43:44]
	v_add_f64 v[29:30], v[29:30], -v[43:44]
	v_add_f64 v[33:34], v[33:34], v[47:48]
	v_add_f64 v[48:49], v[35:36], -v[41:42]
	v_add_f64 v[43:44], v[45:46], -v[52:53]
	v_add_f64 v[50:51], v[37:38], v[33:34]
	;; [unrolled: 3-line block ×3, first 2 shown]
	v_cvt_i32_f64_e32 v50, v[50:51]
	v_add_f64 v[41:42], v[41:42], -v[54:55]
	v_cvt_f64_i32_e32 v[48:49], v50
	v_add_f64 v[23:24], v[23:24], v[41:42]
	v_add_f64 v[33:34], v[33:34], -v[48:49]
	v_add_f64 v[23:24], v[29:30], v[23:24]
	v_add_f64 v[29:30], v[35:36], -v[31:32]
	v_add_f64 v[39:40], v[37:38], v[33:34]
	v_add_f64 v[21:22], v[21:22], v[23:24]
	v_add_f64 v[23:24], v[39:40], -v[33:34]
	v_cmp_le_f64_e32 vcc_lo, 0.5, v[39:40]
	v_add_f64 v[21:22], v[29:30], v[21:22]
	v_add_f64 v[23:24], v[37:38], -v[23:24]
	v_cndmask_b32_e64 v48, 0, 0x3ff00000, vcc_lo
	v_add_co_ci_u32_e64 v29, null, 0, v50, vcc_lo
	v_add_f64 v[21:22], v[21:22], v[23:24]
	v_add_f64 v[23:24], v[39:40], -v[47:48]
	v_add_f64 v[30:31], v[23:24], v[21:22]
	v_mul_f64 v[32:33], v[30:31], s[4:5]
	v_add_f64 v[23:24], v[30:31], -v[23:24]
	v_fma_f64 v[34:35], v[30:31], s[4:5], -v[32:33]
	v_add_f64 v[21:22], v[21:22], -v[23:24]
	v_fma_f64 v[23:24], v[30:31], s[6:7], v[34:35]
	v_fma_f64 v[23:24], v[21:22], s[4:5], v[23:24]
	v_add_f64 v[21:22], v[32:33], v[23:24]
	v_add_f64 v[30:31], v[21:22], -v[32:33]
	v_add_f64 v[23:24], v[23:24], -v[30:31]
.LBB3_15:
	s_andn2_saveexec_b32 s2, s2
	s_cbranch_execz .LBB3_17
; %bb.16:
	s_mov_b32 s4, 0x6dc9c883
	s_mov_b32 s5, 0x3fe45f30
	;; [unrolled: 1-line block ×3, first 2 shown]
	v_mul_f64 v[21:22], |v[7:8]|, s[4:5]
	s_mov_b32 s4, 0x54442d18
	s_mov_b32 s5, 0xbff921fb
	;; [unrolled: 1-line block ×3, first 2 shown]
	v_rndne_f64_e32 v[29:30], v[21:22]
	v_fma_f64 v[21:22], v[29:30], s[4:5], |v[7:8]|
	v_mul_f64 v[23:24], v[29:30], s[6:7]
	s_mov_b32 s4, 0x252049c0
	s_mov_b32 s5, 0xb97b839a
	v_fma_f64 v[33:34], v[29:30], s[6:7], v[21:22]
	v_add_f64 v[31:32], v[21:22], v[23:24]
	s_mov_b32 s7, 0x3c91a626
	v_add_f64 v[21:22], v[21:22], -v[31:32]
	v_add_f64 v[31:32], v[31:32], -v[33:34]
	v_add_f64 v[21:22], v[21:22], v[23:24]
	v_fma_f64 v[23:24], v[29:30], s[6:7], v[23:24]
	v_add_f64 v[21:22], v[31:32], v[21:22]
	v_add_f64 v[21:22], v[21:22], -v[23:24]
	v_fma_f64 v[23:24], v[29:30], s[4:5], v[21:22]
	v_cvt_i32_f64_e32 v29, v[29:30]
	v_add_f64 v[21:22], v[33:34], v[23:24]
	v_add_f64 v[31:32], v[21:22], -v[33:34]
	v_add_f64 v[23:24], v[23:24], -v[31:32]
.LBB3_17:
	s_or_b32 exec_lo, exec_lo, s2
	v_mul_f64 v[30:31], v[17:18], v[17:18]
	v_mul_f64 v[32:33], v[13:14], v[13:14]
	s_mov_b32 s6, 0xb42fdfa7
	s_mov_b32 s14, 0xf9a43bb8
	;; [unrolled: 1-line block ×20, first 2 shown]
	v_fma_f64 v[34:35], v[30:31], s[14:15], s[6:7]
	v_mul_f64 v[36:37], v[30:31], 0.5
	v_fma_f64 v[38:39], v[32:33], s[14:15], s[6:7]
	v_fma_f64 v[40:41], v[30:31], s[4:5], s[2:3]
	v_mul_f64 v[42:43], v[32:33], 0.5
	v_fma_f64 v[48:49], v[32:33], s[4:5], s[2:3]
	v_mul_f64 v[52:53], v[19:20], 0.5
	v_mul_f64 v[54:55], v[15:16], 0.5
	v_mul_f64 v[58:59], v[17:18], -v[30:31]
	s_mov_b32 s24, 0x55555555
	s_mov_b32 s25, 0xbfc55555
	;; [unrolled: 1-line block ×4, first 2 shown]
	v_mul_f64 v[60:61], v[23:24], 0.5
	v_fma_f64 v[34:35], v[30:31], v[34:35], s[18:19]
	v_add_f64 v[44:45], -v[36:37], 1.0
	v_fma_f64 v[38:39], v[32:33], v[38:39], s[18:19]
	v_fma_f64 v[40:41], v[30:31], v[40:41], s[16:17]
	v_add_f64 v[46:47], -v[42:43], 1.0
	v_fma_f64 v[48:49], v[32:33], v[48:49], s[16:17]
	;; [unrolled: 3-line block ×4, first 2 shown]
	v_fma_f64 v[34:35], v[30:31], v[34:35], s[30:31]
	v_add_f64 v[36:37], v[50:51], -v[36:37]
	v_mul_f64 v[50:51], v[13:14], -v[32:33]
	v_fma_f64 v[38:39], v[32:33], v[38:39], s[30:31]
	v_fma_f64 v[40:41], v[30:31], v[40:41], s[26:27]
	v_add_f64 v[42:43], v[56:57], -v[42:43]
	v_mul_f64 v[56:57], v[9:10], v[9:10]
	v_fma_f64 v[48:49], v[32:33], v[48:49], s[26:27]
	v_fma_f64 v[34:35], v[58:59], v[34:35], v[52:53]
	v_mul_f64 v[52:53], v[21:22], v[21:22]
	v_fma_f64 v[36:37], v[17:18], -v[19:20], v[36:37]
	v_fma_f64 v[38:39], v[50:51], v[38:39], v[54:55]
	v_mul_f64 v[54:55], v[30:31], v[30:31]
	v_fma_f64 v[40:41], v[30:31], v[40:41], s[28:29]
	v_fma_f64 v[42:43], v[13:14], -v[15:16], v[42:43]
	v_fma_f64 v[48:49], v[32:33], v[48:49], s[28:29]
	v_fma_f64 v[19:20], v[30:31], v[34:35], -v[19:20]
	v_mul_f64 v[30:31], v[56:57], 0.5
	v_mul_f64 v[34:35], v[52:53], 0.5
	v_fma_f64 v[15:16], v[32:33], v[38:39], -v[15:16]
	v_mul_f64 v[62:63], v[21:22], -v[52:53]
	v_fma_f64 v[36:37], v[54:55], v[40:41], v[36:37]
	v_fma_f64 v[40:41], v[56:57], s[14:15], s[6:7]
	v_mul_f64 v[54:55], v[32:33], v[32:33]
	v_fma_f64 v[19:20], v[58:59], s[24:25], v[19:20]
	v_add_f64 v[32:33], -v[30:31], 1.0
	v_add_f64 v[38:39], -v[34:35], 1.0
	v_fma_f64 v[15:16], v[50:51], s[24:25], v[15:16]
	v_fma_f64 v[40:41], v[56:57], v[40:41], s[18:19]
	;; [unrolled: 1-line block ×3, first 2 shown]
	v_add_f64 v[17:18], v[17:18], -v[19:20]
	v_add_f64 v[48:49], -v[32:33], 1.0
	v_add_f64 v[54:55], -v[38:39], 1.0
	v_add_f64 v[13:14], v[13:14], -v[15:16]
	v_fma_f64 v[40:41], v[56:57], v[40:41], s[22:23]
	v_add_f64 v[19:20], v[46:47], v[42:43]
	v_add_f64 v[30:31], v[48:49], -v[30:31]
	v_mul_f64 v[48:49], v[11:12], 0.5
	v_add_f64 v[34:35], v[54:55], -v[34:35]
	v_mul_f64 v[54:55], v[9:10], -v[56:57]
	v_fma_f64 v[40:41], v[56:57], v[40:41], s[30:31]
	v_fma_f64 v[30:31], v[9:10], -v[11:12], v[30:31]
	v_fma_f64 v[34:35], v[21:22], -v[23:24], v[34:35]
	v_fma_f64 v[40:41], v[54:55], v[40:41], v[48:49]
	v_fma_f64 v[48:49], v[52:53], s[14:15], s[6:7]
	s_add_u32 s14, s8, s0
	s_addc_u32 s15, s9, s1
	v_cmp_class_f64_e64 s6, v[7:8], 0x1f8
	v_fma_f64 v[11:12], v[56:57], v[40:41], -v[11:12]
	v_fma_f64 v[48:49], v[52:53], v[48:49], s[18:19]
	v_fma_f64 v[40:41], v[56:57], s[4:5], s[2:3]
	;; [unrolled: 1-line block ×5, first 2 shown]
	v_add_f64 v[9:10], v[9:10], -v[11:12]
	v_fma_f64 v[48:49], v[52:53], v[48:49], s[30:31]
	v_fma_f64 v[40:41], v[56:57], v[40:41], s[20:21]
	;; [unrolled: 1-line block ×4, first 2 shown]
	v_fma_f64 v[23:24], v[52:53], v[48:49], -v[23:24]
	v_fma_f64 v[48:49], v[52:53], s[4:5], s[2:3]
	v_fma_f64 v[40:41], v[56:57], v[40:41], s[28:29]
	v_mul_f64 v[56:57], v[56:57], v[56:57]
	v_cmp_class_f64_e64 s2, v[3:4], 0x1f8
	v_cmp_class_f64_e64 s4, v[1:2], 0x1f8
	v_fma_f64 v[23:24], v[62:63], s[24:25], v[23:24]
	v_fma_f64 v[48:49], v[52:53], v[48:49], s[16:17]
	;; [unrolled: 1-line block ×3, first 2 shown]
	v_and_b32_e32 v40, 1, v28
	v_lshlrev_b32_e32 v41, 30, v28
	v_cmp_eq_u32_e32 vcc_lo, 0, v40
	v_add_f64 v[21:22], v[21:22], -v[23:24]
	v_fma_f64 v[48:49], v[52:53], v[48:49], s[20:21]
	v_add_co_u32 v24, s0, s14, v25
	v_add_f64 v[15:16], v[32:33], v[30:31]
	v_and_b32_e32 v30, 1, v29
	v_lshlrev_b32_e32 v23, 30, v29
	v_add_co_ci_u32_e64 v29, null, s15, 0, s0
	v_cmp_class_f64_e64 s0, v[5:6], 0x1f8
	v_xor_b32_e32 v31, v41, v6
	v_xor_b32_e32 v33, v23, v8
	v_cmp_eq_u32_e64 s5, 0, v30
	v_add_co_u32 v23, s7, 0x1000, v24
	v_and_b32_e32 v1, 0x80000000, v31
	v_and_b32_e32 v8, 0x80000000, v33
	v_add_co_ci_u32_e64 v24, null, 0, v29, s7
	v_fma_f64 v[48:49], v[52:53], v[48:49], s[26:27]
	v_fma_f64 v[48:49], v[52:53], v[48:49], s[28:29]
	v_mul_f64 v[52:53], v[52:53], v[52:53]
	v_fma_f64 v[34:35], v[52:53], v[48:49], v[34:35]
	v_and_b32_e32 v48, 1, v27
	v_lshlrev_b32_e32 v49, 30, v27
	v_add_f64 v[27:28], v[44:45], v[36:37]
	v_and_b32_e32 v36, 1, v26
	v_lshlrev_b32_e32 v26, 30, v26
	v_cmp_eq_u32_e64 s1, 0, v48
	v_xor_b32_e32 v32, v49, v4
	v_cmp_eq_u32_e64 s3, 0, v36
	v_xor_b32_e32 v26, v26, v2
	v_cndmask_b32_e64 v5, v19, v13, s1
	v_and_b32_e32 v4, 0x80000000, v32
	v_cndmask_b32_e64 v3, v15, v9, s3
	v_and_b32_e32 v6, 0x80000000, v26
	v_cndmask_b32_e64 v9, v20, v14, s1
	v_cndmask_b32_e64 v10, v16, v10, s3
	v_xor_b32_e32 v4, v9, v4
	v_add_f64 v[11:12], v[38:39], v[34:35]
	v_xor_b32_e32 v6, v10, v6
	v_cndmask_b32_e32 v7, v28, v18, vcc_lo
	v_cndmask_b32_e32 v17, v27, v17, vcc_lo
	v_cndmask_b32_e64 v6, 0x7ff80000, v6, s4
	v_cndmask_b32_e64 v2, v11, v21, s5
	;; [unrolled: 1-line block ×3, first 2 shown]
	v_xor_b32_e32 v12, v7, v1
	v_cndmask_b32_e64 v7, 0, v5, s2
	v_cndmask_b32_e64 v5, 0, v3, s4
	;; [unrolled: 1-line block ×3, first 2 shown]
	v_xor_b32_e32 v9, v11, v8
	v_cndmask_b32_e64 v8, 0x7ff80000, v4, s2
	v_cndmask_b32_e64 v3, 0, v2, s6
	;; [unrolled: 1-line block ×3, first 2 shown]
	s_mov_b32 s0, 0
	v_cndmask_b32_e64 v4, 0x7ff80000, v9, s6
	global_store_dwordx4 v25, v[5:8], s[14:15]
	global_store_dwordx4 v[23:24], v[1:4], off
.LBB3_18:
	s_and_b32 vcc_lo, exec_lo, s0
	s_cbranch_vccz .LBB3_51
; %bb.19:
	v_mov_b32_e32 v12, 0
	v_mov_b32_e32 v16, 0
	v_cmp_gt_i32_e32 vcc_lo, s33, v0
	v_mov_b32_e32 v13, 0
	v_or_b32_e32 v1, s12, v0
	v_or_b32_e32 v18, 0x100, v0
	v_mov_b32_e32 v17, 0
	v_mov_b32_e32 v4, v0
	s_and_saveexec_b32 s1, vcc_lo
	s_cbranch_execz .LBB3_21
; %bb.20:
	v_mov_b32_e32 v2, 0
	v_or_b32_e32 v4, 0x100, v0
	v_lshlrev_b64 v[2:3], 3, v[1:2]
	v_add_co_u32 v2, s0, s10, v2
	v_add_co_ci_u32_e64 v3, null, s11, v3, s0
	global_load_dwordx2 v[16:17], v[2:3], off
.LBB3_21:
	s_or_b32 exec_lo, exec_lo, s1
	s_mov_b32 s1, exec_lo
	v_cmpx_gt_i32_e64 s33, v4
	s_cbranch_execz .LBB3_23
; %bb.22:
	v_add_nc_u32_e32 v2, s12, v4
	v_mov_b32_e32 v3, 0
	v_add_nc_u32_e32 v4, 0x100, v4
	v_lshlrev_b64 v[2:3], 3, v[2:3]
	v_add_co_u32 v2, s0, s10, v2
	v_add_co_ci_u32_e64 v3, null, s11, v3, s0
	global_load_dwordx2 v[12:13], v[2:3], off
.LBB3_23:
	s_or_b32 exec_lo, exec_lo, s1
	v_mov_b32_e32 v2, 0
	v_mov_b32_e32 v6, 0
	v_mov_b32_e32 v3, 0
	v_mov_b32_e32 v7, 0
	s_mov_b32 s1, exec_lo
	v_cmpx_gt_i32_e64 s33, v4
	s_cbranch_execz .LBB3_25
; %bb.24:
	v_add_nc_u32_e32 v5, s12, v4
	v_mov_b32_e32 v6, 0
	v_add_nc_u32_e32 v4, 0x100, v4
	v_lshlrev_b64 v[5:6], 3, v[5:6]
	v_add_co_u32 v5, s0, s10, v5
	v_add_co_ci_u32_e64 v6, null, s11, v6, s0
	global_load_dwordx2 v[6:7], v[5:6], off
.LBB3_25:
	s_or_b32 exec_lo, exec_lo, s1
	s_mov_b32 s1, exec_lo
	v_cmpx_gt_i32_e64 s33, v4
	s_cbranch_execz .LBB3_27
; %bb.26:
	v_add_nc_u32_e32 v2, s12, v4
	v_mov_b32_e32 v3, 0
	v_lshlrev_b64 v[2:3], 3, v[2:3]
	v_add_co_u32 v2, s0, s10, v2
	v_add_co_ci_u32_e64 v3, null, s11, v3, s0
	global_load_dwordx2 v[2:3], v[2:3], off
.LBB3_27:
	s_or_b32 exec_lo, exec_lo, s1
	v_mov_b32_e32 v4, 0
	v_mov_b32_e32 v5, v4
	;; [unrolled: 1-line block ×8, first 2 shown]
	s_and_saveexec_b32 s2, vcc_lo
	s_cbranch_execz .LBB3_33
; %bb.28:
	s_mov_b32 s1, exec_lo
                                        ; implicit-def: $vgpr10
                                        ; implicit-def: $vgpr4_vgpr5
                                        ; implicit-def: $vgpr8_vgpr9
	s_waitcnt vmcnt(0)
	v_cmpx_ngt_f64_e64 0x41d00000, |v[16:17]|
	s_xor_b32 s1, exec_lo, s1
	s_cbranch_execz .LBB3_30
; %bb.29:
	v_ldexp_f64 v[4:5], |v[16:17]|, 0xffffff80
	v_cmp_le_f64_e64 s0, 0x7b000000, |v[16:17]|
	v_trig_preop_f64 v[8:9], |v[16:17]|, 0
	v_and_b32_e32 v10, 0x7fffffff, v17
	v_trig_preop_f64 v[25:26], |v[16:17]|, 2
	v_mov_b32_e32 v33, 0
	s_mov_b32 s4, 0x54442d18
	s_mov_b32 s5, 0x3ff921fb
	;; [unrolled: 1-line block ×4, first 2 shown]
	v_cndmask_b32_e64 v5, v10, v5, s0
	v_cndmask_b32_e64 v4, v16, v4, s0
	v_trig_preop_f64 v[10:11], |v[16:17]|, 1
	v_mul_f64 v[14:15], v[8:9], v[4:5]
	v_mul_f64 v[31:32], v[25:26], v[4:5]
	;; [unrolled: 1-line block ×3, first 2 shown]
	v_fma_f64 v[8:9], v[8:9], v[4:5], -v[14:15]
	v_fma_f64 v[10:11], v[10:11], v[4:5], -v[19:20]
	v_fma_f64 v[4:5], v[25:26], v[4:5], -v[31:32]
	v_add_f64 v[21:22], v[19:20], v[8:9]
	v_add_f64 v[23:24], v[21:22], -v[19:20]
	v_add_f64 v[29:30], v[14:15], v[21:22]
	v_add_f64 v[27:28], v[21:22], -v[23:24]
	v_add_f64 v[8:9], v[8:9], -v[23:24]
	v_ldexp_f64 v[23:24], v[29:30], -2
	v_add_f64 v[14:15], v[29:30], -v[14:15]
	v_add_f64 v[19:20], v[19:20], -v[27:28]
	v_add_f64 v[27:28], v[31:32], v[10:11]
	v_cmp_neq_f64_e64 s0, 0x7ff00000, |v[23:24]|
	v_add_f64 v[14:15], v[21:22], -v[14:15]
	v_add_f64 v[8:9], v[8:9], v[19:20]
	v_fract_f64_e32 v[19:20], v[23:24]
	v_add_f64 v[21:22], v[27:28], v[8:9]
	v_ldexp_f64 v[19:20], v[19:20], 2
	v_add_f64 v[23:24], v[14:15], v[21:22]
	v_cndmask_b32_e64 v20, 0, v20, s0
	v_cndmask_b32_e64 v19, 0, v19, s0
	v_add_f64 v[29:30], v[23:24], v[19:20]
	v_add_f64 v[14:15], v[23:24], -v[14:15]
	v_cmp_gt_f64_e64 s0, 0, v[29:30]
	v_add_f64 v[29:30], v[27:28], -v[31:32]
	v_cndmask_b32_e64 v34, 0, 0x40100000, s0
	v_add_f64 v[38:39], v[27:28], -v[29:30]
	v_add_f64 v[10:11], v[10:11], -v[29:30]
	v_add_f64 v[19:20], v[19:20], v[33:34]
	v_add_f64 v[34:35], v[21:22], -v[27:28]
	v_add_f64 v[29:30], v[31:32], -v[38:39]
	v_add_f64 v[36:37], v[23:24], v[19:20]
	;; [unrolled: 3-line block ×3, first 2 shown]
	v_cvt_i32_f64_e32 v36, v[36:37]
	v_add_f64 v[27:28], v[27:28], -v[40:41]
	v_cvt_f64_i32_e32 v[34:35], v36
	v_add_f64 v[8:9], v[8:9], v[27:28]
	v_add_f64 v[19:20], v[19:20], -v[34:35]
	v_add_f64 v[8:9], v[10:11], v[8:9]
	v_add_f64 v[10:11], v[21:22], -v[14:15]
	v_add_f64 v[25:26], v[23:24], v[19:20]
	v_add_f64 v[4:5], v[4:5], v[8:9]
	v_add_f64 v[8:9], v[25:26], -v[19:20]
	v_cmp_le_f64_e64 s0, 0.5, v[25:26]
	v_add_f64 v[4:5], v[10:11], v[4:5]
	v_add_f64 v[8:9], v[23:24], -v[8:9]
	v_cndmask_b32_e64 v34, 0, 0x3ff00000, s0
	v_add_co_ci_u32_e64 v10, null, 0, v36, s0
	v_add_f64 v[4:5], v[4:5], v[8:9]
	v_add_f64 v[8:9], v[25:26], -v[33:34]
	v_add_f64 v[14:15], v[8:9], v[4:5]
	v_mul_f64 v[19:20], v[14:15], s[4:5]
	v_add_f64 v[8:9], v[14:15], -v[8:9]
	v_fma_f64 v[21:22], v[14:15], s[4:5], -v[19:20]
	v_add_f64 v[4:5], v[4:5], -v[8:9]
	v_fma_f64 v[8:9], v[14:15], s[6:7], v[21:22]
	v_fma_f64 v[8:9], v[4:5], s[4:5], v[8:9]
	v_add_f64 v[4:5], v[19:20], v[8:9]
	v_add_f64 v[14:15], v[4:5], -v[19:20]
	v_add_f64 v[8:9], v[8:9], -v[14:15]
.LBB3_30:
	s_andn2_saveexec_b32 s0, s1
	s_cbranch_execz .LBB3_32
; %bb.31:
	s_mov_b32 s4, 0x6dc9c883
	s_mov_b32 s5, 0x3fe45f30
	;; [unrolled: 1-line block ×3, first 2 shown]
	v_mul_f64 v[4:5], |v[16:17]|, s[4:5]
	s_mov_b32 s4, 0x54442d18
	s_mov_b32 s5, 0xbff921fb
	;; [unrolled: 1-line block ×3, first 2 shown]
	v_rndne_f64_e32 v[10:11], v[4:5]
	v_fma_f64 v[4:5], v[10:11], s[4:5], |v[16:17]|
	v_mul_f64 v[8:9], v[10:11], s[6:7]
	s_mov_b32 s4, 0x252049c0
	s_mov_b32 s5, 0xb97b839a
	v_fma_f64 v[19:20], v[10:11], s[6:7], v[4:5]
	v_add_f64 v[14:15], v[4:5], v[8:9]
	s_mov_b32 s7, 0x3c91a626
	v_add_f64 v[4:5], v[4:5], -v[14:15]
	v_add_f64 v[14:15], v[14:15], -v[19:20]
	v_add_f64 v[4:5], v[4:5], v[8:9]
	v_fma_f64 v[8:9], v[10:11], s[6:7], v[8:9]
	v_add_f64 v[4:5], v[14:15], v[4:5]
	v_add_f64 v[4:5], v[4:5], -v[8:9]
	v_fma_f64 v[8:9], v[10:11], s[4:5], v[4:5]
	v_cvt_i32_f64_e32 v10, v[10:11]
	v_add_f64 v[4:5], v[19:20], v[8:9]
	v_add_f64 v[14:15], v[4:5], -v[19:20]
	v_add_f64 v[8:9], v[8:9], -v[14:15]
.LBB3_32:
	s_or_b32 exec_lo, exec_lo, s0
	v_mul_f64 v[14:15], v[4:5], v[4:5]
	s_mov_b32 s0, 0xb42fdfa7
	s_mov_b32 s4, 0xf9a43bb8
	;; [unrolled: 1-line block ×6, first 2 shown]
	v_mul_f64 v[27:28], v[8:9], 0.5
	v_fma_f64 v[19:20], v[14:15], s[4:5], s[0:1]
	s_mov_b32 s0, 0x9037ab78
	s_mov_b32 s4, 0x46cc5e42
	s_mov_b32 s1, 0x3e21eeb6
	s_mov_b32 s5, 0xbda907db
	v_mul_f64 v[23:24], v[14:15], 0.5
	v_fma_f64 v[21:22], v[14:15], s[4:5], s[0:1]
	s_mov_b32 s0, 0xa17f65f6
	s_mov_b32 s4, 0x19e83e5c
	;; [unrolled: 1-line block ×4, first 2 shown]
	v_mul_f64 v[29:30], v[4:5], -v[14:15]
	v_fma_f64 v[19:20], v[14:15], v[19:20], s[6:7]
	v_add_f64 v[25:26], -v[23:24], 1.0
	v_fma_f64 v[21:22], v[14:15], v[21:22], s[0:1]
	s_mov_b32 s0, 0x19f4ec90
	s_mov_b32 s1, 0x3efa01a0
	v_fma_f64 v[19:20], v[14:15], v[19:20], s[4:5]
	s_mov_b32 s4, 0x11110bb3
	s_mov_b32 s5, 0x3f811111
	v_add_f64 v[31:32], -v[25:26], 1.0
	v_fma_f64 v[21:22], v[14:15], v[21:22], s[0:1]
	s_mov_b32 s0, 0x16c16967
	s_mov_b32 s1, 0xbf56c16c
	v_fma_f64 v[19:20], v[14:15], v[19:20], s[4:5]
	v_add_f64 v[23:24], v[31:32], -v[23:24]
	v_fma_f64 v[21:22], v[14:15], v[21:22], s[0:1]
	s_mov_b32 s1, 0x3fa55555
	s_mov_b32 s0, 0x55555555
	v_fma_f64 v[19:20], v[29:30], v[19:20], v[27:28]
	v_mul_f64 v[27:28], v[14:15], v[14:15]
	v_fma_f64 v[23:24], v[4:5], -v[8:9], v[23:24]
	v_fma_f64 v[21:22], v[14:15], v[21:22], s[0:1]
	s_mov_b32 s1, 0xbfc55555
	v_fma_f64 v[8:9], v[14:15], v[19:20], -v[8:9]
	v_fma_f64 v[14:15], v[27:28], v[21:22], v[23:24]
	v_fma_f64 v[8:9], v[29:30], s[0:1], v[8:9]
	v_cmp_class_f64_e64 s1, v[16:17], 0x1f8
	v_add_f64 v[14:15], v[25:26], v[14:15]
	v_add_f64 v[4:5], v[4:5], -v[8:9]
	v_and_b32_e32 v8, 1, v10
	v_cmp_eq_u32_e64 s0, 0, v8
	v_lshlrev_b32_e32 v8, 30, v10
	v_xor_b32_e32 v8, v8, v17
	v_and_b32_e32 v8, 0x80000000, v8
	v_cndmask_b32_e64 v5, v15, v5, s0
	v_cndmask_b32_e64 v4, v14, v4, s0
	v_mov_b32_e32 v14, 0
	v_xor_b32_e32 v5, v5, v8
	v_cndmask_b32_e64 v4, 0, v4, s1
	v_mov_b32_e32 v15, v14
	v_mov_b32_e32 v10, v14
	;; [unrolled: 1-line block ×4, first 2 shown]
	v_cndmask_b32_e64 v5, 0x7ff80000, v5, s1
	v_mov_b32_e32 v9, v14
.LBB3_33:
	s_or_b32 exec_lo, exec_lo, s2
	s_mov_b32 s1, exec_lo
	v_cmpx_gt_i32_e64 s33, v18
	s_cbranch_execz .LBB3_39
; %bb.34:
	s_mov_b32 s2, exec_lo
                                        ; implicit-def: $vgpr19
                                        ; implicit-def: $vgpr14_vgpr15
                                        ; implicit-def: $vgpr16_vgpr17
	s_waitcnt vmcnt(0)
	v_cmpx_ngt_f64_e64 0x41d00000, |v[12:13]|
	s_xor_b32 s2, exec_lo, s2
	s_cbranch_execz .LBB3_36
; %bb.35:
	v_ldexp_f64 v[14:15], |v[12:13]|, 0xffffff80
	v_cmp_le_f64_e64 s0, 0x7b000000, |v[12:13]|
	v_trig_preop_f64 v[16:17], |v[12:13]|, 0
	v_and_b32_e32 v19, 0x7fffffff, v13
	v_trig_preop_f64 v[29:30], |v[12:13]|, 2
	v_mov_b32_e32 v37, 0
	s_mov_b32 s4, 0x54442d18
	s_mov_b32 s5, 0x3ff921fb
	;; [unrolled: 1-line block ×4, first 2 shown]
	v_cndmask_b32_e64 v15, v19, v15, s0
	v_cndmask_b32_e64 v14, v12, v14, s0
	v_trig_preop_f64 v[19:20], |v[12:13]|, 1
	v_mul_f64 v[21:22], v[16:17], v[14:15]
	v_mul_f64 v[35:36], v[29:30], v[14:15]
	;; [unrolled: 1-line block ×3, first 2 shown]
	v_fma_f64 v[16:17], v[16:17], v[14:15], -v[21:22]
	v_fma_f64 v[19:20], v[19:20], v[14:15], -v[23:24]
	;; [unrolled: 1-line block ×3, first 2 shown]
	v_add_f64 v[25:26], v[23:24], v[16:17]
	v_add_f64 v[27:28], v[25:26], -v[23:24]
	v_add_f64 v[33:34], v[21:22], v[25:26]
	v_add_f64 v[31:32], v[25:26], -v[27:28]
	v_add_f64 v[16:17], v[16:17], -v[27:28]
	v_ldexp_f64 v[27:28], v[33:34], -2
	v_add_f64 v[21:22], v[33:34], -v[21:22]
	v_add_f64 v[23:24], v[23:24], -v[31:32]
	v_add_f64 v[31:32], v[35:36], v[19:20]
	v_cmp_neq_f64_e64 s0, 0x7ff00000, |v[27:28]|
	v_add_f64 v[21:22], v[25:26], -v[21:22]
	v_add_f64 v[16:17], v[16:17], v[23:24]
	v_fract_f64_e32 v[23:24], v[27:28]
	v_add_f64 v[25:26], v[31:32], v[16:17]
	v_ldexp_f64 v[23:24], v[23:24], 2
	v_add_f64 v[27:28], v[21:22], v[25:26]
	v_cndmask_b32_e64 v24, 0, v24, s0
	v_cndmask_b32_e64 v23, 0, v23, s0
	v_add_f64 v[33:34], v[27:28], v[23:24]
	v_add_f64 v[21:22], v[27:28], -v[21:22]
	v_cmp_gt_f64_e64 s0, 0, v[33:34]
	v_add_f64 v[33:34], v[31:32], -v[35:36]
	v_cndmask_b32_e64 v38, 0, 0x40100000, s0
	v_add_f64 v[42:43], v[31:32], -v[33:34]
	v_add_f64 v[19:20], v[19:20], -v[33:34]
	v_add_f64 v[23:24], v[23:24], v[37:38]
	v_add_f64 v[38:39], v[25:26], -v[31:32]
	v_add_f64 v[33:34], v[35:36], -v[42:43]
	v_add_f64 v[40:41], v[27:28], v[23:24]
	;; [unrolled: 3-line block ×3, first 2 shown]
	v_cvt_i32_f64_e32 v40, v[40:41]
	v_add_f64 v[31:32], v[31:32], -v[44:45]
	v_cvt_f64_i32_e32 v[38:39], v40
	v_add_f64 v[16:17], v[16:17], v[31:32]
	v_add_f64 v[23:24], v[23:24], -v[38:39]
	v_add_f64 v[16:17], v[19:20], v[16:17]
	v_add_f64 v[19:20], v[25:26], -v[21:22]
	v_add_f64 v[29:30], v[27:28], v[23:24]
	v_add_f64 v[14:15], v[14:15], v[16:17]
	v_add_f64 v[16:17], v[29:30], -v[23:24]
	v_cmp_le_f64_e64 s0, 0.5, v[29:30]
	v_add_f64 v[14:15], v[19:20], v[14:15]
	v_add_f64 v[16:17], v[27:28], -v[16:17]
	v_cndmask_b32_e64 v38, 0, 0x3ff00000, s0
	v_add_co_ci_u32_e64 v19, null, 0, v40, s0
	v_add_f64 v[14:15], v[14:15], v[16:17]
	v_add_f64 v[16:17], v[29:30], -v[37:38]
	v_add_f64 v[20:21], v[16:17], v[14:15]
	v_mul_f64 v[22:23], v[20:21], s[4:5]
	v_add_f64 v[16:17], v[20:21], -v[16:17]
	v_fma_f64 v[24:25], v[20:21], s[4:5], -v[22:23]
	v_add_f64 v[14:15], v[14:15], -v[16:17]
	v_fma_f64 v[16:17], v[20:21], s[6:7], v[24:25]
	v_fma_f64 v[16:17], v[14:15], s[4:5], v[16:17]
	v_add_f64 v[14:15], v[22:23], v[16:17]
	v_add_f64 v[20:21], v[14:15], -v[22:23]
	v_add_f64 v[16:17], v[16:17], -v[20:21]
.LBB3_36:
	s_andn2_saveexec_b32 s0, s2
	s_cbranch_execz .LBB3_38
; %bb.37:
	s_mov_b32 s2, 0x6dc9c883
	s_mov_b32 s3, 0x3fe45f30
	;; [unrolled: 1-line block ×3, first 2 shown]
	v_mul_f64 v[14:15], |v[12:13]|, s[2:3]
	s_mov_b32 s2, 0x54442d18
	s_mov_b32 s3, 0xbff921fb
	;; [unrolled: 1-line block ×3, first 2 shown]
	v_rndne_f64_e32 v[19:20], v[14:15]
	v_fma_f64 v[14:15], v[19:20], s[2:3], |v[12:13]|
	v_mul_f64 v[16:17], v[19:20], s[4:5]
	s_mov_b32 s2, 0x252049c0
	s_mov_b32 s3, 0xb97b839a
	v_fma_f64 v[23:24], v[19:20], s[4:5], v[14:15]
	v_add_f64 v[21:22], v[14:15], v[16:17]
	s_mov_b32 s5, 0x3c91a626
	v_add_f64 v[14:15], v[14:15], -v[21:22]
	v_add_f64 v[21:22], v[21:22], -v[23:24]
	v_add_f64 v[14:15], v[14:15], v[16:17]
	v_fma_f64 v[16:17], v[19:20], s[4:5], v[16:17]
	v_add_f64 v[14:15], v[21:22], v[14:15]
	v_add_f64 v[14:15], v[14:15], -v[16:17]
	v_fma_f64 v[16:17], v[19:20], s[2:3], v[14:15]
	v_cvt_i32_f64_e32 v19, v[19:20]
	v_add_f64 v[14:15], v[23:24], v[16:17]
	v_add_f64 v[21:22], v[14:15], -v[23:24]
	v_add_f64 v[16:17], v[16:17], -v[21:22]
.LBB3_38:
	s_or_b32 exec_lo, exec_lo, s0
	v_mul_f64 v[20:21], v[14:15], v[14:15]
	s_mov_b32 s2, 0xb42fdfa7
	s_mov_b32 s4, 0xf9a43bb8
	;; [unrolled: 1-line block ×6, first 2 shown]
	v_mul_f64 v[30:31], v[16:17], 0.5
	v_fma_f64 v[22:23], v[20:21], s[4:5], s[2:3]
	s_mov_b32 s2, 0x9037ab78
	s_mov_b32 s4, 0x46cc5e42
	;; [unrolled: 1-line block ×4, first 2 shown]
	v_mul_f64 v[26:27], v[20:21], 0.5
	v_fma_f64 v[24:25], v[20:21], s[4:5], s[2:3]
	s_mov_b32 s2, 0xa17f65f6
	s_mov_b32 s4, 0x19e83e5c
	;; [unrolled: 1-line block ×4, first 2 shown]
	v_mul_f64 v[32:33], v[14:15], -v[20:21]
	v_fma_f64 v[22:23], v[20:21], v[22:23], s[6:7]
	v_add_f64 v[28:29], -v[26:27], 1.0
	v_fma_f64 v[24:25], v[20:21], v[24:25], s[2:3]
	s_mov_b32 s2, 0x19f4ec90
	s_mov_b32 s3, 0x3efa01a0
	v_fma_f64 v[22:23], v[20:21], v[22:23], s[4:5]
	s_mov_b32 s4, 0x11110bb3
	s_mov_b32 s5, 0x3f811111
	v_add_f64 v[34:35], -v[28:29], 1.0
	v_fma_f64 v[24:25], v[20:21], v[24:25], s[2:3]
	s_mov_b32 s2, 0x16c16967
	s_mov_b32 s3, 0xbf56c16c
	v_fma_f64 v[22:23], v[20:21], v[22:23], s[4:5]
	v_add_f64 v[26:27], v[34:35], -v[26:27]
	v_fma_f64 v[24:25], v[20:21], v[24:25], s[2:3]
	s_mov_b32 s3, 0x3fa55555
	s_mov_b32 s2, 0x55555555
	v_fma_f64 v[22:23], v[32:33], v[22:23], v[30:31]
	v_mul_f64 v[30:31], v[20:21], v[20:21]
	v_fma_f64 v[26:27], v[14:15], -v[16:17], v[26:27]
	v_fma_f64 v[24:25], v[20:21], v[24:25], s[2:3]
	s_mov_b32 s3, 0xbfc55555
	v_fma_f64 v[16:17], v[20:21], v[22:23], -v[16:17]
	v_fma_f64 v[20:21], v[30:31], v[24:25], v[26:27]
	v_fma_f64 v[16:17], v[32:33], s[2:3], v[16:17]
	v_add_f64 v[20:21], v[28:29], v[20:21]
	v_add_f64 v[14:15], v[14:15], -v[16:17]
	v_and_b32_e32 v17, 1, v19
	v_lshlrev_b32_e32 v16, 30, v19
	v_cmp_eq_u32_e64 s0, 0, v17
	v_xor_b32_e32 v16, v16, v13
	v_and_b32_e32 v16, 0x80000000, v16
	v_cndmask_b32_e64 v14, v20, v14, s0
	v_cndmask_b32_e64 v15, v21, v15, s0
	v_cmp_class_f64_e64 s0, v[12:13], 0x1f8
	v_xor_b32_e32 v15, v15, v16
	v_cndmask_b32_e64 v15, 0x7ff80000, v15, s0
	v_cndmask_b32_e64 v14, 0, v14, s0
.LBB3_39:
	s_or_b32 exec_lo, exec_lo, s1
	s_waitcnt vmcnt(0)
	v_or_b32_e32 v12, 0x200, v0
	s_mov_b32 s1, exec_lo
	v_cmpx_gt_i32_e64 s33, v12
	s_cbranch_execz .LBB3_45
; %bb.40:
	s_mov_b32 s2, exec_lo
                                        ; implicit-def: $vgpr16
                                        ; implicit-def: $vgpr10_vgpr11
                                        ; implicit-def: $vgpr12_vgpr13
	v_cmpx_ngt_f64_e64 0x41d00000, |v[6:7]|
	s_xor_b32 s2, exec_lo, s2
	s_cbranch_execz .LBB3_42
; %bb.41:
	v_ldexp_f64 v[10:11], |v[6:7]|, 0xffffff80
	v_cmp_le_f64_e64 s0, 0x7b000000, |v[6:7]|
	v_trig_preop_f64 v[12:13], |v[6:7]|, 0
	v_and_b32_e32 v16, 0x7fffffff, v7
	v_trig_preop_f64 v[27:28], |v[6:7]|, 2
	v_mov_b32_e32 v35, 0
	s_mov_b32 s4, 0x54442d18
	s_mov_b32 s5, 0x3ff921fb
	;; [unrolled: 1-line block ×4, first 2 shown]
	v_cndmask_b32_e64 v11, v16, v11, s0
	v_cndmask_b32_e64 v10, v6, v10, s0
	v_trig_preop_f64 v[16:17], |v[6:7]|, 1
	v_mul_f64 v[19:20], v[12:13], v[10:11]
	v_mul_f64 v[33:34], v[27:28], v[10:11]
	;; [unrolled: 1-line block ×3, first 2 shown]
	v_fma_f64 v[12:13], v[12:13], v[10:11], -v[19:20]
	v_fma_f64 v[16:17], v[16:17], v[10:11], -v[21:22]
	;; [unrolled: 1-line block ×3, first 2 shown]
	v_add_f64 v[23:24], v[21:22], v[12:13]
	v_add_f64 v[25:26], v[23:24], -v[21:22]
	v_add_f64 v[31:32], v[19:20], v[23:24]
	v_add_f64 v[29:30], v[23:24], -v[25:26]
	v_add_f64 v[12:13], v[12:13], -v[25:26]
	v_ldexp_f64 v[25:26], v[31:32], -2
	v_add_f64 v[19:20], v[31:32], -v[19:20]
	v_add_f64 v[21:22], v[21:22], -v[29:30]
	v_add_f64 v[29:30], v[33:34], v[16:17]
	v_cmp_neq_f64_e64 s0, 0x7ff00000, |v[25:26]|
	v_add_f64 v[19:20], v[23:24], -v[19:20]
	v_add_f64 v[12:13], v[12:13], v[21:22]
	v_fract_f64_e32 v[21:22], v[25:26]
	v_add_f64 v[23:24], v[29:30], v[12:13]
	v_ldexp_f64 v[21:22], v[21:22], 2
	v_add_f64 v[25:26], v[19:20], v[23:24]
	v_cndmask_b32_e64 v22, 0, v22, s0
	v_cndmask_b32_e64 v21, 0, v21, s0
	v_add_f64 v[31:32], v[25:26], v[21:22]
	v_add_f64 v[19:20], v[25:26], -v[19:20]
	v_cmp_gt_f64_e64 s0, 0, v[31:32]
	v_add_f64 v[31:32], v[29:30], -v[33:34]
	v_cndmask_b32_e64 v36, 0, 0x40100000, s0
	v_add_f64 v[40:41], v[29:30], -v[31:32]
	v_add_f64 v[16:17], v[16:17], -v[31:32]
	v_add_f64 v[21:22], v[21:22], v[35:36]
	v_add_f64 v[36:37], v[23:24], -v[29:30]
	v_add_f64 v[31:32], v[33:34], -v[40:41]
	v_add_f64 v[38:39], v[25:26], v[21:22]
	;; [unrolled: 3-line block ×3, first 2 shown]
	v_cvt_i32_f64_e32 v38, v[38:39]
	v_add_f64 v[29:30], v[29:30], -v[42:43]
	v_cvt_f64_i32_e32 v[36:37], v38
	v_add_f64 v[12:13], v[12:13], v[29:30]
	v_add_f64 v[21:22], v[21:22], -v[36:37]
	v_add_f64 v[12:13], v[16:17], v[12:13]
	v_add_f64 v[16:17], v[23:24], -v[19:20]
	v_add_f64 v[27:28], v[25:26], v[21:22]
	v_add_f64 v[10:11], v[10:11], v[12:13]
	v_add_f64 v[12:13], v[27:28], -v[21:22]
	v_cmp_le_f64_e64 s0, 0.5, v[27:28]
	v_add_f64 v[10:11], v[16:17], v[10:11]
	v_add_f64 v[12:13], v[25:26], -v[12:13]
	v_cndmask_b32_e64 v36, 0, 0x3ff00000, s0
	v_add_co_ci_u32_e64 v16, null, 0, v38, s0
	v_add_f64 v[10:11], v[10:11], v[12:13]
	v_add_f64 v[12:13], v[27:28], -v[35:36]
	v_add_f64 v[19:20], v[12:13], v[10:11]
	v_mul_f64 v[21:22], v[19:20], s[4:5]
	v_add_f64 v[12:13], v[19:20], -v[12:13]
	v_fma_f64 v[23:24], v[19:20], s[4:5], -v[21:22]
	v_add_f64 v[10:11], v[10:11], -v[12:13]
	v_fma_f64 v[12:13], v[19:20], s[6:7], v[23:24]
	v_fma_f64 v[12:13], v[10:11], s[4:5], v[12:13]
	v_add_f64 v[10:11], v[21:22], v[12:13]
	v_add_f64 v[19:20], v[10:11], -v[21:22]
	v_add_f64 v[12:13], v[12:13], -v[19:20]
.LBB3_42:
	s_andn2_saveexec_b32 s0, s2
	s_cbranch_execz .LBB3_44
; %bb.43:
	s_mov_b32 s2, 0x6dc9c883
	s_mov_b32 s3, 0x3fe45f30
	;; [unrolled: 1-line block ×3, first 2 shown]
	v_mul_f64 v[10:11], |v[6:7]|, s[2:3]
	s_mov_b32 s2, 0x54442d18
	s_mov_b32 s3, 0xbff921fb
	;; [unrolled: 1-line block ×3, first 2 shown]
	v_rndne_f64_e32 v[16:17], v[10:11]
	v_fma_f64 v[10:11], v[16:17], s[2:3], |v[6:7]|
	v_mul_f64 v[12:13], v[16:17], s[4:5]
	s_mov_b32 s2, 0x252049c0
	s_mov_b32 s3, 0xb97b839a
	v_fma_f64 v[21:22], v[16:17], s[4:5], v[10:11]
	v_add_f64 v[19:20], v[10:11], v[12:13]
	s_mov_b32 s5, 0x3c91a626
	v_add_f64 v[10:11], v[10:11], -v[19:20]
	v_add_f64 v[19:20], v[19:20], -v[21:22]
	v_add_f64 v[10:11], v[10:11], v[12:13]
	v_fma_f64 v[12:13], v[16:17], s[4:5], v[12:13]
	v_add_f64 v[10:11], v[19:20], v[10:11]
	v_add_f64 v[10:11], v[10:11], -v[12:13]
	v_fma_f64 v[12:13], v[16:17], s[2:3], v[10:11]
	v_cvt_i32_f64_e32 v16, v[16:17]
	v_add_f64 v[10:11], v[21:22], v[12:13]
	v_add_f64 v[19:20], v[10:11], -v[21:22]
	v_add_f64 v[12:13], v[12:13], -v[19:20]
.LBB3_44:
	s_or_b32 exec_lo, exec_lo, s0
	v_mul_f64 v[19:20], v[10:11], v[10:11]
	s_mov_b32 s2, 0xb42fdfa7
	s_mov_b32 s4, 0xf9a43bb8
	;; [unrolled: 1-line block ×6, first 2 shown]
	v_mul_f64 v[29:30], v[12:13], 0.5
	v_fma_f64 v[21:22], v[19:20], s[4:5], s[2:3]
	s_mov_b32 s2, 0x9037ab78
	s_mov_b32 s4, 0x46cc5e42
	s_mov_b32 s3, 0x3e21eeb6
	s_mov_b32 s5, 0xbda907db
	v_mul_f64 v[25:26], v[19:20], 0.5
	v_fma_f64 v[23:24], v[19:20], s[4:5], s[2:3]
	s_mov_b32 s2, 0xa17f65f6
	s_mov_b32 s4, 0x19e83e5c
	;; [unrolled: 1-line block ×4, first 2 shown]
	v_mul_f64 v[31:32], v[10:11], -v[19:20]
	v_fma_f64 v[21:22], v[19:20], v[21:22], s[6:7]
	v_add_f64 v[27:28], -v[25:26], 1.0
	v_fma_f64 v[23:24], v[19:20], v[23:24], s[2:3]
	s_mov_b32 s2, 0x19f4ec90
	s_mov_b32 s3, 0x3efa01a0
	v_fma_f64 v[21:22], v[19:20], v[21:22], s[4:5]
	s_mov_b32 s4, 0x11110bb3
	s_mov_b32 s5, 0x3f811111
	v_add_f64 v[33:34], -v[27:28], 1.0
	v_fma_f64 v[23:24], v[19:20], v[23:24], s[2:3]
	s_mov_b32 s2, 0x16c16967
	s_mov_b32 s3, 0xbf56c16c
	v_fma_f64 v[21:22], v[19:20], v[21:22], s[4:5]
	v_add_f64 v[25:26], v[33:34], -v[25:26]
	v_fma_f64 v[23:24], v[19:20], v[23:24], s[2:3]
	s_mov_b32 s3, 0x3fa55555
	s_mov_b32 s2, 0x55555555
	v_fma_f64 v[21:22], v[31:32], v[21:22], v[29:30]
	v_mul_f64 v[29:30], v[19:20], v[19:20]
	v_fma_f64 v[25:26], v[10:11], -v[12:13], v[25:26]
	v_fma_f64 v[23:24], v[19:20], v[23:24], s[2:3]
	s_mov_b32 s3, 0xbfc55555
	v_fma_f64 v[12:13], v[19:20], v[21:22], -v[12:13]
	v_fma_f64 v[19:20], v[29:30], v[23:24], v[25:26]
	v_fma_f64 v[12:13], v[31:32], s[2:3], v[12:13]
	v_add_f64 v[19:20], v[27:28], v[19:20]
	v_add_f64 v[10:11], v[10:11], -v[12:13]
	v_and_b32_e32 v13, 1, v16
	v_lshlrev_b32_e32 v12, 30, v16
	v_cmp_eq_u32_e64 s0, 0, v13
	v_xor_b32_e32 v12, v12, v7
	v_and_b32_e32 v12, 0x80000000, v12
	v_cndmask_b32_e64 v10, v19, v10, s0
	v_cndmask_b32_e64 v11, v20, v11, s0
	v_cmp_class_f64_e64 s0, v[6:7], 0x1f8
	v_xor_b32_e32 v11, v11, v12
	v_cndmask_b32_e64 v11, 0x7ff80000, v11, s0
	v_cndmask_b32_e64 v10, 0, v10, s0
.LBB3_45:
	s_or_b32 exec_lo, exec_lo, s1
	v_or_b32_e32 v6, 0x300, v0
	s_mov_b32 s1, exec_lo
	v_cmpx_gt_i32_e64 s33, v6
	s_cbranch_execnz .LBB3_52
; %bb.46:
	s_or_b32 exec_lo, exec_lo, s1
	s_and_saveexec_b32 s0, vcc_lo
	s_xor_b32 s0, exec_lo, s0
	s_cbranch_execnz .LBB3_57
.LBB3_47:
	s_or_b32 exec_lo, exec_lo, s0
	s_mov_b32 s0, exec_lo
	v_cmpx_gt_i32_e64 s33, v0
	s_cbranch_execnz .LBB3_58
.LBB3_48:
	s_or_b32 exec_lo, exec_lo, s0
	s_mov_b32 s0, exec_lo
	v_cmpx_gt_i32_e64 s33, v0
	s_cbranch_execnz .LBB3_59
.LBB3_49:
	s_or_b32 exec_lo, exec_lo, s0
	s_mov_b32 s0, exec_lo
	v_cmpx_gt_i32_e64 s33, v0
	s_cbranch_execz .LBB3_51
.LBB3_50:
	v_add_nc_u32_e32 v0, s12, v0
	v_mov_b32_e32 v1, 0
	v_lshlrev_b64 v[0:1], 3, v[0:1]
	v_add_co_u32 v0, vcc_lo, s8, v0
	v_add_co_ci_u32_e64 v1, null, s9, v1, vcc_lo
	global_store_dwordx2 v[0:1], v[8:9], off
.LBB3_51:
	s_endpgm
.LBB3_52:
	s_mov_b32 s2, exec_lo
                                        ; implicit-def: $vgpr12
                                        ; implicit-def: $vgpr6_vgpr7
                                        ; implicit-def: $vgpr8_vgpr9
	v_cmpx_ngt_f64_e64 0x41d00000, |v[2:3]|
	s_xor_b32 s2, exec_lo, s2
	s_cbranch_execz .LBB3_54
; %bb.53:
	v_ldexp_f64 v[6:7], |v[2:3]|, 0xffffff80
	v_cmp_le_f64_e64 s0, 0x7b000000, |v[2:3]|
	v_trig_preop_f64 v[8:9], |v[2:3]|, 0
	v_and_b32_e32 v12, 0x7fffffff, v3
	v_trig_preop_f64 v[25:26], |v[2:3]|, 2
	v_mov_b32_e32 v33, 0
	s_mov_b32 s4, 0x54442d18
	s_mov_b32 s5, 0x3ff921fb
	;; [unrolled: 1-line block ×4, first 2 shown]
	v_cndmask_b32_e64 v7, v12, v7, s0
	v_cndmask_b32_e64 v6, v2, v6, s0
	v_trig_preop_f64 v[12:13], |v[2:3]|, 1
	v_mul_f64 v[16:17], v[8:9], v[6:7]
	v_mul_f64 v[31:32], v[25:26], v[6:7]
	;; [unrolled: 1-line block ×3, first 2 shown]
	v_fma_f64 v[8:9], v[8:9], v[6:7], -v[16:17]
	v_fma_f64 v[12:13], v[12:13], v[6:7], -v[19:20]
	;; [unrolled: 1-line block ×3, first 2 shown]
	v_add_f64 v[21:22], v[19:20], v[8:9]
	v_add_f64 v[23:24], v[21:22], -v[19:20]
	v_add_f64 v[29:30], v[16:17], v[21:22]
	v_add_f64 v[27:28], v[21:22], -v[23:24]
	v_add_f64 v[8:9], v[8:9], -v[23:24]
	v_ldexp_f64 v[23:24], v[29:30], -2
	v_add_f64 v[16:17], v[29:30], -v[16:17]
	v_add_f64 v[19:20], v[19:20], -v[27:28]
	v_add_f64 v[27:28], v[31:32], v[12:13]
	v_cmp_neq_f64_e64 s0, 0x7ff00000, |v[23:24]|
	v_add_f64 v[16:17], v[21:22], -v[16:17]
	v_add_f64 v[8:9], v[8:9], v[19:20]
	v_fract_f64_e32 v[19:20], v[23:24]
	v_add_f64 v[21:22], v[27:28], v[8:9]
	v_ldexp_f64 v[19:20], v[19:20], 2
	v_add_f64 v[23:24], v[16:17], v[21:22]
	v_cndmask_b32_e64 v20, 0, v20, s0
	v_cndmask_b32_e64 v19, 0, v19, s0
	v_add_f64 v[29:30], v[23:24], v[19:20]
	v_add_f64 v[16:17], v[23:24], -v[16:17]
	v_cmp_gt_f64_e64 s0, 0, v[29:30]
	v_add_f64 v[29:30], v[27:28], -v[31:32]
	v_cndmask_b32_e64 v34, 0, 0x40100000, s0
	v_add_f64 v[38:39], v[27:28], -v[29:30]
	v_add_f64 v[12:13], v[12:13], -v[29:30]
	v_add_f64 v[19:20], v[19:20], v[33:34]
	v_add_f64 v[34:35], v[21:22], -v[27:28]
	v_add_f64 v[29:30], v[31:32], -v[38:39]
	v_add_f64 v[36:37], v[23:24], v[19:20]
	;; [unrolled: 3-line block ×3, first 2 shown]
	v_cvt_i32_f64_e32 v36, v[36:37]
	v_add_f64 v[27:28], v[27:28], -v[40:41]
	v_cvt_f64_i32_e32 v[34:35], v36
	v_add_f64 v[8:9], v[8:9], v[27:28]
	v_add_f64 v[19:20], v[19:20], -v[34:35]
	v_add_f64 v[8:9], v[12:13], v[8:9]
	v_add_f64 v[12:13], v[21:22], -v[16:17]
	v_add_f64 v[25:26], v[23:24], v[19:20]
	v_add_f64 v[6:7], v[6:7], v[8:9]
	v_add_f64 v[8:9], v[25:26], -v[19:20]
	v_cmp_le_f64_e64 s0, 0.5, v[25:26]
	v_add_f64 v[6:7], v[12:13], v[6:7]
	v_add_f64 v[8:9], v[23:24], -v[8:9]
	v_cndmask_b32_e64 v34, 0, 0x3ff00000, s0
	v_add_co_ci_u32_e64 v12, null, 0, v36, s0
	v_add_f64 v[6:7], v[6:7], v[8:9]
	v_add_f64 v[8:9], v[25:26], -v[33:34]
	v_add_f64 v[16:17], v[8:9], v[6:7]
	v_mul_f64 v[19:20], v[16:17], s[4:5]
	v_add_f64 v[8:9], v[16:17], -v[8:9]
	v_fma_f64 v[21:22], v[16:17], s[4:5], -v[19:20]
	v_add_f64 v[6:7], v[6:7], -v[8:9]
	v_fma_f64 v[8:9], v[16:17], s[6:7], v[21:22]
	v_fma_f64 v[8:9], v[6:7], s[4:5], v[8:9]
	v_add_f64 v[6:7], v[19:20], v[8:9]
	v_add_f64 v[16:17], v[6:7], -v[19:20]
	v_add_f64 v[8:9], v[8:9], -v[16:17]
.LBB3_54:
	s_andn2_saveexec_b32 s0, s2
	s_cbranch_execz .LBB3_56
; %bb.55:
	s_mov_b32 s2, 0x6dc9c883
	s_mov_b32 s3, 0x3fe45f30
	;; [unrolled: 1-line block ×3, first 2 shown]
	v_mul_f64 v[6:7], |v[2:3]|, s[2:3]
	s_mov_b32 s2, 0x54442d18
	s_mov_b32 s3, 0xbff921fb
	;; [unrolled: 1-line block ×3, first 2 shown]
	v_rndne_f64_e32 v[12:13], v[6:7]
	v_fma_f64 v[6:7], v[12:13], s[2:3], |v[2:3]|
	v_mul_f64 v[8:9], v[12:13], s[4:5]
	s_mov_b32 s2, 0x252049c0
	s_mov_b32 s3, 0xb97b839a
	v_fma_f64 v[19:20], v[12:13], s[4:5], v[6:7]
	v_add_f64 v[16:17], v[6:7], v[8:9]
	s_mov_b32 s5, 0x3c91a626
	v_add_f64 v[6:7], v[6:7], -v[16:17]
	v_add_f64 v[16:17], v[16:17], -v[19:20]
	v_add_f64 v[6:7], v[6:7], v[8:9]
	v_fma_f64 v[8:9], v[12:13], s[4:5], v[8:9]
	v_add_f64 v[6:7], v[16:17], v[6:7]
	v_add_f64 v[6:7], v[6:7], -v[8:9]
	v_fma_f64 v[8:9], v[12:13], s[2:3], v[6:7]
	v_cvt_i32_f64_e32 v12, v[12:13]
	v_add_f64 v[6:7], v[19:20], v[8:9]
	v_add_f64 v[16:17], v[6:7], -v[19:20]
	v_add_f64 v[8:9], v[8:9], -v[16:17]
.LBB3_56:
	s_or_b32 exec_lo, exec_lo, s0
	v_mul_f64 v[16:17], v[6:7], v[6:7]
	s_mov_b32 s2, 0xb42fdfa7
	s_mov_b32 s4, 0xf9a43bb8
	;; [unrolled: 1-line block ×6, first 2 shown]
	v_mul_f64 v[27:28], v[8:9], 0.5
	v_fma_f64 v[19:20], v[16:17], s[4:5], s[2:3]
	s_mov_b32 s2, 0x9037ab78
	s_mov_b32 s4, 0x46cc5e42
	;; [unrolled: 1-line block ×4, first 2 shown]
	v_mul_f64 v[23:24], v[16:17], 0.5
	v_fma_f64 v[21:22], v[16:17], s[4:5], s[2:3]
	s_mov_b32 s2, 0xa17f65f6
	s_mov_b32 s4, 0x19e83e5c
	;; [unrolled: 1-line block ×4, first 2 shown]
	v_mul_f64 v[29:30], v[6:7], -v[16:17]
	v_fma_f64 v[19:20], v[16:17], v[19:20], s[6:7]
	v_add_f64 v[25:26], -v[23:24], 1.0
	v_fma_f64 v[21:22], v[16:17], v[21:22], s[2:3]
	s_mov_b32 s2, 0x19f4ec90
	s_mov_b32 s3, 0x3efa01a0
	v_fma_f64 v[19:20], v[16:17], v[19:20], s[4:5]
	s_mov_b32 s4, 0x11110bb3
	s_mov_b32 s5, 0x3f811111
	v_add_f64 v[31:32], -v[25:26], 1.0
	v_fma_f64 v[21:22], v[16:17], v[21:22], s[2:3]
	s_mov_b32 s2, 0x16c16967
	s_mov_b32 s3, 0xbf56c16c
	v_fma_f64 v[19:20], v[16:17], v[19:20], s[4:5]
	v_add_f64 v[23:24], v[31:32], -v[23:24]
	v_fma_f64 v[21:22], v[16:17], v[21:22], s[2:3]
	s_mov_b32 s3, 0x3fa55555
	s_mov_b32 s2, 0x55555555
	v_fma_f64 v[19:20], v[29:30], v[19:20], v[27:28]
	v_mul_f64 v[27:28], v[16:17], v[16:17]
	v_fma_f64 v[23:24], v[6:7], -v[8:9], v[23:24]
	v_fma_f64 v[21:22], v[16:17], v[21:22], s[2:3]
	s_mov_b32 s3, 0xbfc55555
	v_fma_f64 v[8:9], v[16:17], v[19:20], -v[8:9]
	v_fma_f64 v[16:17], v[27:28], v[21:22], v[23:24]
	v_fma_f64 v[8:9], v[29:30], s[2:3], v[8:9]
	v_add_f64 v[16:17], v[25:26], v[16:17]
	v_add_f64 v[6:7], v[6:7], -v[8:9]
	v_and_b32_e32 v9, 1, v12
	v_lshlrev_b32_e32 v8, 30, v12
	v_cmp_eq_u32_e64 s0, 0, v9
	v_xor_b32_e32 v8, v8, v3
	v_and_b32_e32 v8, 0x80000000, v8
	v_cndmask_b32_e64 v6, v16, v6, s0
	v_cndmask_b32_e64 v7, v17, v7, s0
	v_cmp_class_f64_e64 s0, v[2:3], 0x1f8
	v_xor_b32_e32 v7, v7, v8
	v_cndmask_b32_e64 v9, 0x7ff80000, v7, s0
	v_cndmask_b32_e64 v8, 0, v6, s0
	s_or_b32 exec_lo, exec_lo, s1
	s_and_saveexec_b32 s0, vcc_lo
	s_xor_b32 s0, exec_lo, s0
	s_cbranch_execz .LBB3_47
.LBB3_57:
	v_mov_b32_e32 v2, 0
	v_lshlrev_b64 v[0:1], 3, v[1:2]
	v_add_co_u32 v2, vcc_lo, s8, v0
	v_add_co_ci_u32_e64 v3, null, s9, v1, vcc_lo
	v_mov_b32_e32 v0, v18
	global_store_dwordx2 v[2:3], v[4:5], off
	s_or_b32 exec_lo, exec_lo, s0
	s_mov_b32 s0, exec_lo
	v_cmpx_gt_i32_e64 s33, v0
	s_cbranch_execz .LBB3_48
.LBB3_58:
	v_add_nc_u32_e32 v1, s12, v0
	v_mov_b32_e32 v2, 0
	v_add_nc_u32_e32 v0, 0x100, v0
	v_lshlrev_b64 v[1:2], 3, v[1:2]
	v_add_co_u32 v1, vcc_lo, s8, v1
	v_add_co_ci_u32_e64 v2, null, s9, v2, vcc_lo
	global_store_dwordx2 v[1:2], v[14:15], off
	s_or_b32 exec_lo, exec_lo, s0
	s_mov_b32 s0, exec_lo
	v_cmpx_gt_i32_e64 s33, v0
	s_cbranch_execz .LBB3_49
.LBB3_59:
	v_add_nc_u32_e32 v1, s12, v0
	v_mov_b32_e32 v2, 0
	v_add_nc_u32_e32 v0, 0x100, v0
	v_lshlrev_b64 v[1:2], 3, v[1:2]
	v_add_co_u32 v1, vcc_lo, s8, v1
	v_add_co_ci_u32_e64 v2, null, s9, v2, vcc_lo
	global_store_dwordx2 v[1:2], v[10:11], off
	s_or_b32 exec_lo, exec_lo, s0
	s_mov_b32 s0, exec_lo
	v_cmpx_gt_i32_e64 s33, v0
	s_cbranch_execnz .LBB3_50
	s_branch .LBB3_51
	.section	.rodata,"a",@progbits
	.p2align	6, 0x0
	.amdhsa_kernel _ZN2at6native29vectorized_elementwise_kernelILi2EZZZNS0_15sin_kernel_cudaERNS_18TensorIteratorBaseEENKUlvE0_clEvENKUlvE_clEvEUldE_St5arrayIPcLm2EEEEviT0_T1_
		.amdhsa_group_segment_fixed_size 0
		.amdhsa_private_segment_fixed_size 0
		.amdhsa_kernarg_size 24
		.amdhsa_user_sgpr_count 6
		.amdhsa_user_sgpr_private_segment_buffer 1
		.amdhsa_user_sgpr_dispatch_ptr 0
		.amdhsa_user_sgpr_queue_ptr 0
		.amdhsa_user_sgpr_kernarg_segment_ptr 1
		.amdhsa_user_sgpr_dispatch_id 0
		.amdhsa_user_sgpr_flat_scratch_init 0
		.amdhsa_user_sgpr_private_segment_size 0
		.amdhsa_wavefront_size32 1
		.amdhsa_uses_dynamic_stack 0
		.amdhsa_system_sgpr_private_segment_wavefront_offset 0
		.amdhsa_system_sgpr_workgroup_id_x 1
		.amdhsa_system_sgpr_workgroup_id_y 0
		.amdhsa_system_sgpr_workgroup_id_z 0
		.amdhsa_system_sgpr_workgroup_info 0
		.amdhsa_system_vgpr_workitem_id 0
		.amdhsa_next_free_vgpr 64
		.amdhsa_next_free_sgpr 34
		.amdhsa_reserve_vcc 1
		.amdhsa_reserve_flat_scratch 0
		.amdhsa_float_round_mode_32 0
		.amdhsa_float_round_mode_16_64 0
		.amdhsa_float_denorm_mode_32 3
		.amdhsa_float_denorm_mode_16_64 3
		.amdhsa_dx10_clamp 1
		.amdhsa_ieee_mode 1
		.amdhsa_fp16_overflow 0
		.amdhsa_workgroup_processor_mode 1
		.amdhsa_memory_ordered 1
		.amdhsa_forward_progress 1
		.amdhsa_shared_vgpr_count 0
		.amdhsa_exception_fp_ieee_invalid_op 0
		.amdhsa_exception_fp_denorm_src 0
		.amdhsa_exception_fp_ieee_div_zero 0
		.amdhsa_exception_fp_ieee_overflow 0
		.amdhsa_exception_fp_ieee_underflow 0
		.amdhsa_exception_fp_ieee_inexact 0
		.amdhsa_exception_int_div_zero 0
	.end_amdhsa_kernel
	.section	.text._ZN2at6native29vectorized_elementwise_kernelILi2EZZZNS0_15sin_kernel_cudaERNS_18TensorIteratorBaseEENKUlvE0_clEvENKUlvE_clEvEUldE_St5arrayIPcLm2EEEEviT0_T1_,"axG",@progbits,_ZN2at6native29vectorized_elementwise_kernelILi2EZZZNS0_15sin_kernel_cudaERNS_18TensorIteratorBaseEENKUlvE0_clEvENKUlvE_clEvEUldE_St5arrayIPcLm2EEEEviT0_T1_,comdat
.Lfunc_end3:
	.size	_ZN2at6native29vectorized_elementwise_kernelILi2EZZZNS0_15sin_kernel_cudaERNS_18TensorIteratorBaseEENKUlvE0_clEvENKUlvE_clEvEUldE_St5arrayIPcLm2EEEEviT0_T1_, .Lfunc_end3-_ZN2at6native29vectorized_elementwise_kernelILi2EZZZNS0_15sin_kernel_cudaERNS_18TensorIteratorBaseEENKUlvE0_clEvENKUlvE_clEvEUldE_St5arrayIPcLm2EEEEviT0_T1_
                                        ; -- End function
	.set _ZN2at6native29vectorized_elementwise_kernelILi2EZZZNS0_15sin_kernel_cudaERNS_18TensorIteratorBaseEENKUlvE0_clEvENKUlvE_clEvEUldE_St5arrayIPcLm2EEEEviT0_T1_.num_vgpr, 64
	.set _ZN2at6native29vectorized_elementwise_kernelILi2EZZZNS0_15sin_kernel_cudaERNS_18TensorIteratorBaseEENKUlvE0_clEvENKUlvE_clEvEUldE_St5arrayIPcLm2EEEEviT0_T1_.num_agpr, 0
	.set _ZN2at6native29vectorized_elementwise_kernelILi2EZZZNS0_15sin_kernel_cudaERNS_18TensorIteratorBaseEENKUlvE0_clEvENKUlvE_clEvEUldE_St5arrayIPcLm2EEEEviT0_T1_.numbered_sgpr, 34
	.set _ZN2at6native29vectorized_elementwise_kernelILi2EZZZNS0_15sin_kernel_cudaERNS_18TensorIteratorBaseEENKUlvE0_clEvENKUlvE_clEvEUldE_St5arrayIPcLm2EEEEviT0_T1_.num_named_barrier, 0
	.set _ZN2at6native29vectorized_elementwise_kernelILi2EZZZNS0_15sin_kernel_cudaERNS_18TensorIteratorBaseEENKUlvE0_clEvENKUlvE_clEvEUldE_St5arrayIPcLm2EEEEviT0_T1_.private_seg_size, 0
	.set _ZN2at6native29vectorized_elementwise_kernelILi2EZZZNS0_15sin_kernel_cudaERNS_18TensorIteratorBaseEENKUlvE0_clEvENKUlvE_clEvEUldE_St5arrayIPcLm2EEEEviT0_T1_.uses_vcc, 1
	.set _ZN2at6native29vectorized_elementwise_kernelILi2EZZZNS0_15sin_kernel_cudaERNS_18TensorIteratorBaseEENKUlvE0_clEvENKUlvE_clEvEUldE_St5arrayIPcLm2EEEEviT0_T1_.uses_flat_scratch, 0
	.set _ZN2at6native29vectorized_elementwise_kernelILi2EZZZNS0_15sin_kernel_cudaERNS_18TensorIteratorBaseEENKUlvE0_clEvENKUlvE_clEvEUldE_St5arrayIPcLm2EEEEviT0_T1_.has_dyn_sized_stack, 0
	.set _ZN2at6native29vectorized_elementwise_kernelILi2EZZZNS0_15sin_kernel_cudaERNS_18TensorIteratorBaseEENKUlvE0_clEvENKUlvE_clEvEUldE_St5arrayIPcLm2EEEEviT0_T1_.has_recursion, 0
	.set _ZN2at6native29vectorized_elementwise_kernelILi2EZZZNS0_15sin_kernel_cudaERNS_18TensorIteratorBaseEENKUlvE0_clEvENKUlvE_clEvEUldE_St5arrayIPcLm2EEEEviT0_T1_.has_indirect_call, 0
	.section	.AMDGPU.csdata,"",@progbits
; Kernel info:
; codeLenInByte = 10892
; TotalNumSgprs: 36
; NumVgprs: 64
; ScratchSize: 0
; MemoryBound: 0
; FloatMode: 240
; IeeeMode: 1
; LDSByteSize: 0 bytes/workgroup (compile time only)
; SGPRBlocks: 0
; VGPRBlocks: 7
; NumSGPRsForWavesPerEU: 36
; NumVGPRsForWavesPerEU: 64
; Occupancy: 16
; WaveLimiterHint : 1
; COMPUTE_PGM_RSRC2:SCRATCH_EN: 0
; COMPUTE_PGM_RSRC2:USER_SGPR: 6
; COMPUTE_PGM_RSRC2:TRAP_HANDLER: 0
; COMPUTE_PGM_RSRC2:TGID_X_EN: 1
; COMPUTE_PGM_RSRC2:TGID_Y_EN: 0
; COMPUTE_PGM_RSRC2:TGID_Z_EN: 0
; COMPUTE_PGM_RSRC2:TIDIG_COMP_CNT: 0
	.section	.text._ZN2at6native27unrolled_elementwise_kernelIZZZNS0_15sin_kernel_cudaERNS_18TensorIteratorBaseEENKUlvE0_clEvENKUlvE_clEvEUldE_St5arrayIPcLm2EELi4E23TrivialOffsetCalculatorILi1EjESB_NS0_6memory15LoadWithoutCastENSC_16StoreWithoutCastEEEviT_T0_T2_T3_T4_T5_,"axG",@progbits,_ZN2at6native27unrolled_elementwise_kernelIZZZNS0_15sin_kernel_cudaERNS_18TensorIteratorBaseEENKUlvE0_clEvENKUlvE_clEvEUldE_St5arrayIPcLm2EELi4E23TrivialOffsetCalculatorILi1EjESB_NS0_6memory15LoadWithoutCastENSC_16StoreWithoutCastEEEviT_T0_T2_T3_T4_T5_,comdat
	.globl	_ZN2at6native27unrolled_elementwise_kernelIZZZNS0_15sin_kernel_cudaERNS_18TensorIteratorBaseEENKUlvE0_clEvENKUlvE_clEvEUldE_St5arrayIPcLm2EELi4E23TrivialOffsetCalculatorILi1EjESB_NS0_6memory15LoadWithoutCastENSC_16StoreWithoutCastEEEviT_T0_T2_T3_T4_T5_ ; -- Begin function _ZN2at6native27unrolled_elementwise_kernelIZZZNS0_15sin_kernel_cudaERNS_18TensorIteratorBaseEENKUlvE0_clEvENKUlvE_clEvEUldE_St5arrayIPcLm2EELi4E23TrivialOffsetCalculatorILi1EjESB_NS0_6memory15LoadWithoutCastENSC_16StoreWithoutCastEEEviT_T0_T2_T3_T4_T5_
	.p2align	8
	.type	_ZN2at6native27unrolled_elementwise_kernelIZZZNS0_15sin_kernel_cudaERNS_18TensorIteratorBaseEENKUlvE0_clEvENKUlvE_clEvEUldE_St5arrayIPcLm2EELi4E23TrivialOffsetCalculatorILi1EjESB_NS0_6memory15LoadWithoutCastENSC_16StoreWithoutCastEEEviT_T0_T2_T3_T4_T5_,@function
_ZN2at6native27unrolled_elementwise_kernelIZZZNS0_15sin_kernel_cudaERNS_18TensorIteratorBaseEENKUlvE0_clEvENKUlvE_clEvEUldE_St5arrayIPcLm2EELi4E23TrivialOffsetCalculatorILi1EjESB_NS0_6memory15LoadWithoutCastENSC_16StoreWithoutCastEEEviT_T0_T2_T3_T4_T5_: ; @_ZN2at6native27unrolled_elementwise_kernelIZZZNS0_15sin_kernel_cudaERNS_18TensorIteratorBaseEENKUlvE0_clEvENKUlvE_clEvEUldE_St5arrayIPcLm2EELi4E23TrivialOffsetCalculatorILi1EjESB_NS0_6memory15LoadWithoutCastENSC_16StoreWithoutCastEEEviT_T0_T2_T3_T4_T5_
; %bb.0:
	s_clause 0x1
	s_load_dword s0, s[4:5], 0x0
	s_load_dwordx4 s[8:11], s[4:5], 0x8
	s_lshl_b32 s2, s6, 10
	v_mov_b32_e32 v12, 0
	v_mov_b32_e32 v16, 0
	;; [unrolled: 1-line block ×4, first 2 shown]
	v_or_b32_e32 v1, s2, v0
	v_or_b32_e32 v18, 0x100, v0
	v_mov_b32_e32 v4, v0
	s_waitcnt lgkmcnt(0)
	s_sub_i32 s3, s0, s2
	v_cmp_gt_i32_e32 vcc_lo, s3, v0
	s_and_saveexec_b32 s1, vcc_lo
	s_cbranch_execz .LBB4_2
; %bb.1:
	v_mov_b32_e32 v2, 0
	v_or_b32_e32 v4, 0x100, v0
	v_lshlrev_b64 v[2:3], 3, v[1:2]
	v_add_co_u32 v2, s0, s10, v2
	v_add_co_ci_u32_e64 v3, null, s11, v3, s0
	global_load_dwordx2 v[16:17], v[2:3], off
.LBB4_2:
	s_or_b32 exec_lo, exec_lo, s1
	s_mov_b32 s1, exec_lo
	v_cmpx_gt_i32_e64 s3, v4
	s_cbranch_execz .LBB4_4
; %bb.3:
	v_add_nc_u32_e32 v2, s2, v4
	v_mov_b32_e32 v3, 0
	v_add_nc_u32_e32 v4, 0x100, v4
	v_lshlrev_b64 v[2:3], 3, v[2:3]
	v_add_co_u32 v2, s0, s10, v2
	v_add_co_ci_u32_e64 v3, null, s11, v3, s0
	global_load_dwordx2 v[12:13], v[2:3], off
.LBB4_4:
	s_or_b32 exec_lo, exec_lo, s1
	v_mov_b32_e32 v2, 0
	v_mov_b32_e32 v6, 0
	;; [unrolled: 1-line block ×4, first 2 shown]
	s_mov_b32 s1, exec_lo
	v_cmpx_gt_i32_e64 s3, v4
	s_cbranch_execz .LBB4_6
; %bb.5:
	v_add_nc_u32_e32 v5, s2, v4
	v_mov_b32_e32 v6, 0
	v_add_nc_u32_e32 v4, 0x100, v4
	v_lshlrev_b64 v[5:6], 3, v[5:6]
	v_add_co_u32 v5, s0, s10, v5
	v_add_co_ci_u32_e64 v6, null, s11, v6, s0
	global_load_dwordx2 v[6:7], v[5:6], off
.LBB4_6:
	s_or_b32 exec_lo, exec_lo, s1
	s_mov_b32 s1, exec_lo
	v_cmpx_gt_i32_e64 s3, v4
	s_cbranch_execz .LBB4_8
; %bb.7:
	v_add_nc_u32_e32 v2, s2, v4
	v_mov_b32_e32 v3, 0
	v_lshlrev_b64 v[2:3], 3, v[2:3]
	v_add_co_u32 v2, s0, s10, v2
	v_add_co_ci_u32_e64 v3, null, s11, v3, s0
	global_load_dwordx2 v[2:3], v[2:3], off
.LBB4_8:
	s_or_b32 exec_lo, exec_lo, s1
	v_mov_b32_e32 v4, 0
	v_mov_b32_e32 v5, v4
	;; [unrolled: 1-line block ×8, first 2 shown]
	s_and_saveexec_b32 s4, vcc_lo
	s_cbranch_execz .LBB4_14
; %bb.9:
	s_mov_b32 s1, exec_lo
                                        ; implicit-def: $vgpr10
                                        ; implicit-def: $vgpr4_vgpr5
                                        ; implicit-def: $vgpr8_vgpr9
	s_waitcnt vmcnt(0)
	v_cmpx_ngt_f64_e64 0x41d00000, |v[16:17]|
	s_xor_b32 s1, exec_lo, s1
	s_cbranch_execz .LBB4_11
; %bb.10:
	v_ldexp_f64 v[4:5], |v[16:17]|, 0xffffff80
	v_cmp_le_f64_e64 s0, 0x7b000000, |v[16:17]|
	v_trig_preop_f64 v[8:9], |v[16:17]|, 0
	v_and_b32_e32 v10, 0x7fffffff, v17
	v_trig_preop_f64 v[25:26], |v[16:17]|, 2
	v_mov_b32_e32 v33, 0
	s_mov_b32 s6, 0x54442d18
	s_mov_b32 s7, 0x3ff921fb
	;; [unrolled: 1-line block ×4, first 2 shown]
	v_cndmask_b32_e64 v5, v10, v5, s0
	v_cndmask_b32_e64 v4, v16, v4, s0
	v_trig_preop_f64 v[10:11], |v[16:17]|, 1
	v_mul_f64 v[14:15], v[8:9], v[4:5]
	v_mul_f64 v[31:32], v[25:26], v[4:5]
	;; [unrolled: 1-line block ×3, first 2 shown]
	v_fma_f64 v[8:9], v[8:9], v[4:5], -v[14:15]
	v_fma_f64 v[10:11], v[10:11], v[4:5], -v[19:20]
	;; [unrolled: 1-line block ×3, first 2 shown]
	v_add_f64 v[21:22], v[19:20], v[8:9]
	v_add_f64 v[23:24], v[21:22], -v[19:20]
	v_add_f64 v[29:30], v[14:15], v[21:22]
	v_add_f64 v[27:28], v[21:22], -v[23:24]
	v_add_f64 v[8:9], v[8:9], -v[23:24]
	v_ldexp_f64 v[23:24], v[29:30], -2
	v_add_f64 v[14:15], v[29:30], -v[14:15]
	v_add_f64 v[19:20], v[19:20], -v[27:28]
	v_add_f64 v[27:28], v[31:32], v[10:11]
	v_cmp_neq_f64_e64 s0, 0x7ff00000, |v[23:24]|
	v_add_f64 v[14:15], v[21:22], -v[14:15]
	v_add_f64 v[8:9], v[8:9], v[19:20]
	v_fract_f64_e32 v[19:20], v[23:24]
	v_add_f64 v[21:22], v[27:28], v[8:9]
	v_ldexp_f64 v[19:20], v[19:20], 2
	v_add_f64 v[23:24], v[14:15], v[21:22]
	v_cndmask_b32_e64 v20, 0, v20, s0
	v_cndmask_b32_e64 v19, 0, v19, s0
	v_add_f64 v[29:30], v[23:24], v[19:20]
	v_add_f64 v[14:15], v[23:24], -v[14:15]
	v_cmp_gt_f64_e64 s0, 0, v[29:30]
	v_add_f64 v[29:30], v[27:28], -v[31:32]
	v_cndmask_b32_e64 v34, 0, 0x40100000, s0
	v_add_f64 v[38:39], v[27:28], -v[29:30]
	v_add_f64 v[10:11], v[10:11], -v[29:30]
	v_add_f64 v[19:20], v[19:20], v[33:34]
	v_add_f64 v[34:35], v[21:22], -v[27:28]
	v_add_f64 v[29:30], v[31:32], -v[38:39]
	v_add_f64 v[36:37], v[23:24], v[19:20]
	;; [unrolled: 3-line block ×3, first 2 shown]
	v_cvt_i32_f64_e32 v36, v[36:37]
	v_add_f64 v[27:28], v[27:28], -v[40:41]
	v_cvt_f64_i32_e32 v[34:35], v36
	v_add_f64 v[8:9], v[8:9], v[27:28]
	v_add_f64 v[19:20], v[19:20], -v[34:35]
	v_add_f64 v[8:9], v[10:11], v[8:9]
	v_add_f64 v[10:11], v[21:22], -v[14:15]
	v_add_f64 v[25:26], v[23:24], v[19:20]
	v_add_f64 v[4:5], v[4:5], v[8:9]
	v_add_f64 v[8:9], v[25:26], -v[19:20]
	v_cmp_le_f64_e64 s0, 0.5, v[25:26]
	v_add_f64 v[4:5], v[10:11], v[4:5]
	v_add_f64 v[8:9], v[23:24], -v[8:9]
	v_cndmask_b32_e64 v34, 0, 0x3ff00000, s0
	v_add_co_ci_u32_e64 v10, null, 0, v36, s0
	v_add_f64 v[4:5], v[4:5], v[8:9]
	v_add_f64 v[8:9], v[25:26], -v[33:34]
	v_add_f64 v[14:15], v[8:9], v[4:5]
	v_mul_f64 v[19:20], v[14:15], s[6:7]
	v_add_f64 v[8:9], v[14:15], -v[8:9]
	v_fma_f64 v[21:22], v[14:15], s[6:7], -v[19:20]
	v_add_f64 v[4:5], v[4:5], -v[8:9]
	v_fma_f64 v[8:9], v[14:15], s[10:11], v[21:22]
	v_fma_f64 v[8:9], v[4:5], s[6:7], v[8:9]
	v_add_f64 v[4:5], v[19:20], v[8:9]
	v_add_f64 v[14:15], v[4:5], -v[19:20]
	v_add_f64 v[8:9], v[8:9], -v[14:15]
.LBB4_11:
	s_andn2_saveexec_b32 s0, s1
	s_cbranch_execz .LBB4_13
; %bb.12:
	s_mov_b32 s6, 0x6dc9c883
	s_mov_b32 s7, 0x3fe45f30
	;; [unrolled: 1-line block ×3, first 2 shown]
	v_mul_f64 v[4:5], |v[16:17]|, s[6:7]
	s_mov_b32 s6, 0x54442d18
	s_mov_b32 s7, 0xbff921fb
	;; [unrolled: 1-line block ×3, first 2 shown]
	v_rndne_f64_e32 v[10:11], v[4:5]
	v_fma_f64 v[4:5], v[10:11], s[6:7], |v[16:17]|
	v_mul_f64 v[8:9], v[10:11], s[10:11]
	s_mov_b32 s6, 0x252049c0
	s_mov_b32 s7, 0xb97b839a
	v_fma_f64 v[19:20], v[10:11], s[10:11], v[4:5]
	v_add_f64 v[14:15], v[4:5], v[8:9]
	s_mov_b32 s11, 0x3c91a626
	v_add_f64 v[4:5], v[4:5], -v[14:15]
	v_add_f64 v[14:15], v[14:15], -v[19:20]
	v_add_f64 v[4:5], v[4:5], v[8:9]
	v_fma_f64 v[8:9], v[10:11], s[10:11], v[8:9]
	v_add_f64 v[4:5], v[14:15], v[4:5]
	v_add_f64 v[4:5], v[4:5], -v[8:9]
	v_fma_f64 v[8:9], v[10:11], s[6:7], v[4:5]
	v_cvt_i32_f64_e32 v10, v[10:11]
	v_add_f64 v[4:5], v[19:20], v[8:9]
	v_add_f64 v[14:15], v[4:5], -v[19:20]
	v_add_f64 v[8:9], v[8:9], -v[14:15]
.LBB4_13:
	s_or_b32 exec_lo, exec_lo, s0
	v_mul_f64 v[14:15], v[4:5], v[4:5]
	s_mov_b32 s0, 0xb42fdfa7
	s_mov_b32 s6, 0xf9a43bb8
	;; [unrolled: 1-line block ×6, first 2 shown]
	v_mul_f64 v[27:28], v[8:9], 0.5
	v_fma_f64 v[19:20], v[14:15], s[6:7], s[0:1]
	s_mov_b32 s0, 0x9037ab78
	s_mov_b32 s6, 0x46cc5e42
	;; [unrolled: 1-line block ×4, first 2 shown]
	v_mul_f64 v[23:24], v[14:15], 0.5
	v_fma_f64 v[21:22], v[14:15], s[6:7], s[0:1]
	s_mov_b32 s0, 0xa17f65f6
	s_mov_b32 s6, 0x19e83e5c
	;; [unrolled: 1-line block ×4, first 2 shown]
	v_mul_f64 v[29:30], v[4:5], -v[14:15]
	v_fma_f64 v[19:20], v[14:15], v[19:20], s[10:11]
	v_add_f64 v[25:26], -v[23:24], 1.0
	v_fma_f64 v[21:22], v[14:15], v[21:22], s[0:1]
	s_mov_b32 s0, 0x19f4ec90
	s_mov_b32 s1, 0x3efa01a0
	v_fma_f64 v[19:20], v[14:15], v[19:20], s[6:7]
	s_mov_b32 s6, 0x11110bb3
	s_mov_b32 s7, 0x3f811111
	v_add_f64 v[31:32], -v[25:26], 1.0
	v_fma_f64 v[21:22], v[14:15], v[21:22], s[0:1]
	s_mov_b32 s0, 0x16c16967
	s_mov_b32 s1, 0xbf56c16c
	v_fma_f64 v[19:20], v[14:15], v[19:20], s[6:7]
	v_add_f64 v[23:24], v[31:32], -v[23:24]
	v_fma_f64 v[21:22], v[14:15], v[21:22], s[0:1]
	s_mov_b32 s1, 0x3fa55555
	s_mov_b32 s0, 0x55555555
	v_fma_f64 v[19:20], v[29:30], v[19:20], v[27:28]
	v_mul_f64 v[27:28], v[14:15], v[14:15]
	v_fma_f64 v[23:24], v[4:5], -v[8:9], v[23:24]
	v_fma_f64 v[21:22], v[14:15], v[21:22], s[0:1]
	s_mov_b32 s1, 0xbfc55555
	v_fma_f64 v[8:9], v[14:15], v[19:20], -v[8:9]
	v_fma_f64 v[14:15], v[27:28], v[21:22], v[23:24]
	v_fma_f64 v[8:9], v[29:30], s[0:1], v[8:9]
	v_cmp_class_f64_e64 s1, v[16:17], 0x1f8
	v_add_f64 v[14:15], v[25:26], v[14:15]
	v_add_f64 v[4:5], v[4:5], -v[8:9]
	v_and_b32_e32 v8, 1, v10
	v_cmp_eq_u32_e64 s0, 0, v8
	v_lshlrev_b32_e32 v8, 30, v10
	v_xor_b32_e32 v8, v8, v17
	v_and_b32_e32 v8, 0x80000000, v8
	v_cndmask_b32_e64 v5, v15, v5, s0
	v_cndmask_b32_e64 v4, v14, v4, s0
	v_mov_b32_e32 v14, 0
	v_xor_b32_e32 v5, v5, v8
	v_cndmask_b32_e64 v4, 0, v4, s1
	v_mov_b32_e32 v15, v14
	v_mov_b32_e32 v10, v14
	;; [unrolled: 1-line block ×4, first 2 shown]
	v_cndmask_b32_e64 v5, 0x7ff80000, v5, s1
	v_mov_b32_e32 v9, v14
.LBB4_14:
	s_or_b32 exec_lo, exec_lo, s4
	s_mov_b32 s1, exec_lo
	v_cmpx_gt_i32_e64 s3, v18
	s_cbranch_execz .LBB4_20
; %bb.15:
	s_mov_b32 s4, exec_lo
                                        ; implicit-def: $vgpr19
                                        ; implicit-def: $vgpr14_vgpr15
                                        ; implicit-def: $vgpr16_vgpr17
	s_waitcnt vmcnt(0)
	v_cmpx_ngt_f64_e64 0x41d00000, |v[12:13]|
	s_xor_b32 s4, exec_lo, s4
	s_cbranch_execz .LBB4_17
; %bb.16:
	v_ldexp_f64 v[14:15], |v[12:13]|, 0xffffff80
	v_cmp_le_f64_e64 s0, 0x7b000000, |v[12:13]|
	v_trig_preop_f64 v[16:17], |v[12:13]|, 0
	v_and_b32_e32 v19, 0x7fffffff, v13
	v_trig_preop_f64 v[29:30], |v[12:13]|, 2
	v_mov_b32_e32 v37, 0
	s_mov_b32 s6, 0x54442d18
	s_mov_b32 s7, 0x3ff921fb
	;; [unrolled: 1-line block ×4, first 2 shown]
	v_cndmask_b32_e64 v15, v19, v15, s0
	v_cndmask_b32_e64 v14, v12, v14, s0
	v_trig_preop_f64 v[19:20], |v[12:13]|, 1
	v_mul_f64 v[21:22], v[16:17], v[14:15]
	v_mul_f64 v[35:36], v[29:30], v[14:15]
	;; [unrolled: 1-line block ×3, first 2 shown]
	v_fma_f64 v[16:17], v[16:17], v[14:15], -v[21:22]
	v_fma_f64 v[19:20], v[19:20], v[14:15], -v[23:24]
	;; [unrolled: 1-line block ×3, first 2 shown]
	v_add_f64 v[25:26], v[23:24], v[16:17]
	v_add_f64 v[27:28], v[25:26], -v[23:24]
	v_add_f64 v[33:34], v[21:22], v[25:26]
	v_add_f64 v[31:32], v[25:26], -v[27:28]
	v_add_f64 v[16:17], v[16:17], -v[27:28]
	v_ldexp_f64 v[27:28], v[33:34], -2
	v_add_f64 v[21:22], v[33:34], -v[21:22]
	v_add_f64 v[23:24], v[23:24], -v[31:32]
	v_add_f64 v[31:32], v[35:36], v[19:20]
	v_cmp_neq_f64_e64 s0, 0x7ff00000, |v[27:28]|
	v_add_f64 v[21:22], v[25:26], -v[21:22]
	v_add_f64 v[16:17], v[16:17], v[23:24]
	v_fract_f64_e32 v[23:24], v[27:28]
	v_add_f64 v[25:26], v[31:32], v[16:17]
	v_ldexp_f64 v[23:24], v[23:24], 2
	v_add_f64 v[27:28], v[21:22], v[25:26]
	v_cndmask_b32_e64 v24, 0, v24, s0
	v_cndmask_b32_e64 v23, 0, v23, s0
	v_add_f64 v[33:34], v[27:28], v[23:24]
	v_add_f64 v[21:22], v[27:28], -v[21:22]
	v_cmp_gt_f64_e64 s0, 0, v[33:34]
	v_add_f64 v[33:34], v[31:32], -v[35:36]
	v_cndmask_b32_e64 v38, 0, 0x40100000, s0
	v_add_f64 v[42:43], v[31:32], -v[33:34]
	v_add_f64 v[19:20], v[19:20], -v[33:34]
	v_add_f64 v[23:24], v[23:24], v[37:38]
	v_add_f64 v[38:39], v[25:26], -v[31:32]
	v_add_f64 v[33:34], v[35:36], -v[42:43]
	v_add_f64 v[40:41], v[27:28], v[23:24]
	;; [unrolled: 3-line block ×3, first 2 shown]
	v_cvt_i32_f64_e32 v40, v[40:41]
	v_add_f64 v[31:32], v[31:32], -v[44:45]
	v_cvt_f64_i32_e32 v[38:39], v40
	v_add_f64 v[16:17], v[16:17], v[31:32]
	v_add_f64 v[23:24], v[23:24], -v[38:39]
	v_add_f64 v[16:17], v[19:20], v[16:17]
	v_add_f64 v[19:20], v[25:26], -v[21:22]
	v_add_f64 v[29:30], v[27:28], v[23:24]
	v_add_f64 v[14:15], v[14:15], v[16:17]
	v_add_f64 v[16:17], v[29:30], -v[23:24]
	v_cmp_le_f64_e64 s0, 0.5, v[29:30]
	v_add_f64 v[14:15], v[19:20], v[14:15]
	v_add_f64 v[16:17], v[27:28], -v[16:17]
	v_cndmask_b32_e64 v38, 0, 0x3ff00000, s0
	v_add_co_ci_u32_e64 v19, null, 0, v40, s0
	v_add_f64 v[14:15], v[14:15], v[16:17]
	v_add_f64 v[16:17], v[29:30], -v[37:38]
	v_add_f64 v[20:21], v[16:17], v[14:15]
	v_mul_f64 v[22:23], v[20:21], s[6:7]
	v_add_f64 v[16:17], v[20:21], -v[16:17]
	v_fma_f64 v[24:25], v[20:21], s[6:7], -v[22:23]
	v_add_f64 v[14:15], v[14:15], -v[16:17]
	v_fma_f64 v[16:17], v[20:21], s[10:11], v[24:25]
	v_fma_f64 v[16:17], v[14:15], s[6:7], v[16:17]
	v_add_f64 v[14:15], v[22:23], v[16:17]
	v_add_f64 v[20:21], v[14:15], -v[22:23]
	v_add_f64 v[16:17], v[16:17], -v[20:21]
.LBB4_17:
	s_andn2_saveexec_b32 s0, s4
	s_cbranch_execz .LBB4_19
; %bb.18:
	s_mov_b32 s4, 0x6dc9c883
	s_mov_b32 s5, 0x3fe45f30
	;; [unrolled: 1-line block ×3, first 2 shown]
	v_mul_f64 v[14:15], |v[12:13]|, s[4:5]
	s_mov_b32 s4, 0x54442d18
	s_mov_b32 s5, 0xbff921fb
	;; [unrolled: 1-line block ×3, first 2 shown]
	v_rndne_f64_e32 v[19:20], v[14:15]
	v_fma_f64 v[14:15], v[19:20], s[4:5], |v[12:13]|
	v_mul_f64 v[16:17], v[19:20], s[6:7]
	s_mov_b32 s4, 0x252049c0
	s_mov_b32 s5, 0xb97b839a
	v_fma_f64 v[23:24], v[19:20], s[6:7], v[14:15]
	v_add_f64 v[21:22], v[14:15], v[16:17]
	s_mov_b32 s7, 0x3c91a626
	v_add_f64 v[14:15], v[14:15], -v[21:22]
	v_add_f64 v[21:22], v[21:22], -v[23:24]
	v_add_f64 v[14:15], v[14:15], v[16:17]
	v_fma_f64 v[16:17], v[19:20], s[6:7], v[16:17]
	v_add_f64 v[14:15], v[21:22], v[14:15]
	v_add_f64 v[14:15], v[14:15], -v[16:17]
	v_fma_f64 v[16:17], v[19:20], s[4:5], v[14:15]
	v_cvt_i32_f64_e32 v19, v[19:20]
	v_add_f64 v[14:15], v[23:24], v[16:17]
	v_add_f64 v[21:22], v[14:15], -v[23:24]
	v_add_f64 v[16:17], v[16:17], -v[21:22]
.LBB4_19:
	s_or_b32 exec_lo, exec_lo, s0
	v_mul_f64 v[20:21], v[14:15], v[14:15]
	s_mov_b32 s4, 0xb42fdfa7
	s_mov_b32 s6, 0xf9a43bb8
	;; [unrolled: 1-line block ×6, first 2 shown]
	v_mul_f64 v[30:31], v[16:17], 0.5
	v_fma_f64 v[22:23], v[20:21], s[6:7], s[4:5]
	s_mov_b32 s4, 0x9037ab78
	s_mov_b32 s6, 0x46cc5e42
	;; [unrolled: 1-line block ×4, first 2 shown]
	v_mul_f64 v[26:27], v[20:21], 0.5
	v_fma_f64 v[24:25], v[20:21], s[6:7], s[4:5]
	s_mov_b32 s4, 0xa17f65f6
	s_mov_b32 s6, 0x19e83e5c
	;; [unrolled: 1-line block ×4, first 2 shown]
	v_mul_f64 v[32:33], v[14:15], -v[20:21]
	v_fma_f64 v[22:23], v[20:21], v[22:23], s[10:11]
	v_add_f64 v[28:29], -v[26:27], 1.0
	v_fma_f64 v[24:25], v[20:21], v[24:25], s[4:5]
	s_mov_b32 s4, 0x19f4ec90
	s_mov_b32 s5, 0x3efa01a0
	v_fma_f64 v[22:23], v[20:21], v[22:23], s[6:7]
	s_mov_b32 s6, 0x11110bb3
	s_mov_b32 s7, 0x3f811111
	v_add_f64 v[34:35], -v[28:29], 1.0
	v_fma_f64 v[24:25], v[20:21], v[24:25], s[4:5]
	s_mov_b32 s4, 0x16c16967
	s_mov_b32 s5, 0xbf56c16c
	v_fma_f64 v[22:23], v[20:21], v[22:23], s[6:7]
	v_add_f64 v[26:27], v[34:35], -v[26:27]
	v_fma_f64 v[24:25], v[20:21], v[24:25], s[4:5]
	s_mov_b32 s5, 0x3fa55555
	s_mov_b32 s4, 0x55555555
	v_fma_f64 v[22:23], v[32:33], v[22:23], v[30:31]
	v_mul_f64 v[30:31], v[20:21], v[20:21]
	v_fma_f64 v[26:27], v[14:15], -v[16:17], v[26:27]
	v_fma_f64 v[24:25], v[20:21], v[24:25], s[4:5]
	s_mov_b32 s5, 0xbfc55555
	v_fma_f64 v[16:17], v[20:21], v[22:23], -v[16:17]
	v_fma_f64 v[20:21], v[30:31], v[24:25], v[26:27]
	v_fma_f64 v[16:17], v[32:33], s[4:5], v[16:17]
	v_add_f64 v[20:21], v[28:29], v[20:21]
	v_add_f64 v[14:15], v[14:15], -v[16:17]
	v_and_b32_e32 v17, 1, v19
	v_lshlrev_b32_e32 v16, 30, v19
	v_cmp_eq_u32_e64 s0, 0, v17
	v_xor_b32_e32 v16, v16, v13
	v_and_b32_e32 v16, 0x80000000, v16
	v_cndmask_b32_e64 v14, v20, v14, s0
	v_cndmask_b32_e64 v15, v21, v15, s0
	v_cmp_class_f64_e64 s0, v[12:13], 0x1f8
	v_xor_b32_e32 v15, v15, v16
	v_cndmask_b32_e64 v15, 0x7ff80000, v15, s0
	v_cndmask_b32_e64 v14, 0, v14, s0
.LBB4_20:
	s_or_b32 exec_lo, exec_lo, s1
	s_waitcnt vmcnt(0)
	v_or_b32_e32 v12, 0x200, v0
	s_mov_b32 s1, exec_lo
	v_cmpx_gt_i32_e64 s3, v12
	s_cbranch_execz .LBB4_26
; %bb.21:
	s_mov_b32 s4, exec_lo
                                        ; implicit-def: $vgpr16
                                        ; implicit-def: $vgpr10_vgpr11
                                        ; implicit-def: $vgpr12_vgpr13
	v_cmpx_ngt_f64_e64 0x41d00000, |v[6:7]|
	s_xor_b32 s4, exec_lo, s4
	s_cbranch_execz .LBB4_23
; %bb.22:
	v_ldexp_f64 v[10:11], |v[6:7]|, 0xffffff80
	v_cmp_le_f64_e64 s0, 0x7b000000, |v[6:7]|
	v_trig_preop_f64 v[12:13], |v[6:7]|, 0
	v_and_b32_e32 v16, 0x7fffffff, v7
	v_trig_preop_f64 v[27:28], |v[6:7]|, 2
	v_mov_b32_e32 v35, 0
	s_mov_b32 s6, 0x54442d18
	s_mov_b32 s7, 0x3ff921fb
	s_mov_b32 s10, 0x33145c07
	s_mov_b32 s11, 0x3c91a626
	v_cndmask_b32_e64 v11, v16, v11, s0
	v_cndmask_b32_e64 v10, v6, v10, s0
	v_trig_preop_f64 v[16:17], |v[6:7]|, 1
	v_mul_f64 v[19:20], v[12:13], v[10:11]
	v_mul_f64 v[33:34], v[27:28], v[10:11]
	;; [unrolled: 1-line block ×3, first 2 shown]
	v_fma_f64 v[12:13], v[12:13], v[10:11], -v[19:20]
	v_fma_f64 v[16:17], v[16:17], v[10:11], -v[21:22]
	;; [unrolled: 1-line block ×3, first 2 shown]
	v_add_f64 v[23:24], v[21:22], v[12:13]
	v_add_f64 v[25:26], v[23:24], -v[21:22]
	v_add_f64 v[31:32], v[19:20], v[23:24]
	v_add_f64 v[29:30], v[23:24], -v[25:26]
	v_add_f64 v[12:13], v[12:13], -v[25:26]
	v_ldexp_f64 v[25:26], v[31:32], -2
	v_add_f64 v[19:20], v[31:32], -v[19:20]
	v_add_f64 v[21:22], v[21:22], -v[29:30]
	v_add_f64 v[29:30], v[33:34], v[16:17]
	v_cmp_neq_f64_e64 s0, 0x7ff00000, |v[25:26]|
	v_add_f64 v[19:20], v[23:24], -v[19:20]
	v_add_f64 v[12:13], v[12:13], v[21:22]
	v_fract_f64_e32 v[21:22], v[25:26]
	v_add_f64 v[23:24], v[29:30], v[12:13]
	v_ldexp_f64 v[21:22], v[21:22], 2
	v_add_f64 v[25:26], v[19:20], v[23:24]
	v_cndmask_b32_e64 v22, 0, v22, s0
	v_cndmask_b32_e64 v21, 0, v21, s0
	v_add_f64 v[31:32], v[25:26], v[21:22]
	v_add_f64 v[19:20], v[25:26], -v[19:20]
	v_cmp_gt_f64_e64 s0, 0, v[31:32]
	v_add_f64 v[31:32], v[29:30], -v[33:34]
	v_cndmask_b32_e64 v36, 0, 0x40100000, s0
	v_add_f64 v[40:41], v[29:30], -v[31:32]
	v_add_f64 v[16:17], v[16:17], -v[31:32]
	v_add_f64 v[21:22], v[21:22], v[35:36]
	v_add_f64 v[36:37], v[23:24], -v[29:30]
	v_add_f64 v[31:32], v[33:34], -v[40:41]
	v_add_f64 v[38:39], v[25:26], v[21:22]
	;; [unrolled: 3-line block ×3, first 2 shown]
	v_cvt_i32_f64_e32 v38, v[38:39]
	v_add_f64 v[29:30], v[29:30], -v[42:43]
	v_cvt_f64_i32_e32 v[36:37], v38
	v_add_f64 v[12:13], v[12:13], v[29:30]
	v_add_f64 v[21:22], v[21:22], -v[36:37]
	v_add_f64 v[12:13], v[16:17], v[12:13]
	v_add_f64 v[16:17], v[23:24], -v[19:20]
	v_add_f64 v[27:28], v[25:26], v[21:22]
	v_add_f64 v[10:11], v[10:11], v[12:13]
	v_add_f64 v[12:13], v[27:28], -v[21:22]
	v_cmp_le_f64_e64 s0, 0.5, v[27:28]
	v_add_f64 v[10:11], v[16:17], v[10:11]
	v_add_f64 v[12:13], v[25:26], -v[12:13]
	v_cndmask_b32_e64 v36, 0, 0x3ff00000, s0
	v_add_co_ci_u32_e64 v16, null, 0, v38, s0
	v_add_f64 v[10:11], v[10:11], v[12:13]
	v_add_f64 v[12:13], v[27:28], -v[35:36]
	v_add_f64 v[19:20], v[12:13], v[10:11]
	v_mul_f64 v[21:22], v[19:20], s[6:7]
	v_add_f64 v[12:13], v[19:20], -v[12:13]
	v_fma_f64 v[23:24], v[19:20], s[6:7], -v[21:22]
	v_add_f64 v[10:11], v[10:11], -v[12:13]
	v_fma_f64 v[12:13], v[19:20], s[10:11], v[23:24]
	v_fma_f64 v[12:13], v[10:11], s[6:7], v[12:13]
	v_add_f64 v[10:11], v[21:22], v[12:13]
	v_add_f64 v[19:20], v[10:11], -v[21:22]
	v_add_f64 v[12:13], v[12:13], -v[19:20]
.LBB4_23:
	s_andn2_saveexec_b32 s0, s4
	s_cbranch_execz .LBB4_25
; %bb.24:
	s_mov_b32 s4, 0x6dc9c883
	s_mov_b32 s5, 0x3fe45f30
	;; [unrolled: 1-line block ×3, first 2 shown]
	v_mul_f64 v[10:11], |v[6:7]|, s[4:5]
	s_mov_b32 s4, 0x54442d18
	s_mov_b32 s5, 0xbff921fb
	;; [unrolled: 1-line block ×3, first 2 shown]
	v_rndne_f64_e32 v[16:17], v[10:11]
	v_fma_f64 v[10:11], v[16:17], s[4:5], |v[6:7]|
	v_mul_f64 v[12:13], v[16:17], s[6:7]
	s_mov_b32 s4, 0x252049c0
	s_mov_b32 s5, 0xb97b839a
	v_fma_f64 v[21:22], v[16:17], s[6:7], v[10:11]
	v_add_f64 v[19:20], v[10:11], v[12:13]
	s_mov_b32 s7, 0x3c91a626
	v_add_f64 v[10:11], v[10:11], -v[19:20]
	v_add_f64 v[19:20], v[19:20], -v[21:22]
	v_add_f64 v[10:11], v[10:11], v[12:13]
	v_fma_f64 v[12:13], v[16:17], s[6:7], v[12:13]
	v_add_f64 v[10:11], v[19:20], v[10:11]
	v_add_f64 v[10:11], v[10:11], -v[12:13]
	v_fma_f64 v[12:13], v[16:17], s[4:5], v[10:11]
	v_cvt_i32_f64_e32 v16, v[16:17]
	v_add_f64 v[10:11], v[21:22], v[12:13]
	v_add_f64 v[19:20], v[10:11], -v[21:22]
	v_add_f64 v[12:13], v[12:13], -v[19:20]
.LBB4_25:
	s_or_b32 exec_lo, exec_lo, s0
	v_mul_f64 v[19:20], v[10:11], v[10:11]
	s_mov_b32 s4, 0xb42fdfa7
	s_mov_b32 s6, 0xf9a43bb8
	;; [unrolled: 1-line block ×6, first 2 shown]
	v_mul_f64 v[29:30], v[12:13], 0.5
	v_fma_f64 v[21:22], v[19:20], s[6:7], s[4:5]
	s_mov_b32 s4, 0x9037ab78
	s_mov_b32 s6, 0x46cc5e42
	;; [unrolled: 1-line block ×4, first 2 shown]
	v_mul_f64 v[25:26], v[19:20], 0.5
	v_fma_f64 v[23:24], v[19:20], s[6:7], s[4:5]
	s_mov_b32 s4, 0xa17f65f6
	s_mov_b32 s6, 0x19e83e5c
	;; [unrolled: 1-line block ×4, first 2 shown]
	v_mul_f64 v[31:32], v[10:11], -v[19:20]
	v_fma_f64 v[21:22], v[19:20], v[21:22], s[10:11]
	v_add_f64 v[27:28], -v[25:26], 1.0
	v_fma_f64 v[23:24], v[19:20], v[23:24], s[4:5]
	s_mov_b32 s4, 0x19f4ec90
	s_mov_b32 s5, 0x3efa01a0
	v_fma_f64 v[21:22], v[19:20], v[21:22], s[6:7]
	s_mov_b32 s6, 0x11110bb3
	s_mov_b32 s7, 0x3f811111
	v_add_f64 v[33:34], -v[27:28], 1.0
	v_fma_f64 v[23:24], v[19:20], v[23:24], s[4:5]
	s_mov_b32 s4, 0x16c16967
	s_mov_b32 s5, 0xbf56c16c
	v_fma_f64 v[21:22], v[19:20], v[21:22], s[6:7]
	v_add_f64 v[25:26], v[33:34], -v[25:26]
	v_fma_f64 v[23:24], v[19:20], v[23:24], s[4:5]
	s_mov_b32 s5, 0x3fa55555
	s_mov_b32 s4, 0x55555555
	v_fma_f64 v[21:22], v[31:32], v[21:22], v[29:30]
	v_mul_f64 v[29:30], v[19:20], v[19:20]
	v_fma_f64 v[25:26], v[10:11], -v[12:13], v[25:26]
	v_fma_f64 v[23:24], v[19:20], v[23:24], s[4:5]
	s_mov_b32 s5, 0xbfc55555
	v_fma_f64 v[12:13], v[19:20], v[21:22], -v[12:13]
	v_fma_f64 v[19:20], v[29:30], v[23:24], v[25:26]
	v_fma_f64 v[12:13], v[31:32], s[4:5], v[12:13]
	v_add_f64 v[19:20], v[27:28], v[19:20]
	v_add_f64 v[10:11], v[10:11], -v[12:13]
	v_and_b32_e32 v13, 1, v16
	v_lshlrev_b32_e32 v12, 30, v16
	v_cmp_eq_u32_e64 s0, 0, v13
	v_xor_b32_e32 v12, v12, v7
	v_and_b32_e32 v12, 0x80000000, v12
	v_cndmask_b32_e64 v10, v19, v10, s0
	v_cndmask_b32_e64 v11, v20, v11, s0
	v_cmp_class_f64_e64 s0, v[6:7], 0x1f8
	v_xor_b32_e32 v11, v11, v12
	v_cndmask_b32_e64 v11, 0x7ff80000, v11, s0
	v_cndmask_b32_e64 v10, 0, v10, s0
.LBB4_26:
	s_or_b32 exec_lo, exec_lo, s1
	v_or_b32_e32 v6, 0x300, v0
	s_mov_b32 s1, exec_lo
	v_cmpx_gt_i32_e64 s3, v6
	s_cbranch_execnz .LBB4_32
; %bb.27:
	s_or_b32 exec_lo, exec_lo, s1
	s_and_saveexec_b32 s0, vcc_lo
	s_xor_b32 s0, exec_lo, s0
	s_cbranch_execnz .LBB4_37
.LBB4_28:
	s_or_b32 exec_lo, exec_lo, s0
	s_mov_b32 s0, exec_lo
	v_cmpx_gt_i32_e64 s3, v0
	s_cbranch_execnz .LBB4_38
.LBB4_29:
	s_or_b32 exec_lo, exec_lo, s0
	s_mov_b32 s0, exec_lo
	v_cmpx_gt_i32_e64 s3, v0
	s_cbranch_execnz .LBB4_39
.LBB4_30:
	s_or_b32 exec_lo, exec_lo, s0
	s_mov_b32 s0, exec_lo
	v_cmpx_gt_i32_e64 s3, v0
	s_cbranch_execnz .LBB4_40
.LBB4_31:
	s_endpgm
.LBB4_32:
	s_mov_b32 s4, exec_lo
                                        ; implicit-def: $vgpr12
                                        ; implicit-def: $vgpr6_vgpr7
                                        ; implicit-def: $vgpr8_vgpr9
	v_cmpx_ngt_f64_e64 0x41d00000, |v[2:3]|
	s_xor_b32 s4, exec_lo, s4
	s_cbranch_execz .LBB4_34
; %bb.33:
	v_ldexp_f64 v[6:7], |v[2:3]|, 0xffffff80
	v_cmp_le_f64_e64 s0, 0x7b000000, |v[2:3]|
	v_trig_preop_f64 v[8:9], |v[2:3]|, 0
	v_and_b32_e32 v12, 0x7fffffff, v3
	v_trig_preop_f64 v[25:26], |v[2:3]|, 2
	v_mov_b32_e32 v33, 0
	s_mov_b32 s6, 0x54442d18
	s_mov_b32 s7, 0x3ff921fb
	;; [unrolled: 1-line block ×4, first 2 shown]
	v_cndmask_b32_e64 v7, v12, v7, s0
	v_cndmask_b32_e64 v6, v2, v6, s0
	v_trig_preop_f64 v[12:13], |v[2:3]|, 1
	v_mul_f64 v[16:17], v[8:9], v[6:7]
	v_mul_f64 v[31:32], v[25:26], v[6:7]
	;; [unrolled: 1-line block ×3, first 2 shown]
	v_fma_f64 v[8:9], v[8:9], v[6:7], -v[16:17]
	v_fma_f64 v[12:13], v[12:13], v[6:7], -v[19:20]
	;; [unrolled: 1-line block ×3, first 2 shown]
	v_add_f64 v[21:22], v[19:20], v[8:9]
	v_add_f64 v[23:24], v[21:22], -v[19:20]
	v_add_f64 v[29:30], v[16:17], v[21:22]
	v_add_f64 v[27:28], v[21:22], -v[23:24]
	v_add_f64 v[8:9], v[8:9], -v[23:24]
	v_ldexp_f64 v[23:24], v[29:30], -2
	v_add_f64 v[16:17], v[29:30], -v[16:17]
	v_add_f64 v[19:20], v[19:20], -v[27:28]
	v_add_f64 v[27:28], v[31:32], v[12:13]
	v_cmp_neq_f64_e64 s0, 0x7ff00000, |v[23:24]|
	v_add_f64 v[16:17], v[21:22], -v[16:17]
	v_add_f64 v[8:9], v[8:9], v[19:20]
	v_fract_f64_e32 v[19:20], v[23:24]
	v_add_f64 v[21:22], v[27:28], v[8:9]
	v_ldexp_f64 v[19:20], v[19:20], 2
	v_add_f64 v[23:24], v[16:17], v[21:22]
	v_cndmask_b32_e64 v20, 0, v20, s0
	v_cndmask_b32_e64 v19, 0, v19, s0
	v_add_f64 v[29:30], v[23:24], v[19:20]
	v_add_f64 v[16:17], v[23:24], -v[16:17]
	v_cmp_gt_f64_e64 s0, 0, v[29:30]
	v_add_f64 v[29:30], v[27:28], -v[31:32]
	v_cndmask_b32_e64 v34, 0, 0x40100000, s0
	v_add_f64 v[38:39], v[27:28], -v[29:30]
	v_add_f64 v[12:13], v[12:13], -v[29:30]
	v_add_f64 v[19:20], v[19:20], v[33:34]
	v_add_f64 v[34:35], v[21:22], -v[27:28]
	v_add_f64 v[29:30], v[31:32], -v[38:39]
	v_add_f64 v[36:37], v[23:24], v[19:20]
	;; [unrolled: 3-line block ×3, first 2 shown]
	v_cvt_i32_f64_e32 v36, v[36:37]
	v_add_f64 v[27:28], v[27:28], -v[40:41]
	v_cvt_f64_i32_e32 v[34:35], v36
	v_add_f64 v[8:9], v[8:9], v[27:28]
	v_add_f64 v[19:20], v[19:20], -v[34:35]
	v_add_f64 v[8:9], v[12:13], v[8:9]
	v_add_f64 v[12:13], v[21:22], -v[16:17]
	v_add_f64 v[25:26], v[23:24], v[19:20]
	v_add_f64 v[6:7], v[6:7], v[8:9]
	v_add_f64 v[8:9], v[25:26], -v[19:20]
	v_cmp_le_f64_e64 s0, 0.5, v[25:26]
	v_add_f64 v[6:7], v[12:13], v[6:7]
	v_add_f64 v[8:9], v[23:24], -v[8:9]
	v_cndmask_b32_e64 v34, 0, 0x3ff00000, s0
	v_add_co_ci_u32_e64 v12, null, 0, v36, s0
	v_add_f64 v[6:7], v[6:7], v[8:9]
	v_add_f64 v[8:9], v[25:26], -v[33:34]
	v_add_f64 v[16:17], v[8:9], v[6:7]
	v_mul_f64 v[19:20], v[16:17], s[6:7]
	v_add_f64 v[8:9], v[16:17], -v[8:9]
	v_fma_f64 v[21:22], v[16:17], s[6:7], -v[19:20]
	v_add_f64 v[6:7], v[6:7], -v[8:9]
	v_fma_f64 v[8:9], v[16:17], s[10:11], v[21:22]
	v_fma_f64 v[8:9], v[6:7], s[6:7], v[8:9]
	v_add_f64 v[6:7], v[19:20], v[8:9]
	v_add_f64 v[16:17], v[6:7], -v[19:20]
	v_add_f64 v[8:9], v[8:9], -v[16:17]
.LBB4_34:
	s_andn2_saveexec_b32 s0, s4
	s_cbranch_execz .LBB4_36
; %bb.35:
	s_mov_b32 s4, 0x6dc9c883
	s_mov_b32 s5, 0x3fe45f30
	;; [unrolled: 1-line block ×3, first 2 shown]
	v_mul_f64 v[6:7], |v[2:3]|, s[4:5]
	s_mov_b32 s4, 0x54442d18
	s_mov_b32 s5, 0xbff921fb
	;; [unrolled: 1-line block ×3, first 2 shown]
	v_rndne_f64_e32 v[12:13], v[6:7]
	v_fma_f64 v[6:7], v[12:13], s[4:5], |v[2:3]|
	v_mul_f64 v[8:9], v[12:13], s[6:7]
	s_mov_b32 s4, 0x252049c0
	s_mov_b32 s5, 0xb97b839a
	v_fma_f64 v[19:20], v[12:13], s[6:7], v[6:7]
	v_add_f64 v[16:17], v[6:7], v[8:9]
	s_mov_b32 s7, 0x3c91a626
	v_add_f64 v[6:7], v[6:7], -v[16:17]
	v_add_f64 v[16:17], v[16:17], -v[19:20]
	v_add_f64 v[6:7], v[6:7], v[8:9]
	v_fma_f64 v[8:9], v[12:13], s[6:7], v[8:9]
	v_add_f64 v[6:7], v[16:17], v[6:7]
	v_add_f64 v[6:7], v[6:7], -v[8:9]
	v_fma_f64 v[8:9], v[12:13], s[4:5], v[6:7]
	v_cvt_i32_f64_e32 v12, v[12:13]
	v_add_f64 v[6:7], v[19:20], v[8:9]
	v_add_f64 v[16:17], v[6:7], -v[19:20]
	v_add_f64 v[8:9], v[8:9], -v[16:17]
.LBB4_36:
	s_or_b32 exec_lo, exec_lo, s0
	v_mul_f64 v[16:17], v[6:7], v[6:7]
	s_mov_b32 s4, 0xb42fdfa7
	s_mov_b32 s6, 0xf9a43bb8
	;; [unrolled: 1-line block ×6, first 2 shown]
	v_mul_f64 v[27:28], v[8:9], 0.5
	v_fma_f64 v[19:20], v[16:17], s[6:7], s[4:5]
	s_mov_b32 s4, 0x9037ab78
	s_mov_b32 s6, 0x46cc5e42
	;; [unrolled: 1-line block ×4, first 2 shown]
	v_mul_f64 v[23:24], v[16:17], 0.5
	v_fma_f64 v[21:22], v[16:17], s[6:7], s[4:5]
	s_mov_b32 s4, 0xa17f65f6
	s_mov_b32 s6, 0x19e83e5c
	;; [unrolled: 1-line block ×4, first 2 shown]
	v_mul_f64 v[29:30], v[6:7], -v[16:17]
	v_fma_f64 v[19:20], v[16:17], v[19:20], s[10:11]
	v_add_f64 v[25:26], -v[23:24], 1.0
	v_fma_f64 v[21:22], v[16:17], v[21:22], s[4:5]
	s_mov_b32 s4, 0x19f4ec90
	s_mov_b32 s5, 0x3efa01a0
	v_fma_f64 v[19:20], v[16:17], v[19:20], s[6:7]
	s_mov_b32 s6, 0x11110bb3
	s_mov_b32 s7, 0x3f811111
	v_add_f64 v[31:32], -v[25:26], 1.0
	v_fma_f64 v[21:22], v[16:17], v[21:22], s[4:5]
	s_mov_b32 s4, 0x16c16967
	s_mov_b32 s5, 0xbf56c16c
	v_fma_f64 v[19:20], v[16:17], v[19:20], s[6:7]
	v_add_f64 v[23:24], v[31:32], -v[23:24]
	v_fma_f64 v[21:22], v[16:17], v[21:22], s[4:5]
	s_mov_b32 s5, 0x3fa55555
	s_mov_b32 s4, 0x55555555
	v_fma_f64 v[19:20], v[29:30], v[19:20], v[27:28]
	v_mul_f64 v[27:28], v[16:17], v[16:17]
	v_fma_f64 v[23:24], v[6:7], -v[8:9], v[23:24]
	v_fma_f64 v[21:22], v[16:17], v[21:22], s[4:5]
	s_mov_b32 s5, 0xbfc55555
	v_fma_f64 v[8:9], v[16:17], v[19:20], -v[8:9]
	v_fma_f64 v[16:17], v[27:28], v[21:22], v[23:24]
	v_fma_f64 v[8:9], v[29:30], s[4:5], v[8:9]
	v_add_f64 v[16:17], v[25:26], v[16:17]
	v_add_f64 v[6:7], v[6:7], -v[8:9]
	v_and_b32_e32 v9, 1, v12
	v_lshlrev_b32_e32 v8, 30, v12
	v_cmp_eq_u32_e64 s0, 0, v9
	v_xor_b32_e32 v8, v8, v3
	v_and_b32_e32 v8, 0x80000000, v8
	v_cndmask_b32_e64 v6, v16, v6, s0
	v_cndmask_b32_e64 v7, v17, v7, s0
	v_cmp_class_f64_e64 s0, v[2:3], 0x1f8
	v_xor_b32_e32 v7, v7, v8
	v_cndmask_b32_e64 v9, 0x7ff80000, v7, s0
	v_cndmask_b32_e64 v8, 0, v6, s0
	s_or_b32 exec_lo, exec_lo, s1
	s_and_saveexec_b32 s0, vcc_lo
	s_xor_b32 s0, exec_lo, s0
	s_cbranch_execz .LBB4_28
.LBB4_37:
	v_mov_b32_e32 v2, 0
	v_lshlrev_b64 v[0:1], 3, v[1:2]
	v_add_co_u32 v2, vcc_lo, s8, v0
	v_add_co_ci_u32_e64 v3, null, s9, v1, vcc_lo
	v_mov_b32_e32 v0, v18
	global_store_dwordx2 v[2:3], v[4:5], off
	s_or_b32 exec_lo, exec_lo, s0
	s_mov_b32 s0, exec_lo
	v_cmpx_gt_i32_e64 s3, v0
	s_cbranch_execz .LBB4_29
.LBB4_38:
	v_add_nc_u32_e32 v1, s2, v0
	v_mov_b32_e32 v2, 0
	v_add_nc_u32_e32 v0, 0x100, v0
	v_lshlrev_b64 v[1:2], 3, v[1:2]
	v_add_co_u32 v1, vcc_lo, s8, v1
	v_add_co_ci_u32_e64 v2, null, s9, v2, vcc_lo
	global_store_dwordx2 v[1:2], v[14:15], off
	s_or_b32 exec_lo, exec_lo, s0
	s_mov_b32 s0, exec_lo
	v_cmpx_gt_i32_e64 s3, v0
	s_cbranch_execz .LBB4_30
.LBB4_39:
	v_add_nc_u32_e32 v1, s2, v0
	v_mov_b32_e32 v2, 0
	v_add_nc_u32_e32 v0, 0x100, v0
	v_lshlrev_b64 v[1:2], 3, v[1:2]
	v_add_co_u32 v1, vcc_lo, s8, v1
	v_add_co_ci_u32_e64 v2, null, s9, v2, vcc_lo
	global_store_dwordx2 v[1:2], v[10:11], off
	s_or_b32 exec_lo, exec_lo, s0
	s_mov_b32 s0, exec_lo
	v_cmpx_gt_i32_e64 s3, v0
	s_cbranch_execz .LBB4_31
.LBB4_40:
	v_add_nc_u32_e32 v0, s2, v0
	v_mov_b32_e32 v1, 0
	v_lshlrev_b64 v[0:1], 3, v[0:1]
	v_add_co_u32 v0, vcc_lo, s8, v0
	v_add_co_ci_u32_e64 v1, null, s9, v1, vcc_lo
	global_store_dwordx2 v[0:1], v[8:9], off
	s_endpgm
	.section	.rodata,"a",@progbits
	.p2align	6, 0x0
	.amdhsa_kernel _ZN2at6native27unrolled_elementwise_kernelIZZZNS0_15sin_kernel_cudaERNS_18TensorIteratorBaseEENKUlvE0_clEvENKUlvE_clEvEUldE_St5arrayIPcLm2EELi4E23TrivialOffsetCalculatorILi1EjESB_NS0_6memory15LoadWithoutCastENSC_16StoreWithoutCastEEEviT_T0_T2_T3_T4_T5_
		.amdhsa_group_segment_fixed_size 0
		.amdhsa_private_segment_fixed_size 0
		.amdhsa_kernarg_size 28
		.amdhsa_user_sgpr_count 6
		.amdhsa_user_sgpr_private_segment_buffer 1
		.amdhsa_user_sgpr_dispatch_ptr 0
		.amdhsa_user_sgpr_queue_ptr 0
		.amdhsa_user_sgpr_kernarg_segment_ptr 1
		.amdhsa_user_sgpr_dispatch_id 0
		.amdhsa_user_sgpr_flat_scratch_init 0
		.amdhsa_user_sgpr_private_segment_size 0
		.amdhsa_wavefront_size32 1
		.amdhsa_uses_dynamic_stack 0
		.amdhsa_system_sgpr_private_segment_wavefront_offset 0
		.amdhsa_system_sgpr_workgroup_id_x 1
		.amdhsa_system_sgpr_workgroup_id_y 0
		.amdhsa_system_sgpr_workgroup_id_z 0
		.amdhsa_system_sgpr_workgroup_info 0
		.amdhsa_system_vgpr_workitem_id 0
		.amdhsa_next_free_vgpr 46
		.amdhsa_next_free_sgpr 12
		.amdhsa_reserve_vcc 1
		.amdhsa_reserve_flat_scratch 0
		.amdhsa_float_round_mode_32 0
		.amdhsa_float_round_mode_16_64 0
		.amdhsa_float_denorm_mode_32 3
		.amdhsa_float_denorm_mode_16_64 3
		.amdhsa_dx10_clamp 1
		.amdhsa_ieee_mode 1
		.amdhsa_fp16_overflow 0
		.amdhsa_workgroup_processor_mode 1
		.amdhsa_memory_ordered 1
		.amdhsa_forward_progress 1
		.amdhsa_shared_vgpr_count 0
		.amdhsa_exception_fp_ieee_invalid_op 0
		.amdhsa_exception_fp_denorm_src 0
		.amdhsa_exception_fp_ieee_div_zero 0
		.amdhsa_exception_fp_ieee_overflow 0
		.amdhsa_exception_fp_ieee_underflow 0
		.amdhsa_exception_fp_ieee_inexact 0
		.amdhsa_exception_int_div_zero 0
	.end_amdhsa_kernel
	.section	.text._ZN2at6native27unrolled_elementwise_kernelIZZZNS0_15sin_kernel_cudaERNS_18TensorIteratorBaseEENKUlvE0_clEvENKUlvE_clEvEUldE_St5arrayIPcLm2EELi4E23TrivialOffsetCalculatorILi1EjESB_NS0_6memory15LoadWithoutCastENSC_16StoreWithoutCastEEEviT_T0_T2_T3_T4_T5_,"axG",@progbits,_ZN2at6native27unrolled_elementwise_kernelIZZZNS0_15sin_kernel_cudaERNS_18TensorIteratorBaseEENKUlvE0_clEvENKUlvE_clEvEUldE_St5arrayIPcLm2EELi4E23TrivialOffsetCalculatorILi1EjESB_NS0_6memory15LoadWithoutCastENSC_16StoreWithoutCastEEEviT_T0_T2_T3_T4_T5_,comdat
.Lfunc_end4:
	.size	_ZN2at6native27unrolled_elementwise_kernelIZZZNS0_15sin_kernel_cudaERNS_18TensorIteratorBaseEENKUlvE0_clEvENKUlvE_clEvEUldE_St5arrayIPcLm2EELi4E23TrivialOffsetCalculatorILi1EjESB_NS0_6memory15LoadWithoutCastENSC_16StoreWithoutCastEEEviT_T0_T2_T3_T4_T5_, .Lfunc_end4-_ZN2at6native27unrolled_elementwise_kernelIZZZNS0_15sin_kernel_cudaERNS_18TensorIteratorBaseEENKUlvE0_clEvENKUlvE_clEvEUldE_St5arrayIPcLm2EELi4E23TrivialOffsetCalculatorILi1EjESB_NS0_6memory15LoadWithoutCastENSC_16StoreWithoutCastEEEviT_T0_T2_T3_T4_T5_
                                        ; -- End function
	.set _ZN2at6native27unrolled_elementwise_kernelIZZZNS0_15sin_kernel_cudaERNS_18TensorIteratorBaseEENKUlvE0_clEvENKUlvE_clEvEUldE_St5arrayIPcLm2EELi4E23TrivialOffsetCalculatorILi1EjESB_NS0_6memory15LoadWithoutCastENSC_16StoreWithoutCastEEEviT_T0_T2_T3_T4_T5_.num_vgpr, 46
	.set _ZN2at6native27unrolled_elementwise_kernelIZZZNS0_15sin_kernel_cudaERNS_18TensorIteratorBaseEENKUlvE0_clEvENKUlvE_clEvEUldE_St5arrayIPcLm2EELi4E23TrivialOffsetCalculatorILi1EjESB_NS0_6memory15LoadWithoutCastENSC_16StoreWithoutCastEEEviT_T0_T2_T3_T4_T5_.num_agpr, 0
	.set _ZN2at6native27unrolled_elementwise_kernelIZZZNS0_15sin_kernel_cudaERNS_18TensorIteratorBaseEENKUlvE0_clEvENKUlvE_clEvEUldE_St5arrayIPcLm2EELi4E23TrivialOffsetCalculatorILi1EjESB_NS0_6memory15LoadWithoutCastENSC_16StoreWithoutCastEEEviT_T0_T2_T3_T4_T5_.numbered_sgpr, 12
	.set _ZN2at6native27unrolled_elementwise_kernelIZZZNS0_15sin_kernel_cudaERNS_18TensorIteratorBaseEENKUlvE0_clEvENKUlvE_clEvEUldE_St5arrayIPcLm2EELi4E23TrivialOffsetCalculatorILi1EjESB_NS0_6memory15LoadWithoutCastENSC_16StoreWithoutCastEEEviT_T0_T2_T3_T4_T5_.num_named_barrier, 0
	.set _ZN2at6native27unrolled_elementwise_kernelIZZZNS0_15sin_kernel_cudaERNS_18TensorIteratorBaseEENKUlvE0_clEvENKUlvE_clEvEUldE_St5arrayIPcLm2EELi4E23TrivialOffsetCalculatorILi1EjESB_NS0_6memory15LoadWithoutCastENSC_16StoreWithoutCastEEEviT_T0_T2_T3_T4_T5_.private_seg_size, 0
	.set _ZN2at6native27unrolled_elementwise_kernelIZZZNS0_15sin_kernel_cudaERNS_18TensorIteratorBaseEENKUlvE0_clEvENKUlvE_clEvEUldE_St5arrayIPcLm2EELi4E23TrivialOffsetCalculatorILi1EjESB_NS0_6memory15LoadWithoutCastENSC_16StoreWithoutCastEEEviT_T0_T2_T3_T4_T5_.uses_vcc, 1
	.set _ZN2at6native27unrolled_elementwise_kernelIZZZNS0_15sin_kernel_cudaERNS_18TensorIteratorBaseEENKUlvE0_clEvENKUlvE_clEvEUldE_St5arrayIPcLm2EELi4E23TrivialOffsetCalculatorILi1EjESB_NS0_6memory15LoadWithoutCastENSC_16StoreWithoutCastEEEviT_T0_T2_T3_T4_T5_.uses_flat_scratch, 0
	.set _ZN2at6native27unrolled_elementwise_kernelIZZZNS0_15sin_kernel_cudaERNS_18TensorIteratorBaseEENKUlvE0_clEvENKUlvE_clEvEUldE_St5arrayIPcLm2EELi4E23TrivialOffsetCalculatorILi1EjESB_NS0_6memory15LoadWithoutCastENSC_16StoreWithoutCastEEEviT_T0_T2_T3_T4_T5_.has_dyn_sized_stack, 0
	.set _ZN2at6native27unrolled_elementwise_kernelIZZZNS0_15sin_kernel_cudaERNS_18TensorIteratorBaseEENKUlvE0_clEvENKUlvE_clEvEUldE_St5arrayIPcLm2EELi4E23TrivialOffsetCalculatorILi1EjESB_NS0_6memory15LoadWithoutCastENSC_16StoreWithoutCastEEEviT_T0_T2_T3_T4_T5_.has_recursion, 0
	.set _ZN2at6native27unrolled_elementwise_kernelIZZZNS0_15sin_kernel_cudaERNS_18TensorIteratorBaseEENKUlvE0_clEvENKUlvE_clEvEUldE_St5arrayIPcLm2EELi4E23TrivialOffsetCalculatorILi1EjESB_NS0_6memory15LoadWithoutCastENSC_16StoreWithoutCastEEEviT_T0_T2_T3_T4_T5_.has_indirect_call, 0
	.section	.AMDGPU.csdata,"",@progbits
; Kernel info:
; codeLenInByte = 6104
; TotalNumSgprs: 14
; NumVgprs: 46
; ScratchSize: 0
; MemoryBound: 0
; FloatMode: 240
; IeeeMode: 1
; LDSByteSize: 0 bytes/workgroup (compile time only)
; SGPRBlocks: 0
; VGPRBlocks: 5
; NumSGPRsForWavesPerEU: 14
; NumVGPRsForWavesPerEU: 46
; Occupancy: 16
; WaveLimiterHint : 0
; COMPUTE_PGM_RSRC2:SCRATCH_EN: 0
; COMPUTE_PGM_RSRC2:USER_SGPR: 6
; COMPUTE_PGM_RSRC2:TRAP_HANDLER: 0
; COMPUTE_PGM_RSRC2:TGID_X_EN: 1
; COMPUTE_PGM_RSRC2:TGID_Y_EN: 0
; COMPUTE_PGM_RSRC2:TGID_Z_EN: 0
; COMPUTE_PGM_RSRC2:TIDIG_COMP_CNT: 0
	.section	.text._ZN2at6native32elementwise_kernel_manual_unrollILi128ELi4EZNS0_22gpu_kernel_impl_nocastIZZZNS0_15sin_kernel_cudaERNS_18TensorIteratorBaseEENKUlvE0_clEvENKUlvE_clEvEUldE_EEvS4_RKT_EUlibE_EEviT1_,"axG",@progbits,_ZN2at6native32elementwise_kernel_manual_unrollILi128ELi4EZNS0_22gpu_kernel_impl_nocastIZZZNS0_15sin_kernel_cudaERNS_18TensorIteratorBaseEENKUlvE0_clEvENKUlvE_clEvEUldE_EEvS4_RKT_EUlibE_EEviT1_,comdat
	.globl	_ZN2at6native32elementwise_kernel_manual_unrollILi128ELi4EZNS0_22gpu_kernel_impl_nocastIZZZNS0_15sin_kernel_cudaERNS_18TensorIteratorBaseEENKUlvE0_clEvENKUlvE_clEvEUldE_EEvS4_RKT_EUlibE_EEviT1_ ; -- Begin function _ZN2at6native32elementwise_kernel_manual_unrollILi128ELi4EZNS0_22gpu_kernel_impl_nocastIZZZNS0_15sin_kernel_cudaERNS_18TensorIteratorBaseEENKUlvE0_clEvENKUlvE_clEvEUldE_EEvS4_RKT_EUlibE_EEviT1_
	.p2align	8
	.type	_ZN2at6native32elementwise_kernel_manual_unrollILi128ELi4EZNS0_22gpu_kernel_impl_nocastIZZZNS0_15sin_kernel_cudaERNS_18TensorIteratorBaseEENKUlvE0_clEvENKUlvE_clEvEUldE_EEvS4_RKT_EUlibE_EEviT1_,@function
_ZN2at6native32elementwise_kernel_manual_unrollILi128ELi4EZNS0_22gpu_kernel_impl_nocastIZZZNS0_15sin_kernel_cudaERNS_18TensorIteratorBaseEENKUlvE0_clEvENKUlvE_clEvEUldE_EEvS4_RKT_EUlibE_EEviT1_: ; @_ZN2at6native32elementwise_kernel_manual_unrollILi128ELi4EZNS0_22gpu_kernel_impl_nocastIZZZNS0_15sin_kernel_cudaERNS_18TensorIteratorBaseEENKUlvE0_clEvENKUlvE_clEvEUldE_EEvS4_RKT_EUlibE_EEviT1_
; %bb.0:
	s_clause 0x1
	s_load_dword s22, s[4:5], 0x8
	s_load_dword s27, s[4:5], 0x0
	v_lshl_or_b32 v8, s6, 9, v0
	s_add_u32 s2, s4, 8
	s_addc_u32 s3, s5, 0
	s_mov_b32 s0, exec_lo
	v_or_b32_e32 v9, 0x180, v8
	s_waitcnt lgkmcnt(0)
	s_add_i32 s23, s22, -1
	s_cmp_gt_u32 s23, 1
	s_cselect_b32 s24, -1, 0
	v_cmpx_le_i32_e64 s27, v9
	s_xor_b32 s25, exec_lo, s0
	s_cbranch_execz .LBB5_7
; %bb.1:
	s_clause 0x3
	s_load_dwordx4 s[12:15], s[2:3], 0x4
	s_load_dwordx2 s[16:17], s[2:3], 0x14
	s_load_dwordx4 s[8:11], s[2:3], 0xc4
	s_load_dwordx4 s[4:7], s[2:3], 0x148
	s_cmp_lg_u32 s22, 0
	s_mov_b32 s30, exec_lo
	s_cselect_b32 s29, -1, 0
	s_add_u32 s18, s2, 0xc4
	s_addc_u32 s19, s3, 0
	s_min_u32 s28, s23, 15
	s_cmp_gt_u32 s22, 1
	s_cselect_b32 s26, -1, 0
	v_cmpx_gt_i32_e64 s27, v8
	s_cbranch_execz .LBB5_14
; %bb.2:
	s_andn2_b32 vcc_lo, exec_lo, s24
	s_cbranch_vccnz .LBB5_21
; %bb.3:
	s_andn2_b32 vcc_lo, exec_lo, s29
	s_cbranch_vccnz .LBB5_89
; %bb.4:
	s_add_i32 s33, s28, 1
	s_cmp_eq_u32 s23, 2
	s_cbranch_scc1 .LBB5_91
; %bb.5:
	v_mov_b32_e32 v2, 0
	v_mov_b32_e32 v0, 0
	;; [unrolled: 1-line block ×3, first 2 shown]
	s_and_b32 s31, s33, 28
	s_mov_b32 s34, 0
	s_mov_b64 s[0:1], s[2:3]
	s_mov_b64 s[20:21], s[18:19]
.LBB5_6:                                ; =>This Inner Loop Header: Depth=1
	s_clause 0x1
	s_load_dwordx8 s[36:43], s[0:1], 0x4
	s_load_dwordx4 s[52:55], s[0:1], 0x24
	s_load_dwordx8 s[44:51], s[20:21], 0x0
	s_add_u32 s0, s0, 48
	s_addc_u32 s1, s1, 0
	s_add_i32 s34, s34, 4
	s_add_u32 s20, s20, 32
	s_addc_u32 s21, s21, 0
	s_cmp_lg_u32 s31, s34
	s_waitcnt lgkmcnt(0)
	v_mul_hi_u32 v3, s37, v1
	v_add_nc_u32_e32 v3, v1, v3
	v_lshrrev_b32_e32 v3, s38, v3
	v_mul_hi_u32 v4, s40, v3
	v_mul_lo_u32 v6, v3, s36
	v_add_nc_u32_e32 v4, v3, v4
	v_sub_nc_u32_e32 v1, v1, v6
	v_lshrrev_b32_e32 v4, s41, v4
	v_mul_lo_u32 v6, v1, s44
	v_mul_lo_u32 v9, v1, s45
	v_mul_hi_u32 v5, s43, v4
	v_add_nc_u32_e32 v5, v4, v5
	v_lshrrev_b32_e32 v5, s52, v5
	v_mul_hi_u32 v7, s54, v5
	v_mul_lo_u32 v10, v5, s42
	v_add_nc_u32_e32 v1, v5, v7
	v_mul_lo_u32 v7, v4, s39
	v_sub_nc_u32_e32 v4, v4, v10
	v_lshrrev_b32_e32 v1, s55, v1
	v_mul_lo_u32 v10, v4, s48
	v_mul_lo_u32 v4, v4, s49
	v_sub_nc_u32_e32 v3, v3, v7
	v_mul_lo_u32 v11, v1, s53
	v_mul_lo_u32 v7, v3, s46
	v_mul_lo_u32 v3, v3, s47
	v_sub_nc_u32_e32 v5, v5, v11
	v_add3_u32 v0, v6, v0, v7
	v_mul_lo_u32 v11, v5, s50
	v_mul_lo_u32 v5, v5, s51
	v_add3_u32 v2, v9, v2, v3
	v_add3_u32 v0, v10, v0, v11
	v_add3_u32 v2, v4, v2, v5
	s_cbranch_scc1 .LBB5_6
	s_branch .LBB5_92
.LBB5_7:
	s_andn2_saveexec_b32 s0, s25
	s_cbranch_execz .LBB5_125
.LBB5_8:
	v_cndmask_b32_e64 v4, 0, 1, s24
	s_andn2_b32 vcc_lo, exec_lo, s24
	s_cbranch_vccnz .LBB5_20
; %bb.9:
	s_cmp_lg_u32 s22, 0
	s_waitcnt lgkmcnt(0)
	s_mov_b32 s6, 0
	s_cbranch_scc0 .LBB5_23
; %bb.10:
	s_min_u32 s8, s23, 15
	s_add_i32 s8, s8, 1
	s_cmp_eq_u32 s23, 2
	s_cbranch_scc1 .LBB5_24
; %bb.11:
	v_mov_b32_e32 v5, 0
	v_mov_b32_e32 v0, 0
	;; [unrolled: 1-line block ×3, first 2 shown]
	s_and_b32 s7, s8, 28
	s_add_u32 s0, s2, 0xc4
	s_addc_u32 s1, s3, 0
	s_mov_b32 s9, 0
	s_mov_b64 s[4:5], s[2:3]
.LBB5_12:                               ; =>This Inner Loop Header: Depth=1
	s_clause 0x1
	s_load_dwordx8 s[12:19], s[4:5], 0x4
	s_load_dwordx4 s[36:39], s[4:5], 0x24
	s_load_dwordx8 s[24:31], s[0:1], 0x0
	s_add_u32 s4, s4, 48
	s_addc_u32 s5, s5, 0
	s_add_i32 s9, s9, 4
	s_add_u32 s0, s0, 32
	s_addc_u32 s1, s1, 0
	s_cmp_lg_u32 s7, s9
	s_waitcnt lgkmcnt(0)
	v_mul_hi_u32 v2, s13, v1
	v_add_nc_u32_e32 v2, v1, v2
	v_lshrrev_b32_e32 v2, s14, v2
	v_mul_hi_u32 v3, s16, v2
	v_mul_lo_u32 v7, v2, s12
	v_add_nc_u32_e32 v3, v2, v3
	v_sub_nc_u32_e32 v1, v1, v7
	v_lshrrev_b32_e32 v3, s17, v3
	v_mul_lo_u32 v7, v1, s24
	v_mul_lo_u32 v11, v1, s25
	v_mul_hi_u32 v6, s19, v3
	v_add_nc_u32_e32 v6, v3, v6
	v_lshrrev_b32_e32 v6, s36, v6
	v_mul_hi_u32 v10, s38, v6
	v_mul_lo_u32 v12, v6, s18
	v_add_nc_u32_e32 v1, v6, v10
	v_mul_lo_u32 v10, v3, s15
	v_sub_nc_u32_e32 v3, v3, v12
	v_lshrrev_b32_e32 v1, s39, v1
	v_mul_lo_u32 v12, v3, s28
	v_mul_lo_u32 v3, v3, s29
	v_sub_nc_u32_e32 v2, v2, v10
	v_mul_lo_u32 v13, v1, s37
	v_mul_lo_u32 v10, v2, s26
	;; [unrolled: 1-line block ×3, first 2 shown]
	v_sub_nc_u32_e32 v6, v6, v13
	v_add3_u32 v0, v7, v0, v10
	v_mul_lo_u32 v13, v6, s30
	v_mul_lo_u32 v6, v6, s31
	v_add3_u32 v2, v11, v5, v2
	v_add3_u32 v0, v12, v0, v13
	;; [unrolled: 1-line block ×3, first 2 shown]
	s_cbranch_scc1 .LBB5_12
; %bb.13:
	s_and_b32 s8, s8, 3
	s_cmp_eq_u32 s8, 0
	s_cbranch_scc0 .LBB5_25
	s_branch .LBB5_27
.LBB5_14:
	s_or_b32 exec_lo, exec_lo, s30
	s_mov_b32 s30, exec_lo
	v_cmpx_gt_i32_e64 s27, v8
	s_cbranch_execz .LBB5_103
.LBB5_15:
	s_andn2_b32 vcc_lo, exec_lo, s24
	s_cbranch_vccnz .LBB5_22
; %bb.16:
	s_andn2_b32 vcc_lo, exec_lo, s29
	s_cbranch_vccnz .LBB5_90
; %bb.17:
	s_add_i32 s33, s28, 1
	s_cmp_eq_u32 s23, 2
	s_cbranch_scc1 .LBB5_111
; %bb.18:
	v_mov_b32_e32 v2, 0
	v_mov_b32_e32 v0, 0
	;; [unrolled: 1-line block ×3, first 2 shown]
	s_and_b32 s31, s33, 28
	s_mov_b32 s34, 0
	s_mov_b64 s[0:1], s[2:3]
	s_mov_b64 s[20:21], s[18:19]
.LBB5_19:                               ; =>This Inner Loop Header: Depth=1
	s_clause 0x1
	s_load_dwordx8 s[36:43], s[0:1], 0x4
	s_load_dwordx4 s[52:55], s[0:1], 0x24
	s_load_dwordx8 s[44:51], s[20:21], 0x0
	s_add_u32 s0, s0, 48
	s_addc_u32 s1, s1, 0
	s_add_i32 s34, s34, 4
	s_add_u32 s20, s20, 32
	s_addc_u32 s21, s21, 0
	s_cmp_eq_u32 s31, s34
	s_waitcnt lgkmcnt(0)
	v_mul_hi_u32 v3, s37, v1
	v_add_nc_u32_e32 v3, v1, v3
	v_lshrrev_b32_e32 v3, s38, v3
	v_mul_hi_u32 v4, s40, v3
	v_mul_lo_u32 v6, v3, s36
	v_add_nc_u32_e32 v4, v3, v4
	v_sub_nc_u32_e32 v1, v1, v6
	v_lshrrev_b32_e32 v4, s41, v4
	v_mul_lo_u32 v6, v1, s44
	v_mul_lo_u32 v9, v1, s45
	v_mul_hi_u32 v5, s43, v4
	v_add_nc_u32_e32 v5, v4, v5
	v_lshrrev_b32_e32 v5, s52, v5
	v_mul_hi_u32 v7, s54, v5
	v_mul_lo_u32 v10, v5, s42
	v_add_nc_u32_e32 v1, v5, v7
	v_mul_lo_u32 v7, v4, s39
	v_sub_nc_u32_e32 v4, v4, v10
	v_lshrrev_b32_e32 v1, s55, v1
	v_mul_lo_u32 v10, v4, s48
	v_mul_lo_u32 v4, v4, s49
	v_sub_nc_u32_e32 v3, v3, v7
	v_mul_lo_u32 v11, v1, s53
	v_mul_lo_u32 v7, v3, s46
	;; [unrolled: 1-line block ×3, first 2 shown]
	v_sub_nc_u32_e32 v5, v5, v11
	v_add3_u32 v0, v6, v0, v7
	v_mul_lo_u32 v11, v5, s50
	v_mul_lo_u32 v5, v5, s51
	v_add3_u32 v2, v9, v2, v3
	v_add3_u32 v0, v10, v0, v11
	;; [unrolled: 1-line block ×3, first 2 shown]
	s_cbranch_scc0 .LBB5_19
	s_branch .LBB5_112
.LBB5_20:
	s_waitcnt lgkmcnt(0)
	s_mov_b32 s6, -1
                                        ; implicit-def: $vgpr0
                                        ; implicit-def: $vgpr5
	s_branch .LBB5_27
.LBB5_21:
                                        ; implicit-def: $vgpr0
                                        ; implicit-def: $vgpr2
	s_branch .LBB5_96
.LBB5_22:
                                        ; implicit-def: $vgpr0
                                        ; implicit-def: $vgpr2
	s_branch .LBB5_116
.LBB5_23:
	v_mov_b32_e32 v0, 0
	v_mov_b32_e32 v5, 0
	s_branch .LBB5_27
.LBB5_24:
	v_mov_b32_e32 v0, 0
	v_mov_b32_e32 v5, 0
	;; [unrolled: 1-line block ×3, first 2 shown]
	s_mov_b32 s7, 0
	s_and_b32 s8, s8, 3
	s_cmp_eq_u32 s8, 0
	s_cbranch_scc1 .LBB5_27
.LBB5_25:
	s_lshl_b32 s0, s7, 3
	s_mul_i32 s4, s7, 12
	s_add_u32 s0, s2, s0
	s_addc_u32 s1, s3, 0
	s_add_u32 s0, s0, 0xc4
	s_addc_u32 s1, s1, 0
	;; [unrolled: 2-line block ×3, first 2 shown]
	.p2align	6
.LBB5_26:                               ; =>This Inner Loop Header: Depth=1
	s_clause 0x1
	s_load_dwordx2 s[10:11], s[4:5], 0x4
	s_load_dword s7, s[4:5], 0xc
	s_load_dwordx2 s[12:13], s[0:1], 0x0
	s_add_u32 s4, s4, 12
	s_addc_u32 s5, s5, 0
	s_add_u32 s0, s0, 8
	s_addc_u32 s1, s1, 0
	s_add_i32 s8, s8, -1
	s_cmp_lg_u32 s8, 0
	s_waitcnt lgkmcnt(0)
	v_mul_hi_u32 v2, s11, v1
	v_add_nc_u32_e32 v2, v1, v2
	v_lshrrev_b32_e32 v2, s7, v2
	v_mul_lo_u32 v3, v2, s10
	v_sub_nc_u32_e32 v3, v1, v3
	v_mad_u64_u32 v[0:1], null, v3, s12, v[0:1]
	v_mad_u64_u32 v[5:6], null, v3, s13, v[5:6]
	v_mov_b32_e32 v1, v2
	s_cbranch_scc1 .LBB5_26
.LBB5_27:
	s_andn2_b32 vcc_lo, exec_lo, s6
	s_cbranch_vccnz .LBB5_30
; %bb.28:
	s_clause 0x1
	s_load_dwordx4 s[4:7], s[2:3], 0x4
	s_load_dwordx2 s[0:1], s[2:3], 0xc4
	s_cmp_lt_u32 s22, 2
	s_waitcnt lgkmcnt(0)
	v_mul_hi_u32 v0, s5, v8
	v_add_nc_u32_e32 v0, v8, v0
	v_lshrrev_b32_e32 v1, s6, v0
	v_mul_lo_u32 v0, v1, s4
	v_sub_nc_u32_e32 v2, v8, v0
	v_mul_lo_u32 v0, v2, s0
	v_mul_lo_u32 v5, v2, s1
	s_cbranch_scc1 .LBB5_30
; %bb.29:
	s_clause 0x1
	s_load_dwordx4 s[4:7], s[2:3], 0x10
	s_load_dwordx2 s[0:1], s[2:3], 0xcc
	s_waitcnt lgkmcnt(0)
	v_mul_hi_u32 v2, s5, v1
	v_add_nc_u32_e32 v2, v1, v2
	v_lshrrev_b32_e32 v2, s6, v2
	v_mul_lo_u32 v2, v2, s4
	v_sub_nc_u32_e32 v2, v1, v2
	v_mad_u64_u32 v[0:1], null, v2, s0, v[0:1]
	v_mad_u64_u32 v[5:6], null, v2, s1, v[5:6]
.LBB5_30:
	v_cmp_ne_u32_e32 vcc_lo, 1, v4
	v_add_nc_u32_e32 v3, 0x80, v8
	s_cbranch_vccnz .LBB5_36
; %bb.31:
	s_cmp_lg_u32 s22, 0
	s_mov_b32 s6, 0
	s_cbranch_scc0 .LBB5_37
; %bb.32:
	s_min_u32 s8, s23, 15
	s_add_i32 s8, s8, 1
	s_cmp_eq_u32 s23, 2
	s_cbranch_scc1 .LBB5_38
; %bb.33:
	v_mov_b32_e32 v6, 0
	v_mov_b32_e32 v1, 0
	;; [unrolled: 1-line block ×3, first 2 shown]
	s_and_b32 s7, s8, 28
	s_add_u32 s0, s2, 0xc4
	s_addc_u32 s1, s3, 0
	s_mov_b32 s9, 0
	s_mov_b64 s[4:5], s[2:3]
.LBB5_34:                               ; =>This Inner Loop Header: Depth=1
	s_clause 0x1
	s_load_dwordx8 s[12:19], s[4:5], 0x4
	s_load_dwordx4 s[36:39], s[4:5], 0x24
	s_load_dwordx8 s[24:31], s[0:1], 0x0
	s_add_u32 s4, s4, 48
	s_addc_u32 s5, s5, 0
	s_add_i32 s9, s9, 4
	s_add_u32 s0, s0, 32
	s_addc_u32 s1, s1, 0
	s_cmp_lg_u32 s7, s9
	s_waitcnt lgkmcnt(0)
	v_mul_hi_u32 v7, s13, v2
	v_add_nc_u32_e32 v7, v2, v7
	v_lshrrev_b32_e32 v7, s14, v7
	v_mul_hi_u32 v10, s16, v7
	v_mul_lo_u32 v12, v7, s12
	v_add_nc_u32_e32 v10, v7, v10
	v_sub_nc_u32_e32 v2, v2, v12
	v_lshrrev_b32_e32 v10, s17, v10
	v_mul_lo_u32 v12, v2, s24
	v_mul_lo_u32 v14, v2, s25
	v_mul_hi_u32 v11, s19, v10
	v_add_nc_u32_e32 v11, v10, v11
	v_lshrrev_b32_e32 v11, s36, v11
	v_mul_hi_u32 v13, s38, v11
	v_mul_lo_u32 v15, v11, s18
	v_add_nc_u32_e32 v2, v11, v13
	v_mul_lo_u32 v13, v10, s15
	v_sub_nc_u32_e32 v10, v10, v15
	v_lshrrev_b32_e32 v2, s39, v2
	v_mul_lo_u32 v15, v10, s28
	v_mul_lo_u32 v10, v10, s29
	v_sub_nc_u32_e32 v7, v7, v13
	v_mul_lo_u32 v16, v2, s37
	v_mul_lo_u32 v13, v7, s26
	;; [unrolled: 1-line block ×3, first 2 shown]
	v_sub_nc_u32_e32 v11, v11, v16
	v_add3_u32 v1, v12, v1, v13
	v_mul_lo_u32 v16, v11, s30
	v_mul_lo_u32 v11, v11, s31
	v_add3_u32 v6, v14, v6, v7
	v_add3_u32 v1, v15, v1, v16
	;; [unrolled: 1-line block ×3, first 2 shown]
	s_cbranch_scc1 .LBB5_34
; %bb.35:
	s_and_b32 s8, s8, 3
	s_cmp_eq_u32 s8, 0
	s_cbranch_scc0 .LBB5_39
	s_branch .LBB5_41
.LBB5_36:
	s_mov_b32 s6, -1
                                        ; implicit-def: $vgpr1
                                        ; implicit-def: $vgpr6
	s_branch .LBB5_41
.LBB5_37:
	v_mov_b32_e32 v1, 0
	v_mov_b32_e32 v6, 0
	s_branch .LBB5_41
.LBB5_38:
	v_mov_b32_e32 v1, 0
	v_mov_b32_e32 v6, 0
	;; [unrolled: 1-line block ×3, first 2 shown]
	s_mov_b32 s7, 0
	s_and_b32 s8, s8, 3
	s_cmp_eq_u32 s8, 0
	s_cbranch_scc1 .LBB5_41
.LBB5_39:
	s_lshl_b32 s0, s7, 3
	s_mul_i32 s4, s7, 12
	s_add_u32 s0, s2, s0
	s_addc_u32 s1, s3, 0
	s_add_u32 s0, s0, 0xc4
	s_addc_u32 s1, s1, 0
	s_add_u32 s4, s2, s4
	s_addc_u32 s5, s3, 0
	.p2align	6
.LBB5_40:                               ; =>This Inner Loop Header: Depth=1
	s_clause 0x1
	s_load_dwordx2 s[10:11], s[4:5], 0x4
	s_load_dword s7, s[4:5], 0xc
	s_load_dwordx2 s[12:13], s[0:1], 0x0
	s_add_u32 s4, s4, 12
	s_addc_u32 s5, s5, 0
	s_add_u32 s0, s0, 8
	s_addc_u32 s1, s1, 0
	s_add_i32 s8, s8, -1
	s_cmp_lg_u32 s8, 0
	s_waitcnt lgkmcnt(0)
	v_mul_hi_u32 v7, s11, v2
	v_add_nc_u32_e32 v7, v2, v7
	v_lshrrev_b32_e32 v10, s7, v7
	v_mul_lo_u32 v7, v10, s10
	v_sub_nc_u32_e32 v7, v2, v7
	v_mad_u64_u32 v[1:2], null, v7, s12, v[1:2]
	v_mad_u64_u32 v[6:7], null, v7, s13, v[6:7]
	v_mov_b32_e32 v2, v10
	s_cbranch_scc1 .LBB5_40
.LBB5_41:
	s_andn2_b32 vcc_lo, exec_lo, s6
	s_cbranch_vccnz .LBB5_44
; %bb.42:
	s_clause 0x1
	s_load_dwordx4 s[4:7], s[2:3], 0x4
	s_load_dwordx2 s[0:1], s[2:3], 0xc4
	s_cmp_lt_u32 s22, 2
	s_waitcnt lgkmcnt(0)
	v_mul_hi_u32 v1, s5, v3
	v_add_nc_u32_e32 v1, v3, v1
	v_lshrrev_b32_e32 v2, s6, v1
	v_mul_lo_u32 v1, v2, s4
	v_sub_nc_u32_e32 v3, v3, v1
	v_mul_lo_u32 v1, v3, s0
	v_mul_lo_u32 v6, v3, s1
	s_cbranch_scc1 .LBB5_44
; %bb.43:
	s_clause 0x1
	s_load_dwordx4 s[4:7], s[2:3], 0x10
	s_load_dwordx2 s[0:1], s[2:3], 0xcc
	s_waitcnt lgkmcnt(0)
	v_mul_hi_u32 v3, s5, v2
	v_add_nc_u32_e32 v3, v2, v3
	v_lshrrev_b32_e32 v3, s6, v3
	v_mul_lo_u32 v3, v3, s4
	v_sub_nc_u32_e32 v3, v2, v3
	v_mad_u64_u32 v[1:2], null, v3, s0, v[1:2]
	v_mad_u64_u32 v[6:7], null, v3, s1, v[6:7]
.LBB5_44:
	v_cmp_ne_u32_e32 vcc_lo, 1, v4
	v_add_nc_u32_e32 v10, 0x100, v8
	s_cbranch_vccnz .LBB5_50
; %bb.45:
	s_cmp_lg_u32 s22, 0
	s_mov_b32 s6, 0
	s_cbranch_scc0 .LBB5_51
; %bb.46:
	s_min_u32 s8, s23, 15
	s_add_i32 s8, s8, 1
	s_cmp_eq_u32 s23, 2
	s_cbranch_scc1 .LBB5_52
; %bb.47:
	v_mov_b32_e32 v7, 0
	v_mov_b32_e32 v2, 0
	v_mov_b32_e32 v3, v10
	s_and_b32 s7, s8, 28
	s_add_u32 s0, s2, 0xc4
	s_addc_u32 s1, s3, 0
	s_mov_b32 s9, 0
	s_mov_b64 s[4:5], s[2:3]
.LBB5_48:                               ; =>This Inner Loop Header: Depth=1
	s_clause 0x1
	s_load_dwordx8 s[12:19], s[4:5], 0x4
	s_load_dwordx4 s[36:39], s[4:5], 0x24
	s_load_dwordx8 s[24:31], s[0:1], 0x0
	s_add_u32 s4, s4, 48
	s_addc_u32 s5, s5, 0
	s_add_i32 s9, s9, 4
	s_add_u32 s0, s0, 32
	s_addc_u32 s1, s1, 0
	s_cmp_lg_u32 s7, s9
	s_waitcnt lgkmcnt(0)
	v_mul_hi_u32 v8, s13, v3
	v_add_nc_u32_e32 v8, v3, v8
	v_lshrrev_b32_e32 v8, s14, v8
	v_mul_hi_u32 v11, s16, v8
	v_mul_lo_u32 v13, v8, s12
	v_add_nc_u32_e32 v11, v8, v11
	v_sub_nc_u32_e32 v3, v3, v13
	v_lshrrev_b32_e32 v11, s17, v11
	v_mul_lo_u32 v13, v3, s24
	v_mul_lo_u32 v15, v3, s25
	v_mul_hi_u32 v12, s19, v11
	v_add_nc_u32_e32 v12, v11, v12
	v_lshrrev_b32_e32 v12, s36, v12
	v_mul_hi_u32 v14, s38, v12
	v_mul_lo_u32 v16, v12, s18
	v_add_nc_u32_e32 v3, v12, v14
	v_mul_lo_u32 v14, v11, s15
	v_sub_nc_u32_e32 v11, v11, v16
	v_lshrrev_b32_e32 v3, s39, v3
	v_mul_lo_u32 v16, v11, s28
	v_mul_lo_u32 v11, v11, s29
	v_sub_nc_u32_e32 v8, v8, v14
	v_mul_lo_u32 v17, v3, s37
	v_mul_lo_u32 v14, v8, s26
	;; [unrolled: 1-line block ×3, first 2 shown]
	v_sub_nc_u32_e32 v12, v12, v17
	v_add3_u32 v2, v13, v2, v14
	v_mul_lo_u32 v17, v12, s30
	v_mul_lo_u32 v12, v12, s31
	v_add3_u32 v7, v15, v7, v8
	v_add3_u32 v2, v16, v2, v17
	;; [unrolled: 1-line block ×3, first 2 shown]
	s_cbranch_scc1 .LBB5_48
; %bb.49:
	s_and_b32 s8, s8, 3
	s_cmp_eq_u32 s8, 0
	s_cbranch_scc0 .LBB5_53
	s_branch .LBB5_55
.LBB5_50:
	s_mov_b32 s6, -1
                                        ; implicit-def: $vgpr2
                                        ; implicit-def: $vgpr7
	s_branch .LBB5_55
.LBB5_51:
	v_mov_b32_e32 v2, 0
	v_mov_b32_e32 v7, 0
	s_branch .LBB5_55
.LBB5_52:
	v_mov_b32_e32 v2, 0
	v_mov_b32_e32 v7, 0
	;; [unrolled: 1-line block ×3, first 2 shown]
	s_mov_b32 s7, 0
	s_and_b32 s8, s8, 3
	s_cmp_eq_u32 s8, 0
	s_cbranch_scc1 .LBB5_55
.LBB5_53:
	s_lshl_b32 s0, s7, 3
	s_mul_i32 s4, s7, 12
	s_add_u32 s0, s2, s0
	s_addc_u32 s1, s3, 0
	s_add_u32 s0, s0, 0xc4
	s_addc_u32 s1, s1, 0
	;; [unrolled: 2-line block ×3, first 2 shown]
	.p2align	6
.LBB5_54:                               ; =>This Inner Loop Header: Depth=1
	s_clause 0x1
	s_load_dwordx2 s[10:11], s[4:5], 0x4
	s_load_dword s7, s[4:5], 0xc
	s_load_dwordx2 s[12:13], s[0:1], 0x0
	s_add_u32 s4, s4, 12
	s_addc_u32 s5, s5, 0
	s_add_u32 s0, s0, 8
	s_addc_u32 s1, s1, 0
	s_add_i32 s8, s8, -1
	s_cmp_lg_u32 s8, 0
	s_waitcnt lgkmcnt(0)
	v_mul_hi_u32 v8, s11, v3
	v_add_nc_u32_e32 v8, v3, v8
	v_lshrrev_b32_e32 v11, s7, v8
	v_mul_lo_u32 v8, v11, s10
	v_sub_nc_u32_e32 v8, v3, v8
	v_mad_u64_u32 v[2:3], null, v8, s12, v[2:3]
	v_mad_u64_u32 v[7:8], null, v8, s13, v[7:8]
	v_mov_b32_e32 v3, v11
	s_cbranch_scc1 .LBB5_54
.LBB5_55:
	s_andn2_b32 vcc_lo, exec_lo, s6
	s_cbranch_vccnz .LBB5_58
; %bb.56:
	s_clause 0x1
	s_load_dwordx4 s[4:7], s[2:3], 0x4
	s_load_dwordx2 s[0:1], s[2:3], 0xc4
	s_cmp_lt_u32 s22, 2
	s_waitcnt lgkmcnt(0)
	v_mul_hi_u32 v2, s5, v10
	v_add_nc_u32_e32 v2, v10, v2
	v_lshrrev_b32_e32 v3, s6, v2
	v_mul_lo_u32 v2, v3, s4
	v_sub_nc_u32_e32 v7, v10, v2
	v_mul_lo_u32 v2, v7, s0
	v_mul_lo_u32 v7, v7, s1
	s_cbranch_scc1 .LBB5_58
; %bb.57:
	s_clause 0x1
	s_load_dwordx4 s[4:7], s[2:3], 0x10
	s_load_dwordx2 s[0:1], s[2:3], 0xcc
	s_waitcnt lgkmcnt(0)
	v_mul_hi_u32 v8, s5, v3
	v_add_nc_u32_e32 v8, v3, v8
	v_lshrrev_b32_e32 v8, s6, v8
	v_mul_lo_u32 v8, v8, s4
	v_sub_nc_u32_e32 v8, v3, v8
	v_mad_u64_u32 v[2:3], null, v8, s0, v[2:3]
	v_mad_u64_u32 v[7:8], null, v8, s1, v[7:8]
.LBB5_58:
	v_cmp_ne_u32_e32 vcc_lo, 1, v4
	s_cbranch_vccnz .LBB5_64
; %bb.59:
	s_cmp_lg_u32 s22, 0
	s_mov_b32 s6, 0
	s_cbranch_scc0 .LBB5_65
; %bb.60:
	s_min_u32 s8, s23, 15
	s_add_i32 s8, s8, 1
	s_cmp_eq_u32 s23, 2
	s_cbranch_scc1 .LBB5_66
; %bb.61:
	v_mov_b32_e32 v14, 0
	v_mov_b32_e32 v3, 0
	;; [unrolled: 1-line block ×3, first 2 shown]
	s_and_b32 s7, s8, 28
	s_add_u32 s0, s2, 0xc4
	s_addc_u32 s1, s3, 0
	s_mov_b32 s9, 0
	s_mov_b64 s[4:5], s[2:3]
.LBB5_62:                               ; =>This Inner Loop Header: Depth=1
	s_clause 0x1
	s_load_dwordx8 s[12:19], s[4:5], 0x4
	s_load_dwordx4 s[36:39], s[4:5], 0x24
	s_load_dwordx8 s[24:31], s[0:1], 0x0
	s_add_u32 s4, s4, 48
	s_addc_u32 s5, s5, 0
	s_add_i32 s9, s9, 4
	s_add_u32 s0, s0, 32
	s_addc_u32 s1, s1, 0
	s_cmp_lg_u32 s7, s9
	s_waitcnt lgkmcnt(0)
	v_mul_hi_u32 v8, s13, v4
	v_add_nc_u32_e32 v8, v4, v8
	v_lshrrev_b32_e32 v8, s14, v8
	v_mul_hi_u32 v10, s16, v8
	v_mul_lo_u32 v12, v8, s12
	v_add_nc_u32_e32 v10, v8, v10
	v_sub_nc_u32_e32 v4, v4, v12
	v_lshrrev_b32_e32 v10, s17, v10
	v_mul_lo_u32 v12, v4, s24
	v_mul_lo_u32 v15, v4, s25
	v_mul_hi_u32 v11, s19, v10
	v_add_nc_u32_e32 v11, v10, v11
	v_lshrrev_b32_e32 v11, s36, v11
	v_mul_hi_u32 v13, s38, v11
	v_mul_lo_u32 v16, v11, s18
	v_add_nc_u32_e32 v4, v11, v13
	v_mul_lo_u32 v13, v10, s15
	v_sub_nc_u32_e32 v10, v10, v16
	v_lshrrev_b32_e32 v4, s39, v4
	v_mul_lo_u32 v16, v10, s28
	v_mul_lo_u32 v10, v10, s29
	v_sub_nc_u32_e32 v8, v8, v13
	v_mul_lo_u32 v17, v4, s37
	v_mul_lo_u32 v13, v8, s26
	;; [unrolled: 1-line block ×3, first 2 shown]
	v_sub_nc_u32_e32 v11, v11, v17
	v_add3_u32 v3, v12, v3, v13
	v_mul_lo_u32 v17, v11, s30
	v_mul_lo_u32 v11, v11, s31
	v_add3_u32 v8, v15, v14, v8
	v_add3_u32 v3, v16, v3, v17
	;; [unrolled: 1-line block ×3, first 2 shown]
	s_cbranch_scc1 .LBB5_62
; %bb.63:
	s_and_b32 s8, s8, 3
	s_cmp_eq_u32 s8, 0
	s_cbranch_scc0 .LBB5_67
	s_branch .LBB5_69
.LBB5_64:
	s_mov_b32 s6, -1
                                        ; implicit-def: $vgpr3
                                        ; implicit-def: $vgpr14
	s_branch .LBB5_69
.LBB5_65:
	v_mov_b32_e32 v3, 0
	v_mov_b32_e32 v14, 0
	s_branch .LBB5_69
.LBB5_66:
	v_mov_b32_e32 v3, 0
	v_mov_b32_e32 v14, 0
	;; [unrolled: 1-line block ×3, first 2 shown]
	s_mov_b32 s7, 0
	s_and_b32 s8, s8, 3
	s_cmp_eq_u32 s8, 0
	s_cbranch_scc1 .LBB5_69
.LBB5_67:
	s_lshl_b32 s0, s7, 3
	s_mul_i32 s4, s7, 12
	s_add_u32 s0, s2, s0
	s_addc_u32 s1, s3, 0
	s_add_u32 s0, s0, 0xc4
	s_addc_u32 s1, s1, 0
	;; [unrolled: 2-line block ×3, first 2 shown]
	.p2align	6
.LBB5_68:                               ; =>This Inner Loop Header: Depth=1
	s_clause 0x1
	s_load_dwordx2 s[10:11], s[4:5], 0x4
	s_load_dword s7, s[4:5], 0xc
	s_load_dwordx2 s[12:13], s[0:1], 0x0
	s_add_u32 s4, s4, 12
	s_addc_u32 s5, s5, 0
	s_add_u32 s0, s0, 8
	s_addc_u32 s1, s1, 0
	s_add_i32 s8, s8, -1
	s_cmp_lg_u32 s8, 0
	s_waitcnt lgkmcnt(0)
	v_mul_hi_u32 v8, s11, v4
	v_add_nc_u32_e32 v8, v4, v8
	v_lshrrev_b32_e32 v8, s7, v8
	v_mul_lo_u32 v10, v8, s10
	v_sub_nc_u32_e32 v10, v4, v10
	v_mad_u64_u32 v[3:4], null, v10, s12, v[3:4]
	v_mad_u64_u32 v[14:15], null, v10, s13, v[14:15]
	v_mov_b32_e32 v4, v8
	s_cbranch_scc1 .LBB5_68
.LBB5_69:
	s_andn2_b32 vcc_lo, exec_lo, s6
	s_cbranch_vccnz .LBB5_72
; %bb.70:
	s_clause 0x1
	s_load_dwordx4 s[4:7], s[2:3], 0x4
	s_load_dwordx2 s[0:1], s[2:3], 0xc4
	s_cmp_lt_u32 s22, 2
	s_waitcnt lgkmcnt(0)
	v_mul_hi_u32 v3, s5, v9
	v_add_nc_u32_e32 v3, v9, v3
	v_lshrrev_b32_e32 v4, s6, v3
	v_mul_lo_u32 v3, v4, s4
	v_sub_nc_u32_e32 v8, v9, v3
	v_mul_lo_u32 v3, v8, s0
	v_mul_lo_u32 v14, v8, s1
	s_cbranch_scc1 .LBB5_72
; %bb.71:
	s_clause 0x1
	s_load_dwordx4 s[4:7], s[2:3], 0x10
	s_load_dwordx2 s[0:1], s[2:3], 0xcc
	s_waitcnt lgkmcnt(0)
	v_mul_hi_u32 v8, s5, v4
	v_add_nc_u32_e32 v8, v4, v8
	v_lshrrev_b32_e32 v8, s6, v8
	v_mul_lo_u32 v8, v8, s4
	v_sub_nc_u32_e32 v8, v4, v8
	v_mad_u64_u32 v[3:4], null, v8, s0, v[3:4]
	v_mad_u64_u32 v[14:15], null, v8, s1, v[14:15]
.LBB5_72:
	s_load_dwordx4 s[8:11], s[2:3], 0x148
                                        ; implicit-def: $vgpr29
                                        ; implicit-def: $vgpr8_vgpr9
                                        ; implicit-def: $vgpr12_vgpr13
	s_waitcnt lgkmcnt(0)
	global_load_dwordx2 v[4:5], v5, s[10:11]
	s_waitcnt vmcnt(0)
	v_cmp_ngt_f64_e64 s0, 0x41d00000, |v[4:5]|
	s_and_saveexec_b32 s1, s0
	s_xor_b32 s0, exec_lo, s1
	s_cbranch_execz .LBB5_74
; %bb.73:
	v_ldexp_f64 v[8:9], |v[4:5]|, 0xffffff80
	v_cmp_le_f64_e64 vcc_lo, 0x7b000000, |v[4:5]|
	v_trig_preop_f64 v[10:11], |v[4:5]|, 0
	v_and_b32_e32 v12, 0x7fffffff, v5
	v_trig_preop_f64 v[23:24], |v[4:5]|, 2
	v_mov_b32_e32 v31, 0
	s_mov_b32 s2, 0x54442d18
	s_mov_b32 s3, 0x3ff921fb
	;; [unrolled: 1-line block ×4, first 2 shown]
	v_cndmask_b32_e32 v9, v12, v9, vcc_lo
	v_cndmask_b32_e32 v8, v4, v8, vcc_lo
	v_trig_preop_f64 v[12:13], |v[4:5]|, 1
	v_mul_f64 v[15:16], v[10:11], v[8:9]
	v_mul_f64 v[29:30], v[23:24], v[8:9]
	;; [unrolled: 1-line block ×3, first 2 shown]
	v_fma_f64 v[10:11], v[10:11], v[8:9], -v[15:16]
	v_fma_f64 v[12:13], v[12:13], v[8:9], -v[17:18]
	;; [unrolled: 1-line block ×3, first 2 shown]
	v_add_f64 v[19:20], v[17:18], v[10:11]
	v_add_f64 v[21:22], v[19:20], -v[17:18]
	v_add_f64 v[27:28], v[15:16], v[19:20]
	v_add_f64 v[25:26], v[19:20], -v[21:22]
	v_add_f64 v[10:11], v[10:11], -v[21:22]
	v_ldexp_f64 v[21:22], v[27:28], -2
	v_add_f64 v[15:16], v[27:28], -v[15:16]
	v_add_f64 v[17:18], v[17:18], -v[25:26]
	v_add_f64 v[25:26], v[29:30], v[12:13]
	v_cmp_neq_f64_e64 vcc_lo, 0x7ff00000, |v[21:22]|
	v_add_f64 v[15:16], v[19:20], -v[15:16]
	v_add_f64 v[10:11], v[10:11], v[17:18]
	v_fract_f64_e32 v[17:18], v[21:22]
	v_add_f64 v[19:20], v[25:26], v[10:11]
	v_ldexp_f64 v[17:18], v[17:18], 2
	v_add_f64 v[21:22], v[15:16], v[19:20]
	v_cndmask_b32_e32 v18, 0, v18, vcc_lo
	v_cndmask_b32_e32 v17, 0, v17, vcc_lo
	v_add_f64 v[27:28], v[21:22], v[17:18]
	v_add_f64 v[15:16], v[21:22], -v[15:16]
	v_cmp_gt_f64_e32 vcc_lo, 0, v[27:28]
	v_add_f64 v[27:28], v[25:26], -v[29:30]
	v_add_f64 v[15:16], v[19:20], -v[15:16]
	v_cndmask_b32_e64 v32, 0, 0x40100000, vcc_lo
	v_add_f64 v[36:37], v[25:26], -v[27:28]
	v_add_f64 v[12:13], v[12:13], -v[27:28]
	v_add_f64 v[17:18], v[17:18], v[31:32]
	v_add_f64 v[32:33], v[19:20], -v[25:26]
	v_add_f64 v[27:28], v[29:30], -v[36:37]
	v_add_f64 v[34:35], v[21:22], v[17:18]
	;; [unrolled: 3-line block ×3, first 2 shown]
	v_cvt_i32_f64_e32 v34, v[34:35]
	v_add_f64 v[25:26], v[25:26], -v[38:39]
	v_cvt_f64_i32_e32 v[32:33], v34
	v_add_f64 v[10:11], v[10:11], v[25:26]
	v_add_f64 v[17:18], v[17:18], -v[32:33]
	v_add_f64 v[10:11], v[12:13], v[10:11]
	v_add_f64 v[12:13], v[21:22], v[17:18]
	;; [unrolled: 1-line block ×3, first 2 shown]
	v_add_f64 v[10:11], v[12:13], -v[17:18]
	v_cmp_le_f64_e32 vcc_lo, 0.5, v[12:13]
	v_add_f64 v[8:9], v[15:16], v[8:9]
	v_add_f64 v[10:11], v[21:22], -v[10:11]
	v_cndmask_b32_e64 v32, 0, 0x3ff00000, vcc_lo
	v_add_co_ci_u32_e64 v29, null, 0, v34, vcc_lo
	v_add_f64 v[8:9], v[8:9], v[10:11]
	v_add_f64 v[10:11], v[12:13], -v[31:32]
	v_add_f64 v[12:13], v[10:11], v[8:9]
	v_mul_f64 v[15:16], v[12:13], s[2:3]
	v_add_f64 v[10:11], v[12:13], -v[10:11]
	v_fma_f64 v[17:18], v[12:13], s[2:3], -v[15:16]
	v_add_f64 v[8:9], v[8:9], -v[10:11]
	v_fma_f64 v[10:11], v[12:13], s[4:5], v[17:18]
	v_fma_f64 v[10:11], v[8:9], s[2:3], v[10:11]
	v_add_f64 v[8:9], v[15:16], v[10:11]
	v_add_f64 v[12:13], v[8:9], -v[15:16]
	v_add_f64 v[12:13], v[10:11], -v[12:13]
.LBB5_74:
	s_andn2_saveexec_b32 s0, s0
	s_cbranch_execz .LBB5_76
; %bb.75:
	s_mov_b32 s2, 0x6dc9c883
	s_mov_b32 s3, 0x3fe45f30
	;; [unrolled: 1-line block ×3, first 2 shown]
	v_mul_f64 v[8:9], |v[4:5]|, s[2:3]
	s_mov_b32 s2, 0x54442d18
	s_mov_b32 s3, 0xbff921fb
	;; [unrolled: 1-line block ×3, first 2 shown]
	v_rndne_f64_e32 v[10:11], v[8:9]
	v_fma_f64 v[8:9], v[10:11], s[2:3], |v[4:5]|
	v_mul_f64 v[12:13], v[10:11], s[4:5]
	s_mov_b32 s2, 0x252049c0
	s_mov_b32 s3, 0xb97b839a
	v_cvt_i32_f64_e32 v29, v[10:11]
	v_fma_f64 v[17:18], v[10:11], s[4:5], v[8:9]
	v_add_f64 v[15:16], v[8:9], v[12:13]
	s_mov_b32 s5, 0x3c91a626
	v_add_f64 v[8:9], v[8:9], -v[15:16]
	v_add_f64 v[15:16], v[15:16], -v[17:18]
	v_add_f64 v[8:9], v[8:9], v[12:13]
	v_fma_f64 v[12:13], v[10:11], s[4:5], v[12:13]
	v_add_f64 v[8:9], v[15:16], v[8:9]
	v_add_f64 v[8:9], v[8:9], -v[12:13]
	v_fma_f64 v[12:13], v[10:11], s[2:3], v[8:9]
	v_add_f64 v[8:9], v[17:18], v[12:13]
	v_add_f64 v[15:16], v[8:9], -v[17:18]
	v_add_f64 v[12:13], v[12:13], -v[15:16]
.LBB5_76:
	s_or_b32 exec_lo, exec_lo, s0
	global_load_dwordx2 v[10:11], v6, s[10:11]
                                        ; implicit-def: $vgpr30
                                        ; implicit-def: $vgpr15_vgpr16
                                        ; implicit-def: $vgpr17_vgpr18
	s_waitcnt vmcnt(0)
	v_cmp_ngt_f64_e64 s0, 0x41d00000, |v[10:11]|
	s_and_saveexec_b32 s1, s0
	s_xor_b32 s0, exec_lo, s1
	s_cbranch_execz .LBB5_78
; %bb.77:
	v_ldexp_f64 v[15:16], |v[10:11]|, 0xffffff80
	v_cmp_le_f64_e64 vcc_lo, 0x7b000000, |v[10:11]|
	v_trig_preop_f64 v[17:18], |v[10:11]|, 0
	v_and_b32_e32 v6, 0x7fffffff, v11
	v_trig_preop_f64 v[19:20], |v[10:11]|, 1
	v_trig_preop_f64 v[30:31], |v[10:11]|, 2
	v_mov_b32_e32 v38, 0
	s_mov_b32 s2, 0x54442d18
	s_mov_b32 s3, 0x3ff921fb
	;; [unrolled: 1-line block ×4, first 2 shown]
	v_cndmask_b32_e32 v16, v6, v16, vcc_lo
	v_cndmask_b32_e32 v15, v10, v15, vcc_lo
	v_mul_f64 v[21:22], v[17:18], v[15:16]
	v_mul_f64 v[23:24], v[19:20], v[15:16]
	;; [unrolled: 1-line block ×3, first 2 shown]
	v_fma_f64 v[17:18], v[17:18], v[15:16], -v[21:22]
	v_fma_f64 v[19:20], v[19:20], v[15:16], -v[23:24]
	;; [unrolled: 1-line block ×3, first 2 shown]
	v_add_f64 v[25:26], v[23:24], v[17:18]
	v_add_f64 v[27:28], v[25:26], -v[23:24]
	v_add_f64 v[34:35], v[21:22], v[25:26]
	v_add_f64 v[32:33], v[25:26], -v[27:28]
	v_add_f64 v[17:18], v[17:18], -v[27:28]
	v_ldexp_f64 v[27:28], v[34:35], -2
	v_add_f64 v[21:22], v[34:35], -v[21:22]
	v_add_f64 v[23:24], v[23:24], -v[32:33]
	v_add_f64 v[32:33], v[36:37], v[19:20]
	v_cmp_neq_f64_e64 vcc_lo, 0x7ff00000, |v[27:28]|
	v_add_f64 v[21:22], v[25:26], -v[21:22]
	v_add_f64 v[17:18], v[17:18], v[23:24]
	v_fract_f64_e32 v[23:24], v[27:28]
	v_add_f64 v[25:26], v[32:33], v[17:18]
	v_ldexp_f64 v[23:24], v[23:24], 2
	v_add_f64 v[27:28], v[21:22], v[25:26]
	v_cndmask_b32_e32 v24, 0, v24, vcc_lo
	v_cndmask_b32_e32 v23, 0, v23, vcc_lo
	v_add_f64 v[34:35], v[27:28], v[23:24]
	v_add_f64 v[21:22], v[27:28], -v[21:22]
	v_cmp_gt_f64_e32 vcc_lo, 0, v[34:35]
	v_add_f64 v[34:35], v[32:33], -v[36:37]
	v_add_f64 v[21:22], v[25:26], -v[21:22]
	v_cndmask_b32_e64 v39, 0, 0x40100000, vcc_lo
	v_add_f64 v[43:44], v[32:33], -v[34:35]
	v_add_f64 v[19:20], v[19:20], -v[34:35]
	v_add_f64 v[23:24], v[23:24], v[38:39]
	v_add_f64 v[39:40], v[25:26], -v[32:33]
	v_add_f64 v[34:35], v[36:37], -v[43:44]
	v_add_f64 v[41:42], v[27:28], v[23:24]
	;; [unrolled: 3-line block ×3, first 2 shown]
	v_cvt_i32_f64_e32 v6, v[41:42]
	v_add_f64 v[32:33], v[32:33], -v[45:46]
	v_cvt_f64_i32_e32 v[39:40], v6
	v_add_f64 v[17:18], v[17:18], v[32:33]
	v_add_f64 v[23:24], v[23:24], -v[39:40]
	v_add_f64 v[17:18], v[19:20], v[17:18]
	v_add_f64 v[19:20], v[27:28], v[23:24]
	;; [unrolled: 1-line block ×3, first 2 shown]
	v_add_f64 v[17:18], v[19:20], -v[23:24]
	v_cmp_le_f64_e32 vcc_lo, 0.5, v[19:20]
	v_add_f64 v[15:16], v[21:22], v[15:16]
	v_add_f64 v[17:18], v[27:28], -v[17:18]
	v_cndmask_b32_e64 v39, 0, 0x3ff00000, vcc_lo
	v_add_co_ci_u32_e64 v30, null, 0, v6, vcc_lo
	v_add_f64 v[15:16], v[15:16], v[17:18]
	v_add_f64 v[17:18], v[19:20], -v[38:39]
	v_add_f64 v[19:20], v[17:18], v[15:16]
	v_mul_f64 v[21:22], v[19:20], s[2:3]
	v_add_f64 v[17:18], v[19:20], -v[17:18]
	v_fma_f64 v[23:24], v[19:20], s[2:3], -v[21:22]
	v_add_f64 v[15:16], v[15:16], -v[17:18]
	v_fma_f64 v[17:18], v[19:20], s[4:5], v[23:24]
	v_fma_f64 v[17:18], v[15:16], s[2:3], v[17:18]
	v_add_f64 v[15:16], v[21:22], v[17:18]
	v_add_f64 v[19:20], v[15:16], -v[21:22]
	v_add_f64 v[17:18], v[17:18], -v[19:20]
.LBB5_78:
	s_andn2_saveexec_b32 s0, s0
	s_cbranch_execz .LBB5_80
; %bb.79:
	s_mov_b32 s2, 0x6dc9c883
	s_mov_b32 s3, 0x3fe45f30
	s_mov_b32 s5, 0xbc91a626
	v_mul_f64 v[15:16], |v[10:11]|, s[2:3]
	s_mov_b32 s2, 0x54442d18
	s_mov_b32 s3, 0xbff921fb
	;; [unrolled: 1-line block ×3, first 2 shown]
	v_rndne_f64_e32 v[19:20], v[15:16]
	v_fma_f64 v[15:16], v[19:20], s[2:3], |v[10:11]|
	v_mul_f64 v[17:18], v[19:20], s[4:5]
	s_mov_b32 s2, 0x252049c0
	s_mov_b32 s3, 0xb97b839a
	v_cvt_i32_f64_e32 v30, v[19:20]
	v_fma_f64 v[23:24], v[19:20], s[4:5], v[15:16]
	v_add_f64 v[21:22], v[15:16], v[17:18]
	s_mov_b32 s5, 0x3c91a626
	v_add_f64 v[15:16], v[15:16], -v[21:22]
	v_add_f64 v[21:22], v[21:22], -v[23:24]
	v_add_f64 v[15:16], v[15:16], v[17:18]
	v_fma_f64 v[17:18], v[19:20], s[4:5], v[17:18]
	v_add_f64 v[15:16], v[21:22], v[15:16]
	v_add_f64 v[15:16], v[15:16], -v[17:18]
	v_fma_f64 v[17:18], v[19:20], s[2:3], v[15:16]
	v_add_f64 v[15:16], v[23:24], v[17:18]
	v_add_f64 v[21:22], v[15:16], -v[23:24]
	v_add_f64 v[17:18], v[17:18], -v[21:22]
.LBB5_80:
	s_or_b32 exec_lo, exec_lo, s0
	global_load_dwordx2 v[6:7], v7, s[10:11]
                                        ; implicit-def: $vgpr31
                                        ; implicit-def: $vgpr19_vgpr20
                                        ; implicit-def: $vgpr23_vgpr24
	s_waitcnt vmcnt(0)
	v_cmp_ngt_f64_e64 s0, 0x41d00000, |v[6:7]|
	s_and_saveexec_b32 s1, s0
	s_xor_b32 s0, exec_lo, s1
	s_cbranch_execz .LBB5_82
; %bb.81:
	v_ldexp_f64 v[19:20], |v[6:7]|, 0xffffff80
	v_cmp_le_f64_e64 vcc_lo, 0x7b000000, |v[6:7]|
	v_trig_preop_f64 v[21:22], |v[6:7]|, 0
	v_and_b32_e32 v23, 0x7fffffff, v7
	v_trig_preop_f64 v[35:36], |v[6:7]|, 2
	v_mov_b32_e32 v43, 0
	s_mov_b32 s2, 0x54442d18
	s_mov_b32 s3, 0x3ff921fb
	;; [unrolled: 1-line block ×4, first 2 shown]
	v_cndmask_b32_e32 v20, v23, v20, vcc_lo
	v_cndmask_b32_e32 v19, v6, v19, vcc_lo
	v_trig_preop_f64 v[23:24], |v[6:7]|, 1
	v_mul_f64 v[25:26], v[21:22], v[19:20]
	v_mul_f64 v[41:42], v[35:36], v[19:20]
	;; [unrolled: 1-line block ×3, first 2 shown]
	v_fma_f64 v[21:22], v[21:22], v[19:20], -v[25:26]
	v_fma_f64 v[23:24], v[23:24], v[19:20], -v[27:28]
	;; [unrolled: 1-line block ×3, first 2 shown]
	v_add_f64 v[31:32], v[27:28], v[21:22]
	v_add_f64 v[33:34], v[31:32], -v[27:28]
	v_add_f64 v[39:40], v[25:26], v[31:32]
	v_add_f64 v[37:38], v[31:32], -v[33:34]
	v_add_f64 v[21:22], v[21:22], -v[33:34]
	v_ldexp_f64 v[33:34], v[39:40], -2
	v_add_f64 v[25:26], v[39:40], -v[25:26]
	v_add_f64 v[27:28], v[27:28], -v[37:38]
	v_add_f64 v[37:38], v[41:42], v[23:24]
	v_cmp_neq_f64_e64 vcc_lo, 0x7ff00000, |v[33:34]|
	v_add_f64 v[25:26], v[31:32], -v[25:26]
	v_add_f64 v[21:22], v[21:22], v[27:28]
	v_fract_f64_e32 v[27:28], v[33:34]
	v_add_f64 v[31:32], v[37:38], v[21:22]
	v_ldexp_f64 v[27:28], v[27:28], 2
	v_add_f64 v[33:34], v[25:26], v[31:32]
	v_cndmask_b32_e32 v28, 0, v28, vcc_lo
	v_cndmask_b32_e32 v27, 0, v27, vcc_lo
	v_add_f64 v[39:40], v[33:34], v[27:28]
	v_add_f64 v[25:26], v[33:34], -v[25:26]
	v_cmp_gt_f64_e32 vcc_lo, 0, v[39:40]
	v_add_f64 v[39:40], v[37:38], -v[41:42]
	v_add_f64 v[25:26], v[31:32], -v[25:26]
	v_cndmask_b32_e64 v44, 0, 0x40100000, vcc_lo
	v_add_f64 v[48:49], v[37:38], -v[39:40]
	v_add_f64 v[23:24], v[23:24], -v[39:40]
	v_add_f64 v[27:28], v[27:28], v[43:44]
	v_add_f64 v[44:45], v[31:32], -v[37:38]
	v_add_f64 v[39:40], v[41:42], -v[48:49]
	v_add_f64 v[46:47], v[33:34], v[27:28]
	v_add_f64 v[50:51], v[31:32], -v[44:45]
	v_add_f64 v[21:22], v[21:22], -v[44:45]
	v_add_f64 v[23:24], v[23:24], v[39:40]
	v_cvt_i32_f64_e32 v46, v[46:47]
	v_add_f64 v[37:38], v[37:38], -v[50:51]
	v_cvt_f64_i32_e32 v[44:45], v46
	v_add_f64 v[21:22], v[21:22], v[37:38]
	v_add_f64 v[27:28], v[27:28], -v[44:45]
	v_add_f64 v[21:22], v[23:24], v[21:22]
	v_add_f64 v[23:24], v[33:34], v[27:28]
	;; [unrolled: 1-line block ×3, first 2 shown]
	v_add_f64 v[21:22], v[23:24], -v[27:28]
	v_cmp_le_f64_e32 vcc_lo, 0.5, v[23:24]
	v_add_f64 v[19:20], v[25:26], v[19:20]
	v_add_f64 v[21:22], v[33:34], -v[21:22]
	v_cndmask_b32_e64 v44, 0, 0x3ff00000, vcc_lo
	v_add_co_ci_u32_e64 v31, null, 0, v46, vcc_lo
	v_add_f64 v[19:20], v[19:20], v[21:22]
	v_add_f64 v[21:22], v[23:24], -v[43:44]
	v_add_f64 v[23:24], v[21:22], v[19:20]
	v_mul_f64 v[25:26], v[23:24], s[2:3]
	v_add_f64 v[21:22], v[23:24], -v[21:22]
	v_fma_f64 v[27:28], v[23:24], s[2:3], -v[25:26]
	v_add_f64 v[19:20], v[19:20], -v[21:22]
	v_fma_f64 v[21:22], v[23:24], s[4:5], v[27:28]
	v_fma_f64 v[21:22], v[19:20], s[2:3], v[21:22]
	v_add_f64 v[19:20], v[25:26], v[21:22]
	v_add_f64 v[23:24], v[19:20], -v[25:26]
	v_add_f64 v[23:24], v[21:22], -v[23:24]
.LBB5_82:
	s_andn2_saveexec_b32 s0, s0
	s_cbranch_execz .LBB5_84
; %bb.83:
	s_mov_b32 s2, 0x6dc9c883
	s_mov_b32 s3, 0x3fe45f30
	;; [unrolled: 1-line block ×3, first 2 shown]
	v_mul_f64 v[19:20], |v[6:7]|, s[2:3]
	s_mov_b32 s2, 0x54442d18
	s_mov_b32 s3, 0xbff921fb
	;; [unrolled: 1-line block ×3, first 2 shown]
	v_rndne_f64_e32 v[21:22], v[19:20]
	v_fma_f64 v[19:20], v[21:22], s[2:3], |v[6:7]|
	v_mul_f64 v[23:24], v[21:22], s[4:5]
	s_mov_b32 s2, 0x252049c0
	s_mov_b32 s3, 0xb97b839a
	v_cvt_i32_f64_e32 v31, v[21:22]
	v_fma_f64 v[27:28], v[21:22], s[4:5], v[19:20]
	v_add_f64 v[25:26], v[19:20], v[23:24]
	s_mov_b32 s5, 0x3c91a626
	v_add_f64 v[19:20], v[19:20], -v[25:26]
	v_add_f64 v[25:26], v[25:26], -v[27:28]
	v_add_f64 v[19:20], v[19:20], v[23:24]
	v_fma_f64 v[23:24], v[21:22], s[4:5], v[23:24]
	v_add_f64 v[19:20], v[25:26], v[19:20]
	v_add_f64 v[19:20], v[19:20], -v[23:24]
	v_fma_f64 v[23:24], v[21:22], s[2:3], v[19:20]
	v_add_f64 v[19:20], v[27:28], v[23:24]
	v_add_f64 v[25:26], v[19:20], -v[27:28]
	v_add_f64 v[23:24], v[23:24], -v[25:26]
.LBB5_84:
	s_or_b32 exec_lo, exec_lo, s0
	global_load_dwordx2 v[21:22], v14, s[10:11]
                                        ; implicit-def: $vgpr14
                                        ; implicit-def: $vgpr25_vgpr26
                                        ; implicit-def: $vgpr27_vgpr28
	s_waitcnt vmcnt(0)
	v_cmp_ngt_f64_e64 s0, 0x41d00000, |v[21:22]|
	s_and_saveexec_b32 s1, s0
	s_xor_b32 s0, exec_lo, s1
	s_cbranch_execz .LBB5_86
; %bb.85:
	v_ldexp_f64 v[25:26], |v[21:22]|, 0xffffff80
	v_cmp_le_f64_e64 vcc_lo, 0x7b000000, |v[21:22]|
	v_trig_preop_f64 v[27:28], |v[21:22]|, 0
	v_and_b32_e32 v14, 0x7fffffff, v22
	v_trig_preop_f64 v[32:33], |v[21:22]|, 1
	v_trig_preop_f64 v[42:43], |v[21:22]|, 2
	v_mov_b32_e32 v50, 0
	s_mov_b32 s2, 0x54442d18
	s_mov_b32 s3, 0x3ff921fb
	;; [unrolled: 1-line block ×4, first 2 shown]
	v_cndmask_b32_e32 v26, v14, v26, vcc_lo
	v_cndmask_b32_e32 v25, v21, v25, vcc_lo
	v_mul_f64 v[34:35], v[27:28], v[25:26]
	v_mul_f64 v[36:37], v[32:33], v[25:26]
	;; [unrolled: 1-line block ×3, first 2 shown]
	v_fma_f64 v[27:28], v[27:28], v[25:26], -v[34:35]
	v_fma_f64 v[32:33], v[32:33], v[25:26], -v[36:37]
	v_fma_f64 v[25:26], v[42:43], v[25:26], -v[48:49]
	v_add_f64 v[38:39], v[36:37], v[27:28]
	v_add_f64 v[40:41], v[38:39], -v[36:37]
	v_add_f64 v[46:47], v[34:35], v[38:39]
	v_add_f64 v[44:45], v[38:39], -v[40:41]
	v_add_f64 v[27:28], v[27:28], -v[40:41]
	v_ldexp_f64 v[40:41], v[46:47], -2
	v_add_f64 v[34:35], v[46:47], -v[34:35]
	v_add_f64 v[36:37], v[36:37], -v[44:45]
	v_add_f64 v[44:45], v[48:49], v[32:33]
	v_cmp_neq_f64_e64 vcc_lo, 0x7ff00000, |v[40:41]|
	v_add_f64 v[34:35], v[38:39], -v[34:35]
	v_add_f64 v[27:28], v[27:28], v[36:37]
	v_fract_f64_e32 v[36:37], v[40:41]
	v_add_f64 v[38:39], v[44:45], v[27:28]
	v_ldexp_f64 v[36:37], v[36:37], 2
	v_add_f64 v[40:41], v[34:35], v[38:39]
	v_cndmask_b32_e32 v37, 0, v37, vcc_lo
	v_cndmask_b32_e32 v36, 0, v36, vcc_lo
	v_add_f64 v[46:47], v[40:41], v[36:37]
	v_add_f64 v[34:35], v[40:41], -v[34:35]
	v_cmp_gt_f64_e32 vcc_lo, 0, v[46:47]
	v_add_f64 v[46:47], v[44:45], -v[48:49]
	v_add_f64 v[34:35], v[38:39], -v[34:35]
	v_cndmask_b32_e64 v51, 0, 0x40100000, vcc_lo
	v_add_f64 v[55:56], v[44:45], -v[46:47]
	v_add_f64 v[32:33], v[32:33], -v[46:47]
	v_add_f64 v[36:37], v[36:37], v[50:51]
	v_add_f64 v[51:52], v[38:39], -v[44:45]
	v_add_f64 v[46:47], v[48:49], -v[55:56]
	v_add_f64 v[53:54], v[40:41], v[36:37]
	;; [unrolled: 3-line block ×3, first 2 shown]
	v_cvt_i32_f64_e32 v14, v[53:54]
	v_add_f64 v[44:45], v[44:45], -v[57:58]
	v_cvt_f64_i32_e32 v[51:52], v14
	v_add_f64 v[27:28], v[27:28], v[44:45]
	v_add_f64 v[36:37], v[36:37], -v[51:52]
	v_add_f64 v[27:28], v[32:33], v[27:28]
	v_add_f64 v[32:33], v[40:41], v[36:37]
	;; [unrolled: 1-line block ×3, first 2 shown]
	v_add_f64 v[27:28], v[32:33], -v[36:37]
	v_cmp_le_f64_e32 vcc_lo, 0.5, v[32:33]
	v_add_f64 v[25:26], v[34:35], v[25:26]
	v_add_f64 v[27:28], v[40:41], -v[27:28]
	v_cndmask_b32_e64 v51, 0, 0x3ff00000, vcc_lo
	v_add_co_ci_u32_e64 v14, null, 0, v14, vcc_lo
	v_add_f64 v[25:26], v[25:26], v[27:28]
	v_add_f64 v[27:28], v[32:33], -v[50:51]
	v_add_f64 v[32:33], v[27:28], v[25:26]
	v_mul_f64 v[34:35], v[32:33], s[2:3]
	v_add_f64 v[27:28], v[32:33], -v[27:28]
	v_fma_f64 v[36:37], v[32:33], s[2:3], -v[34:35]
	v_add_f64 v[25:26], v[25:26], -v[27:28]
	v_fma_f64 v[27:28], v[32:33], s[4:5], v[36:37]
	v_fma_f64 v[27:28], v[25:26], s[2:3], v[27:28]
	v_add_f64 v[25:26], v[34:35], v[27:28]
	v_add_f64 v[32:33], v[25:26], -v[34:35]
	v_add_f64 v[27:28], v[27:28], -v[32:33]
.LBB5_86:
	s_andn2_saveexec_b32 s0, s0
	s_cbranch_execz .LBB5_88
; %bb.87:
	s_mov_b32 s2, 0x6dc9c883
	s_mov_b32 s3, 0x3fe45f30
	;; [unrolled: 1-line block ×3, first 2 shown]
	v_mul_f64 v[25:26], |v[21:22]|, s[2:3]
	s_mov_b32 s2, 0x54442d18
	s_mov_b32 s3, 0xbff921fb
	;; [unrolled: 1-line block ×3, first 2 shown]
	v_rndne_f64_e32 v[32:33], v[25:26]
	v_fma_f64 v[25:26], v[32:33], s[2:3], |v[21:22]|
	v_mul_f64 v[27:28], v[32:33], s[4:5]
	s_mov_b32 s2, 0x252049c0
	s_mov_b32 s3, 0xb97b839a
	v_cvt_i32_f64_e32 v14, v[32:33]
	v_fma_f64 v[36:37], v[32:33], s[4:5], v[25:26]
	v_add_f64 v[34:35], v[25:26], v[27:28]
	s_mov_b32 s5, 0x3c91a626
	v_add_f64 v[25:26], v[25:26], -v[34:35]
	v_add_f64 v[34:35], v[34:35], -v[36:37]
	v_add_f64 v[25:26], v[25:26], v[27:28]
	v_fma_f64 v[27:28], v[32:33], s[4:5], v[27:28]
	v_add_f64 v[25:26], v[34:35], v[25:26]
	v_add_f64 v[25:26], v[25:26], -v[27:28]
	v_fma_f64 v[27:28], v[32:33], s[2:3], v[25:26]
	v_add_f64 v[25:26], v[36:37], v[27:28]
	v_add_f64 v[34:35], v[25:26], -v[36:37]
	v_add_f64 v[27:28], v[27:28], -v[34:35]
.LBB5_88:
	s_or_b32 exec_lo, exec_lo, s0
	v_mul_f64 v[32:33], v[19:20], v[19:20]
	v_mul_f64 v[34:35], v[15:16], v[15:16]
	s_mov_b32 s0, 0x9037ab78
	s_mov_b32 s2, 0x46cc5e42
	;; [unrolled: 1-line block ×20, first 2 shown]
	v_mul_f64 v[36:37], v[32:33], 0.5
	v_fma_f64 v[38:39], v[32:33], s[10:11], s[6:7]
	v_fma_f64 v[40:41], v[32:33], s[2:3], s[0:1]
	v_mul_f64 v[42:43], v[34:35], 0.5
	v_fma_f64 v[46:47], v[34:35], s[2:3], s[0:1]
	v_mul_f64 v[54:55], v[23:24], 0.5
	s_mov_b32 s22, 0x55555555
	s_mov_b32 s23, 0x3fa55555
	v_mul_f64 v[58:59], v[27:28], 0.5
	v_add_f64 v[44:45], -v[36:37], 1.0
	v_fma_f64 v[38:39], v[32:33], v[38:39], s[14:15]
	v_fma_f64 v[40:41], v[32:33], v[40:41], s[4:5]
	v_add_f64 v[48:49], -v[42:43], 1.0
	v_fma_f64 v[46:47], v[34:35], v[46:47], s[4:5]
	v_add_f64 v[50:51], -v[44:45], 1.0
	v_fma_f64 v[38:39], v[32:33], v[38:39], s[18:19]
	v_fma_f64 v[40:41], v[32:33], v[40:41], s[12:13]
	v_add_f64 v[52:53], -v[48:49], 1.0
	v_fma_f64 v[46:47], v[34:35], v[46:47], s[12:13]
	v_add_f64 v[36:37], v[50:51], -v[36:37]
	v_mul_f64 v[50:51], v[19:20], -v[32:33]
	v_fma_f64 v[38:39], v[32:33], v[38:39], s[20:21]
	v_fma_f64 v[40:41], v[32:33], v[40:41], s[16:17]
	v_add_f64 v[42:43], v[52:53], -v[42:43]
	v_fma_f64 v[52:53], v[34:35], s[10:11], s[6:7]
	v_fma_f64 v[46:47], v[34:35], v[46:47], s[16:17]
	v_fma_f64 v[36:37], v[19:20], -v[23:24], v[36:37]
	v_fma_f64 v[38:39], v[50:51], v[38:39], v[54:55]
	v_mul_f64 v[54:55], v[32:33], v[32:33]
	v_fma_f64 v[40:41], v[32:33], v[40:41], s[22:23]
	v_fma_f64 v[52:53], v[34:35], v[52:53], s[14:15]
	;; [unrolled: 1-line block ×3, first 2 shown]
	v_fma_f64 v[42:43], v[15:16], -v[17:18], v[42:43]
	v_fma_f64 v[23:24], v[32:33], v[38:39], -v[23:24]
	v_mul_f64 v[32:33], v[17:18], 0.5
	v_fma_f64 v[36:37], v[54:55], v[40:41], v[36:37]
	v_mul_f64 v[40:41], v[34:35], v[34:35]
	v_mul_f64 v[54:55], v[8:9], v[8:9]
	v_fma_f64 v[52:53], v[34:35], v[52:53], s[18:19]
	v_mul_f64 v[38:39], v[15:16], -v[34:35]
	v_add_f64 v[36:37], v[44:45], v[36:37]
	v_fma_f64 v[40:41], v[40:41], v[46:47], v[42:43]
	v_fma_f64 v[42:43], v[54:55], s[2:3], s[0:1]
	;; [unrolled: 1-line block ×3, first 2 shown]
	v_mul_f64 v[52:53], v[54:55], 0.5
	v_fma_f64 v[42:43], v[54:55], v[42:43], s[4:5]
	v_fma_f64 v[32:33], v[38:39], v[46:47], v[32:33]
	v_add_f64 v[46:47], -v[52:53], 1.0
	v_fma_f64 v[42:43], v[54:55], v[42:43], s[12:13]
	v_fma_f64 v[17:18], v[34:35], v[32:33], -v[17:18]
	v_add_f64 v[32:33], -v[46:47], 1.0
	v_fma_f64 v[34:35], v[54:55], s[10:11], s[6:7]
	v_fma_f64 v[42:43], v[54:55], v[42:43], s[16:17]
	v_add_f64 v[32:33], v[32:33], -v[52:53]
	v_fma_f64 v[34:35], v[54:55], v[34:35], s[14:15]
	v_mul_f64 v[52:53], v[54:55], v[54:55]
	v_fma_f64 v[42:43], v[54:55], v[42:43], s[22:23]
	v_fma_f64 v[32:33], v[8:9], -v[12:13], v[32:33]
	v_fma_f64 v[34:35], v[54:55], v[34:35], s[18:19]
	v_fma_f64 v[32:33], v[52:53], v[42:43], v[32:33]
	v_mul_f64 v[42:43], v[12:13], 0.5
	v_mul_f64 v[52:53], v[8:9], -v[54:55]
	v_fma_f64 v[34:35], v[54:55], v[34:35], s[20:21]
	v_fma_f64 v[34:35], v[52:53], v[34:35], v[42:43]
	v_mul_f64 v[42:43], v[25:26], v[25:26]
	v_fma_f64 v[12:13], v[54:55], v[34:35], -v[12:13]
	v_mul_f64 v[34:35], v[42:43], 0.5
	v_mul_f64 v[60:61], v[25:26], -v[42:43]
	v_add_f64 v[54:55], -v[34:35], 1.0
	v_add_f64 v[56:57], -v[54:55], 1.0
	v_add_f64 v[34:35], v[56:57], -v[34:35]
	v_fma_f64 v[56:57], v[42:43], s[10:11], s[6:7]
	s_mov_b32 s7, 0xbfc55555
	s_mov_b32 s6, s22
	v_fma_f64 v[17:18], v[38:39], s[6:7], v[17:18]
	v_fma_f64 v[38:39], v[42:43], s[2:3], s[0:1]
	;; [unrolled: 1-line block ×4, first 2 shown]
	v_cmp_class_f64_e64 s2, v[10:11], 0x1f8
	v_cmp_class_f64_e64 s0, v[6:7], 0x1f8
	v_fma_f64 v[34:35], v[25:26], -v[27:28], v[34:35]
	v_fma_f64 v[56:57], v[42:43], v[56:57], s[14:15]
	v_add_f64 v[15:16], v[15:16], -v[17:18]
	v_fma_f64 v[38:39], v[42:43], v[38:39], s[4:5]
	v_add_f64 v[17:18], v[46:47], v[32:33]
	v_add_f64 v[8:9], v[8:9], -v[12:13]
	v_add_f64 v[19:20], v[19:20], -v[23:24]
	v_add_f64 v[23:24], v[48:49], v[40:41]
	v_cmp_class_f64_e64 s4, v[4:5], 0x1f8
	v_and_b32_e32 v32, 1, v29
	v_lshlrev_b32_e32 v29, 30, v29
	v_and_b32_e32 v33, 1, v14
	v_lshlrev_b32_e32 v14, 30, v14
	v_cmp_eq_u32_e64 s3, 0, v32
	v_xor_b32_e32 v4, v29, v5
	v_cmp_eq_u32_e64 s5, 0, v33
	v_xor_b32_e32 v5, v14, v22
	v_fma_f64 v[56:57], v[42:43], v[56:57], s[18:19]
	v_and_b32_e32 v5, 0x80000000, v5
	v_fma_f64 v[38:39], v[42:43], v[38:39], s[12:13]
	v_cndmask_b32_e64 v9, v18, v9, s3
	v_fma_f64 v[56:57], v[42:43], v[56:57], s[20:21]
	v_fma_f64 v[38:39], v[42:43], v[38:39], s[16:17]
	;; [unrolled: 1-line block ×4, first 2 shown]
	v_fma_f64 v[27:28], v[42:43], v[56:57], -v[27:28]
	v_mul_f64 v[42:43], v[42:43], v[42:43]
	v_fma_f64 v[27:28], v[60:61], s[6:7], v[27:28]
	v_fma_f64 v[34:35], v[42:43], v[38:39], v[34:35]
	v_cmp_class_f64_e64 s6, v[21:22], 0x1f8
	v_add_f64 v[25:26], v[25:26], -v[27:28]
	v_add_f64 v[12:13], v[54:55], v[34:35]
	v_and_b32_e32 v27, 1, v31
	v_lshlrev_b32_e32 v28, 30, v31
	v_and_b32_e32 v31, 1, v30
	v_lshlrev_b32_e32 v30, 30, v30
	v_cmp_eq_u32_e32 vcc_lo, 0, v27
	v_xor_b32_e32 v28, v28, v7
	v_cmp_eq_u32_e64 s1, 0, v31
	v_xor_b32_e32 v30, v30, v11
	v_cndmask_b32_e64 v7, v17, v8, s3
	v_cndmask_b32_e32 v19, v36, v19, vcc_lo
	v_and_b32_e32 v8, 0x80000000, v28
	v_cndmask_b32_e64 v14, v24, v16, s1
	v_and_b32_e32 v11, 0x80000000, v30
	v_cndmask_b32_e64 v6, v23, v15, s1
	v_xor_b32_e32 v11, v14, v11
	v_cndmask_b32_e64 v6, 0, v6, s2
	v_cndmask_b32_e64 v10, v12, v25, s5
	v_and_b32_e32 v12, 0x80000000, v4
	v_cndmask_b32_e32 v4, v37, v20, vcc_lo
	v_cndmask_b32_e64 v13, v13, v26, s5
	v_cndmask_b32_e64 v10, 0, v10, s6
	v_xor_b32_e32 v9, v9, v12
	v_xor_b32_e32 v15, v4, v8
	;; [unrolled: 1-line block ×3, first 2 shown]
	v_cndmask_b32_e64 v8, 0, v7, s4
	v_cndmask_b32_e64 v7, 0x7ff80000, v11, s2
	;; [unrolled: 1-line block ×6, first 2 shown]
	global_store_dwordx2 v0, v[8:9], s[8:9]
	global_store_dwordx2 v1, v[6:7], s[8:9]
	;; [unrolled: 1-line block ×4, first 2 shown]
	s_endpgm
.LBB5_89:
	v_mov_b32_e32 v0, 0
	v_mov_b32_e32 v2, 0
	s_branch .LBB5_95
.LBB5_90:
	v_mov_b32_e32 v0, 0
	v_mov_b32_e32 v2, 0
	s_branch .LBB5_115
.LBB5_91:
	v_mov_b32_e32 v0, 0
	v_mov_b32_e32 v2, 0
	;; [unrolled: 1-line block ×3, first 2 shown]
	s_mov_b32 s31, 0
.LBB5_92:
	s_and_b32 s33, s33, 3
	s_cmp_eq_u32 s33, 0
	s_cbranch_scc1 .LBB5_95
; %bb.93:
	s_lshl_b32 s0, s31, 3
	s_mul_i32 s20, s31, 12
	s_add_u32 s0, s2, s0
	s_addc_u32 s1, s3, 0
	s_add_u32 s0, s0, 0xc4
	s_addc_u32 s1, s1, 0
	;; [unrolled: 2-line block ×3, first 2 shown]
	.p2align	6
.LBB5_94:                               ; =>This Inner Loop Header: Depth=1
	s_clause 0x1
	s_load_dwordx2 s[34:35], s[20:21], 0x4
	s_load_dword s31, s[20:21], 0xc
	s_load_dwordx2 s[36:37], s[0:1], 0x0
	s_add_u32 s20, s20, 12
	s_addc_u32 s21, s21, 0
	s_add_u32 s0, s0, 8
	s_addc_u32 s1, s1, 0
	s_add_i32 s33, s33, -1
	s_cmp_lg_u32 s33, 0
	s_waitcnt lgkmcnt(0)
	v_mul_hi_u32 v3, s35, v1
	v_add_nc_u32_e32 v3, v1, v3
	v_lshrrev_b32_e32 v4, s31, v3
	v_mul_lo_u32 v3, v4, s34
	v_sub_nc_u32_e32 v3, v1, v3
	v_mad_u64_u32 v[0:1], null, v3, s36, v[0:1]
	v_mad_u64_u32 v[2:3], null, v3, s37, v[2:3]
	v_mov_b32_e32 v1, v4
	s_cbranch_scc1 .LBB5_94
.LBB5_95:
	s_cbranch_execnz .LBB5_98
.LBB5_96:
	s_waitcnt lgkmcnt(0)
	v_mul_hi_u32 v0, s13, v8
	s_andn2_b32 vcc_lo, exec_lo, s26
	v_add_nc_u32_e32 v0, v8, v0
	v_lshrrev_b32_e32 v1, s14, v0
	v_mul_lo_u32 v0, v1, s12
	v_sub_nc_u32_e32 v2, v8, v0
	v_mul_lo_u32 v0, v2, s8
	v_mul_lo_u32 v2, v2, s9
	s_cbranch_vccnz .LBB5_98
; %bb.97:
	v_mul_hi_u32 v3, s16, v1
	v_add_nc_u32_e32 v3, v1, v3
	v_lshrrev_b32_e32 v3, s17, v3
	v_mul_lo_u32 v3, v3, s15
	v_sub_nc_u32_e32 v3, v1, v3
	v_mad_u64_u32 v[0:1], null, v3, s10, v[0:1]
	v_mad_u64_u32 v[2:3], null, v3, s11, v[2:3]
.LBB5_98:
	s_waitcnt lgkmcnt(0)
	global_load_dwordx2 v[1:2], v2, s[6:7]
                                        ; implicit-def: $vgpr7
                                        ; implicit-def: $vgpr3_vgpr4
                                        ; implicit-def: $vgpr5_vgpr6
	s_waitcnt vmcnt(0)
	v_cmp_ngt_f64_e64 s0, 0x41d00000, |v[1:2]|
	s_and_saveexec_b32 s1, s0
	s_xor_b32 s0, exec_lo, s1
	s_cbranch_execz .LBB5_100
; %bb.99:
	v_ldexp_f64 v[3:4], |v[1:2]|, 0xffffff80
	v_cmp_le_f64_e64 vcc_lo, 0x7b000000, |v[1:2]|
	v_trig_preop_f64 v[5:6], |v[1:2]|, 0
	v_and_b32_e32 v7, 0x7fffffff, v2
	v_trig_preop_f64 v[9:10], |v[1:2]|, 1
	v_trig_preop_f64 v[19:20], |v[1:2]|, 2
	v_mov_b32_e32 v27, 0
	s_mov_b32 s20, 0x54442d18
	s_mov_b32 s21, 0x3ff921fb
	;; [unrolled: 1-line block ×4, first 2 shown]
	v_cndmask_b32_e32 v4, v7, v4, vcc_lo
	v_cndmask_b32_e32 v3, v1, v3, vcc_lo
	v_mul_f64 v[11:12], v[5:6], v[3:4]
	v_mul_f64 v[13:14], v[9:10], v[3:4]
	;; [unrolled: 1-line block ×3, first 2 shown]
	v_fma_f64 v[5:6], v[5:6], v[3:4], -v[11:12]
	v_fma_f64 v[9:10], v[9:10], v[3:4], -v[13:14]
	;; [unrolled: 1-line block ×3, first 2 shown]
	v_add_f64 v[15:16], v[13:14], v[5:6]
	v_add_f64 v[17:18], v[15:16], -v[13:14]
	v_add_f64 v[23:24], v[11:12], v[15:16]
	v_add_f64 v[21:22], v[15:16], -v[17:18]
	v_add_f64 v[5:6], v[5:6], -v[17:18]
	v_ldexp_f64 v[17:18], v[23:24], -2
	v_add_f64 v[11:12], v[23:24], -v[11:12]
	v_add_f64 v[13:14], v[13:14], -v[21:22]
	v_add_f64 v[21:22], v[25:26], v[9:10]
	v_cmp_neq_f64_e64 vcc_lo, 0x7ff00000, |v[17:18]|
	v_add_f64 v[11:12], v[15:16], -v[11:12]
	v_add_f64 v[5:6], v[5:6], v[13:14]
	v_fract_f64_e32 v[13:14], v[17:18]
	v_add_f64 v[15:16], v[21:22], v[5:6]
	v_ldexp_f64 v[13:14], v[13:14], 2
	v_add_f64 v[17:18], v[11:12], v[15:16]
	v_cndmask_b32_e32 v14, 0, v14, vcc_lo
	v_cndmask_b32_e32 v13, 0, v13, vcc_lo
	v_add_f64 v[23:24], v[17:18], v[13:14]
	v_add_f64 v[11:12], v[17:18], -v[11:12]
	v_cmp_gt_f64_e32 vcc_lo, 0, v[23:24]
	v_add_f64 v[23:24], v[21:22], -v[25:26]
	v_add_f64 v[11:12], v[15:16], -v[11:12]
	v_cndmask_b32_e64 v28, 0, 0x40100000, vcc_lo
	v_add_f64 v[32:33], v[21:22], -v[23:24]
	v_add_f64 v[9:10], v[9:10], -v[23:24]
	v_add_f64 v[13:14], v[13:14], v[27:28]
	v_add_f64 v[28:29], v[15:16], -v[21:22]
	v_add_f64 v[23:24], v[25:26], -v[32:33]
	v_add_f64 v[30:31], v[17:18], v[13:14]
	v_add_f64 v[34:35], v[15:16], -v[28:29]
	v_add_f64 v[5:6], v[5:6], -v[28:29]
	v_add_f64 v[9:10], v[9:10], v[23:24]
	v_cvt_i32_f64_e32 v7, v[30:31]
	v_add_f64 v[21:22], v[21:22], -v[34:35]
	v_cvt_f64_i32_e32 v[28:29], v7
	v_add_f64 v[5:6], v[5:6], v[21:22]
	v_add_f64 v[13:14], v[13:14], -v[28:29]
	v_add_f64 v[5:6], v[9:10], v[5:6]
	v_add_f64 v[9:10], v[17:18], v[13:14]
	;; [unrolled: 1-line block ×3, first 2 shown]
	v_add_f64 v[5:6], v[9:10], -v[13:14]
	v_cmp_le_f64_e32 vcc_lo, 0.5, v[9:10]
	v_add_f64 v[3:4], v[11:12], v[3:4]
	v_add_f64 v[5:6], v[17:18], -v[5:6]
	v_cndmask_b32_e64 v28, 0, 0x3ff00000, vcc_lo
	v_add_co_ci_u32_e64 v7, null, 0, v7, vcc_lo
	v_add_f64 v[3:4], v[3:4], v[5:6]
	v_add_f64 v[5:6], v[9:10], -v[27:28]
	v_add_f64 v[9:10], v[5:6], v[3:4]
	v_mul_f64 v[11:12], v[9:10], s[20:21]
	v_add_f64 v[5:6], v[9:10], -v[5:6]
	v_fma_f64 v[13:14], v[9:10], s[20:21], -v[11:12]
	v_add_f64 v[3:4], v[3:4], -v[5:6]
	v_fma_f64 v[5:6], v[9:10], s[34:35], v[13:14]
	v_fma_f64 v[5:6], v[3:4], s[20:21], v[5:6]
	v_add_f64 v[3:4], v[11:12], v[5:6]
	v_add_f64 v[9:10], v[3:4], -v[11:12]
	v_add_f64 v[5:6], v[5:6], -v[9:10]
.LBB5_100:
	s_andn2_saveexec_b32 s0, s0
	s_cbranch_execz .LBB5_102
; %bb.101:
	s_mov_b32 s20, 0x6dc9c883
	s_mov_b32 s21, 0x3fe45f30
	;; [unrolled: 1-line block ×3, first 2 shown]
	v_mul_f64 v[3:4], |v[1:2]|, s[20:21]
	s_mov_b32 s20, 0x54442d18
	s_mov_b32 s21, 0xbff921fb
	;; [unrolled: 1-line block ×3, first 2 shown]
	v_rndne_f64_e32 v[9:10], v[3:4]
	v_fma_f64 v[3:4], v[9:10], s[20:21], |v[1:2]|
	v_mul_f64 v[5:6], v[9:10], s[34:35]
	s_mov_b32 s20, 0x252049c0
	s_mov_b32 s21, 0xb97b839a
	v_cvt_i32_f64_e32 v7, v[9:10]
	v_fma_f64 v[13:14], v[9:10], s[34:35], v[3:4]
	v_add_f64 v[11:12], v[3:4], v[5:6]
	s_mov_b32 s35, 0x3c91a626
	v_add_f64 v[3:4], v[3:4], -v[11:12]
	v_add_f64 v[11:12], v[11:12], -v[13:14]
	v_add_f64 v[3:4], v[3:4], v[5:6]
	v_fma_f64 v[5:6], v[9:10], s[34:35], v[5:6]
	v_add_f64 v[3:4], v[11:12], v[3:4]
	v_add_f64 v[3:4], v[3:4], -v[5:6]
	v_fma_f64 v[5:6], v[9:10], s[20:21], v[3:4]
	v_add_f64 v[3:4], v[13:14], v[5:6]
	v_add_f64 v[11:12], v[3:4], -v[13:14]
	v_add_f64 v[5:6], v[5:6], -v[11:12]
.LBB5_102:
	s_or_b32 exec_lo, exec_lo, s0
	v_mul_f64 v[9:10], v[3:4], v[3:4]
	s_mov_b32 s0, 0xb42fdfa7
	s_mov_b32 s20, 0xf9a43bb8
	;; [unrolled: 1-line block ×6, first 2 shown]
	v_mul_f64 v[19:20], v[5:6], 0.5
	v_add_nc_u32_e32 v8, 0x80, v8
	v_fma_f64 v[11:12], v[9:10], s[20:21], s[0:1]
	s_mov_b32 s0, 0x9037ab78
	s_mov_b32 s20, 0x46cc5e42
	;; [unrolled: 1-line block ×4, first 2 shown]
	v_mul_f64 v[15:16], v[9:10], 0.5
	v_fma_f64 v[13:14], v[9:10], s[20:21], s[0:1]
	s_mov_b32 s0, 0xa17f65f6
	s_mov_b32 s20, 0x19e83e5c
	;; [unrolled: 1-line block ×4, first 2 shown]
	v_mul_f64 v[21:22], v[3:4], -v[9:10]
	v_fma_f64 v[11:12], v[9:10], v[11:12], s[34:35]
	v_add_f64 v[17:18], -v[15:16], 1.0
	v_fma_f64 v[13:14], v[9:10], v[13:14], s[0:1]
	s_mov_b32 s0, 0x19f4ec90
	s_mov_b32 s1, 0x3efa01a0
	v_fma_f64 v[11:12], v[9:10], v[11:12], s[20:21]
	s_mov_b32 s20, 0x11110bb3
	s_mov_b32 s21, 0x3f811111
	v_add_f64 v[23:24], -v[17:18], 1.0
	v_fma_f64 v[13:14], v[9:10], v[13:14], s[0:1]
	s_mov_b32 s0, 0x16c16967
	s_mov_b32 s1, 0xbf56c16c
	v_fma_f64 v[11:12], v[9:10], v[11:12], s[20:21]
	v_add_f64 v[15:16], v[23:24], -v[15:16]
	v_fma_f64 v[13:14], v[9:10], v[13:14], s[0:1]
	s_mov_b32 s1, 0x3fa55555
	s_mov_b32 s0, 0x55555555
	v_fma_f64 v[11:12], v[21:22], v[11:12], v[19:20]
	v_mul_f64 v[19:20], v[9:10], v[9:10]
	v_fma_f64 v[15:16], v[3:4], -v[5:6], v[15:16]
	v_fma_f64 v[13:14], v[9:10], v[13:14], s[0:1]
	s_mov_b32 s1, 0xbfc55555
	v_fma_f64 v[5:6], v[9:10], v[11:12], -v[5:6]
	v_fma_f64 v[9:10], v[19:20], v[13:14], v[15:16]
	v_fma_f64 v[5:6], v[21:22], s[0:1], v[5:6]
	v_cmp_class_f64_e64 s0, v[1:2], 0x1f8
	v_lshlrev_b32_e32 v1, 30, v7
	v_add_f64 v[9:10], v[17:18], v[9:10]
	v_xor_b32_e32 v1, v1, v2
	v_and_b32_e32 v1, 0x80000000, v1
	v_add_f64 v[3:4], v[3:4], -v[5:6]
	v_and_b32_e32 v5, 1, v7
	v_cmp_eq_u32_e32 vcc_lo, 0, v5
	v_cndmask_b32_e32 v2, v10, v4, vcc_lo
	v_cndmask_b32_e32 v3, v9, v3, vcc_lo
	v_xor_b32_e32 v2, v2, v1
	v_cndmask_b32_e64 v1, 0, v3, s0
	v_cndmask_b32_e64 v2, 0x7ff80000, v2, s0
	global_store_dwordx2 v0, v[1:2], s[4:5]
	s_or_b32 exec_lo, exec_lo, s30
	s_mov_b32 s30, exec_lo
	v_cmpx_gt_i32_e64 s27, v8
	s_cbranch_execnz .LBB5_15
.LBB5_103:
	s_or_b32 exec_lo, exec_lo, s30
	s_mov_b32 s30, exec_lo
	v_cmpx_gt_i32_e64 s27, v8
	s_cbranch_execz .LBB5_123
.LBB5_104:
	s_andn2_b32 vcc_lo, exec_lo, s24
	s_cbranch_vccnz .LBB5_109
; %bb.105:
	s_andn2_b32 vcc_lo, exec_lo, s29
	s_cbranch_vccnz .LBB5_110
; %bb.106:
	s_add_i32 s33, s28, 1
	s_cmp_eq_u32 s23, 2
	s_cbranch_scc1 .LBB5_126
; %bb.107:
	v_mov_b32_e32 v2, 0
	v_mov_b32_e32 v0, 0
	;; [unrolled: 1-line block ×3, first 2 shown]
	s_and_b32 s31, s33, 28
	s_mov_b32 s34, 0
	s_mov_b64 s[0:1], s[2:3]
	s_mov_b64 s[20:21], s[18:19]
.LBB5_108:                              ; =>This Inner Loop Header: Depth=1
	s_clause 0x1
	s_load_dwordx8 s[36:43], s[0:1], 0x4
	s_load_dwordx4 s[52:55], s[0:1], 0x24
	s_load_dwordx8 s[44:51], s[20:21], 0x0
	s_add_u32 s0, s0, 48
	s_addc_u32 s1, s1, 0
	s_add_i32 s34, s34, 4
	s_add_u32 s20, s20, 32
	s_addc_u32 s21, s21, 0
	s_cmp_eq_u32 s31, s34
	s_waitcnt lgkmcnt(0)
	v_mul_hi_u32 v3, s37, v1
	v_add_nc_u32_e32 v3, v1, v3
	v_lshrrev_b32_e32 v3, s38, v3
	v_mul_hi_u32 v4, s40, v3
	v_mul_lo_u32 v6, v3, s36
	v_add_nc_u32_e32 v4, v3, v4
	v_sub_nc_u32_e32 v1, v1, v6
	v_lshrrev_b32_e32 v4, s41, v4
	v_mul_lo_u32 v6, v1, s44
	v_mul_lo_u32 v9, v1, s45
	v_mul_hi_u32 v5, s43, v4
	v_add_nc_u32_e32 v5, v4, v5
	v_lshrrev_b32_e32 v5, s52, v5
	v_mul_hi_u32 v7, s54, v5
	v_mul_lo_u32 v10, v5, s42
	v_add_nc_u32_e32 v1, v5, v7
	v_mul_lo_u32 v7, v4, s39
	v_sub_nc_u32_e32 v4, v4, v10
	v_lshrrev_b32_e32 v1, s55, v1
	v_mul_lo_u32 v10, v4, s48
	v_mul_lo_u32 v4, v4, s49
	v_sub_nc_u32_e32 v3, v3, v7
	v_mul_lo_u32 v11, v1, s53
	v_mul_lo_u32 v7, v3, s46
	;; [unrolled: 1-line block ×3, first 2 shown]
	v_sub_nc_u32_e32 v5, v5, v11
	v_add3_u32 v0, v6, v0, v7
	v_mul_lo_u32 v11, v5, s50
	v_mul_lo_u32 v5, v5, s51
	v_add3_u32 v2, v9, v2, v3
	v_add3_u32 v0, v10, v0, v11
	;; [unrolled: 1-line block ×3, first 2 shown]
	s_cbranch_scc0 .LBB5_108
	s_branch .LBB5_127
.LBB5_109:
                                        ; implicit-def: $vgpr0
                                        ; implicit-def: $vgpr2
	s_branch .LBB5_131
.LBB5_110:
	v_mov_b32_e32 v0, 0
	v_mov_b32_e32 v2, 0
	s_branch .LBB5_130
.LBB5_111:
	v_mov_b32_e32 v0, 0
	v_mov_b32_e32 v2, 0
	v_mov_b32_e32 v1, v8
	s_mov_b32 s31, 0
.LBB5_112:
	s_and_b32 s33, s33, 3
	s_cmp_eq_u32 s33, 0
	s_cbranch_scc1 .LBB5_115
; %bb.113:
	s_lshl_b32 s0, s31, 3
	s_mul_i32 s20, s31, 12
	s_add_u32 s0, s2, s0
	s_addc_u32 s1, s3, 0
	s_add_u32 s0, s0, 0xc4
	s_addc_u32 s1, s1, 0
	;; [unrolled: 2-line block ×3, first 2 shown]
	.p2align	6
.LBB5_114:                              ; =>This Inner Loop Header: Depth=1
	s_clause 0x1
	s_load_dwordx2 s[34:35], s[20:21], 0x4
	s_load_dword s31, s[20:21], 0xc
	s_load_dwordx2 s[36:37], s[0:1], 0x0
	s_add_u32 s20, s20, 12
	s_addc_u32 s21, s21, 0
	s_add_u32 s0, s0, 8
	s_addc_u32 s1, s1, 0
	s_add_i32 s33, s33, -1
	s_cmp_lg_u32 s33, 0
	s_waitcnt lgkmcnt(0)
	v_mul_hi_u32 v3, s35, v1
	v_add_nc_u32_e32 v3, v1, v3
	v_lshrrev_b32_e32 v4, s31, v3
	v_mul_lo_u32 v3, v4, s34
	v_sub_nc_u32_e32 v3, v1, v3
	v_mad_u64_u32 v[0:1], null, v3, s36, v[0:1]
	v_mad_u64_u32 v[2:3], null, v3, s37, v[2:3]
	v_mov_b32_e32 v1, v4
	s_cbranch_scc1 .LBB5_114
.LBB5_115:
	s_cbranch_execnz .LBB5_118
.LBB5_116:
	s_waitcnt lgkmcnt(0)
	v_mul_hi_u32 v0, s13, v8
	s_andn2_b32 vcc_lo, exec_lo, s26
	v_add_nc_u32_e32 v0, v8, v0
	v_lshrrev_b32_e32 v1, s14, v0
	v_mul_lo_u32 v0, v1, s12
	v_sub_nc_u32_e32 v2, v8, v0
	v_mul_lo_u32 v0, v2, s8
	v_mul_lo_u32 v2, v2, s9
	s_cbranch_vccnz .LBB5_118
; %bb.117:
	v_mul_hi_u32 v3, s16, v1
	v_add_nc_u32_e32 v3, v1, v3
	v_lshrrev_b32_e32 v3, s17, v3
	v_mul_lo_u32 v3, v3, s15
	v_sub_nc_u32_e32 v3, v1, v3
	v_mad_u64_u32 v[0:1], null, v3, s10, v[0:1]
	v_mad_u64_u32 v[2:3], null, v3, s11, v[2:3]
.LBB5_118:
	s_waitcnt lgkmcnt(0)
	global_load_dwordx2 v[1:2], v2, s[6:7]
                                        ; implicit-def: $vgpr7
                                        ; implicit-def: $vgpr3_vgpr4
                                        ; implicit-def: $vgpr5_vgpr6
	s_waitcnt vmcnt(0)
	v_cmp_ngt_f64_e64 s0, 0x41d00000, |v[1:2]|
	s_and_saveexec_b32 s1, s0
	s_xor_b32 s0, exec_lo, s1
	s_cbranch_execz .LBB5_120
; %bb.119:
	v_ldexp_f64 v[3:4], |v[1:2]|, 0xffffff80
	v_cmp_le_f64_e64 vcc_lo, 0x7b000000, |v[1:2]|
	v_trig_preop_f64 v[5:6], |v[1:2]|, 0
	v_and_b32_e32 v7, 0x7fffffff, v2
	v_trig_preop_f64 v[9:10], |v[1:2]|, 1
	v_trig_preop_f64 v[19:20], |v[1:2]|, 2
	v_mov_b32_e32 v27, 0
	s_mov_b32 s20, 0x54442d18
	s_mov_b32 s21, 0x3ff921fb
	;; [unrolled: 1-line block ×4, first 2 shown]
	v_cndmask_b32_e32 v4, v7, v4, vcc_lo
	v_cndmask_b32_e32 v3, v1, v3, vcc_lo
	v_mul_f64 v[11:12], v[5:6], v[3:4]
	v_mul_f64 v[13:14], v[9:10], v[3:4]
	;; [unrolled: 1-line block ×3, first 2 shown]
	v_fma_f64 v[5:6], v[5:6], v[3:4], -v[11:12]
	v_fma_f64 v[9:10], v[9:10], v[3:4], -v[13:14]
	;; [unrolled: 1-line block ×3, first 2 shown]
	v_add_f64 v[15:16], v[13:14], v[5:6]
	v_add_f64 v[17:18], v[15:16], -v[13:14]
	v_add_f64 v[23:24], v[11:12], v[15:16]
	v_add_f64 v[21:22], v[15:16], -v[17:18]
	v_add_f64 v[5:6], v[5:6], -v[17:18]
	v_ldexp_f64 v[17:18], v[23:24], -2
	v_add_f64 v[11:12], v[23:24], -v[11:12]
	v_add_f64 v[13:14], v[13:14], -v[21:22]
	v_add_f64 v[21:22], v[25:26], v[9:10]
	v_cmp_neq_f64_e64 vcc_lo, 0x7ff00000, |v[17:18]|
	v_add_f64 v[11:12], v[15:16], -v[11:12]
	v_add_f64 v[5:6], v[5:6], v[13:14]
	v_fract_f64_e32 v[13:14], v[17:18]
	v_add_f64 v[15:16], v[21:22], v[5:6]
	v_ldexp_f64 v[13:14], v[13:14], 2
	v_add_f64 v[17:18], v[11:12], v[15:16]
	v_cndmask_b32_e32 v14, 0, v14, vcc_lo
	v_cndmask_b32_e32 v13, 0, v13, vcc_lo
	v_add_f64 v[23:24], v[17:18], v[13:14]
	v_add_f64 v[11:12], v[17:18], -v[11:12]
	v_cmp_gt_f64_e32 vcc_lo, 0, v[23:24]
	v_add_f64 v[23:24], v[21:22], -v[25:26]
	v_add_f64 v[11:12], v[15:16], -v[11:12]
	v_cndmask_b32_e64 v28, 0, 0x40100000, vcc_lo
	v_add_f64 v[32:33], v[21:22], -v[23:24]
	v_add_f64 v[9:10], v[9:10], -v[23:24]
	v_add_f64 v[13:14], v[13:14], v[27:28]
	v_add_f64 v[28:29], v[15:16], -v[21:22]
	v_add_f64 v[23:24], v[25:26], -v[32:33]
	v_add_f64 v[30:31], v[17:18], v[13:14]
	;; [unrolled: 3-line block ×3, first 2 shown]
	v_cvt_i32_f64_e32 v7, v[30:31]
	v_add_f64 v[21:22], v[21:22], -v[34:35]
	v_cvt_f64_i32_e32 v[28:29], v7
	v_add_f64 v[5:6], v[5:6], v[21:22]
	v_add_f64 v[13:14], v[13:14], -v[28:29]
	v_add_f64 v[5:6], v[9:10], v[5:6]
	v_add_f64 v[9:10], v[17:18], v[13:14]
	;; [unrolled: 1-line block ×3, first 2 shown]
	v_add_f64 v[5:6], v[9:10], -v[13:14]
	v_cmp_le_f64_e32 vcc_lo, 0.5, v[9:10]
	v_add_f64 v[3:4], v[11:12], v[3:4]
	v_add_f64 v[5:6], v[17:18], -v[5:6]
	v_cndmask_b32_e64 v28, 0, 0x3ff00000, vcc_lo
	v_add_co_ci_u32_e64 v7, null, 0, v7, vcc_lo
	v_add_f64 v[3:4], v[3:4], v[5:6]
	v_add_f64 v[5:6], v[9:10], -v[27:28]
	v_add_f64 v[9:10], v[5:6], v[3:4]
	v_mul_f64 v[11:12], v[9:10], s[20:21]
	v_add_f64 v[5:6], v[9:10], -v[5:6]
	v_fma_f64 v[13:14], v[9:10], s[20:21], -v[11:12]
	v_add_f64 v[3:4], v[3:4], -v[5:6]
	v_fma_f64 v[5:6], v[9:10], s[34:35], v[13:14]
	v_fma_f64 v[5:6], v[3:4], s[20:21], v[5:6]
	v_add_f64 v[3:4], v[11:12], v[5:6]
	v_add_f64 v[9:10], v[3:4], -v[11:12]
	v_add_f64 v[5:6], v[5:6], -v[9:10]
.LBB5_120:
	s_andn2_saveexec_b32 s0, s0
	s_cbranch_execz .LBB5_122
; %bb.121:
	s_mov_b32 s20, 0x6dc9c883
	s_mov_b32 s21, 0x3fe45f30
	;; [unrolled: 1-line block ×3, first 2 shown]
	v_mul_f64 v[3:4], |v[1:2]|, s[20:21]
	s_mov_b32 s20, 0x54442d18
	s_mov_b32 s21, 0xbff921fb
	;; [unrolled: 1-line block ×3, first 2 shown]
	v_rndne_f64_e32 v[9:10], v[3:4]
	v_fma_f64 v[3:4], v[9:10], s[20:21], |v[1:2]|
	v_mul_f64 v[5:6], v[9:10], s[34:35]
	s_mov_b32 s20, 0x252049c0
	s_mov_b32 s21, 0xb97b839a
	v_cvt_i32_f64_e32 v7, v[9:10]
	v_fma_f64 v[13:14], v[9:10], s[34:35], v[3:4]
	v_add_f64 v[11:12], v[3:4], v[5:6]
	s_mov_b32 s35, 0x3c91a626
	v_add_f64 v[3:4], v[3:4], -v[11:12]
	v_add_f64 v[11:12], v[11:12], -v[13:14]
	v_add_f64 v[3:4], v[3:4], v[5:6]
	v_fma_f64 v[5:6], v[9:10], s[34:35], v[5:6]
	v_add_f64 v[3:4], v[11:12], v[3:4]
	v_add_f64 v[3:4], v[3:4], -v[5:6]
	v_fma_f64 v[5:6], v[9:10], s[20:21], v[3:4]
	v_add_f64 v[3:4], v[13:14], v[5:6]
	v_add_f64 v[11:12], v[3:4], -v[13:14]
	v_add_f64 v[5:6], v[5:6], -v[11:12]
.LBB5_122:
	s_or_b32 exec_lo, exec_lo, s0
	v_mul_f64 v[9:10], v[3:4], v[3:4]
	s_mov_b32 s0, 0xb42fdfa7
	s_mov_b32 s20, 0xf9a43bb8
	;; [unrolled: 1-line block ×6, first 2 shown]
	v_mul_f64 v[19:20], v[5:6], 0.5
	v_add_nc_u32_e32 v8, 0x80, v8
	v_fma_f64 v[11:12], v[9:10], s[20:21], s[0:1]
	s_mov_b32 s0, 0x9037ab78
	s_mov_b32 s20, 0x46cc5e42
	;; [unrolled: 1-line block ×4, first 2 shown]
	v_mul_f64 v[15:16], v[9:10], 0.5
	v_fma_f64 v[13:14], v[9:10], s[20:21], s[0:1]
	s_mov_b32 s0, 0xa17f65f6
	s_mov_b32 s20, 0x19e83e5c
	;; [unrolled: 1-line block ×4, first 2 shown]
	v_mul_f64 v[21:22], v[3:4], -v[9:10]
	v_fma_f64 v[11:12], v[9:10], v[11:12], s[34:35]
	v_add_f64 v[17:18], -v[15:16], 1.0
	v_fma_f64 v[13:14], v[9:10], v[13:14], s[0:1]
	s_mov_b32 s0, 0x19f4ec90
	s_mov_b32 s1, 0x3efa01a0
	v_fma_f64 v[11:12], v[9:10], v[11:12], s[20:21]
	s_mov_b32 s20, 0x11110bb3
	s_mov_b32 s21, 0x3f811111
	v_add_f64 v[23:24], -v[17:18], 1.0
	v_fma_f64 v[13:14], v[9:10], v[13:14], s[0:1]
	s_mov_b32 s0, 0x16c16967
	s_mov_b32 s1, 0xbf56c16c
	v_fma_f64 v[11:12], v[9:10], v[11:12], s[20:21]
	v_add_f64 v[15:16], v[23:24], -v[15:16]
	v_fma_f64 v[13:14], v[9:10], v[13:14], s[0:1]
	s_mov_b32 s1, 0x3fa55555
	s_mov_b32 s0, 0x55555555
	v_fma_f64 v[11:12], v[21:22], v[11:12], v[19:20]
	v_mul_f64 v[19:20], v[9:10], v[9:10]
	v_fma_f64 v[15:16], v[3:4], -v[5:6], v[15:16]
	v_fma_f64 v[13:14], v[9:10], v[13:14], s[0:1]
	s_mov_b32 s1, 0xbfc55555
	v_fma_f64 v[5:6], v[9:10], v[11:12], -v[5:6]
	v_fma_f64 v[9:10], v[19:20], v[13:14], v[15:16]
	v_fma_f64 v[5:6], v[21:22], s[0:1], v[5:6]
	v_cmp_class_f64_e64 s0, v[1:2], 0x1f8
	v_lshlrev_b32_e32 v1, 30, v7
	v_add_f64 v[9:10], v[17:18], v[9:10]
	v_xor_b32_e32 v1, v1, v2
	v_and_b32_e32 v1, 0x80000000, v1
	v_add_f64 v[3:4], v[3:4], -v[5:6]
	v_and_b32_e32 v5, 1, v7
	v_cmp_eq_u32_e32 vcc_lo, 0, v5
	v_cndmask_b32_e32 v2, v10, v4, vcc_lo
	v_cndmask_b32_e32 v3, v9, v3, vcc_lo
	v_xor_b32_e32 v2, v2, v1
	v_cndmask_b32_e64 v1, 0, v3, s0
	v_cndmask_b32_e64 v2, 0x7ff80000, v2, s0
	global_store_dwordx2 v0, v[1:2], s[4:5]
	s_or_b32 exec_lo, exec_lo, s30
	s_mov_b32 s30, exec_lo
	v_cmpx_gt_i32_e64 s27, v8
	s_cbranch_execnz .LBB5_104
.LBB5_123:
	s_or_b32 exec_lo, exec_lo, s30
	s_mov_b32 s20, exec_lo
	v_cmpx_gt_i32_e64 s27, v8
	s_cbranch_execnz .LBB5_138
.LBB5_124:
	s_or_b32 exec_lo, exec_lo, s20
                                        ; implicit-def: $vgpr9
                                        ; implicit-def: $vgpr8
	s_andn2_saveexec_b32 s0, s25
	s_cbranch_execnz .LBB5_8
.LBB5_125:
	s_endpgm
.LBB5_126:
	v_mov_b32_e32 v0, 0
	v_mov_b32_e32 v2, 0
	;; [unrolled: 1-line block ×3, first 2 shown]
	s_mov_b32 s31, 0
.LBB5_127:
	s_and_b32 s33, s33, 3
	s_cmp_eq_u32 s33, 0
	s_cbranch_scc1 .LBB5_130
; %bb.128:
	s_lshl_b32 s0, s31, 3
	s_mul_i32 s20, s31, 12
	s_add_u32 s0, s2, s0
	s_addc_u32 s1, s3, 0
	s_add_u32 s0, s0, 0xc4
	s_addc_u32 s1, s1, 0
	;; [unrolled: 2-line block ×3, first 2 shown]
	.p2align	6
.LBB5_129:                              ; =>This Inner Loop Header: Depth=1
	s_clause 0x1
	s_load_dwordx2 s[34:35], s[20:21], 0x4
	s_load_dword s31, s[20:21], 0xc
	s_load_dwordx2 s[36:37], s[0:1], 0x0
	s_add_u32 s20, s20, 12
	s_addc_u32 s21, s21, 0
	s_add_u32 s0, s0, 8
	s_addc_u32 s1, s1, 0
	s_add_i32 s33, s33, -1
	s_cmp_lg_u32 s33, 0
	s_waitcnt lgkmcnt(0)
	v_mul_hi_u32 v3, s35, v1
	v_add_nc_u32_e32 v3, v1, v3
	v_lshrrev_b32_e32 v4, s31, v3
	v_mul_lo_u32 v3, v4, s34
	v_sub_nc_u32_e32 v3, v1, v3
	v_mad_u64_u32 v[0:1], null, v3, s36, v[0:1]
	v_mad_u64_u32 v[2:3], null, v3, s37, v[2:3]
	v_mov_b32_e32 v1, v4
	s_cbranch_scc1 .LBB5_129
.LBB5_130:
	s_cbranch_execnz .LBB5_133
.LBB5_131:
	s_waitcnt lgkmcnt(0)
	v_mul_hi_u32 v0, s13, v8
	s_andn2_b32 vcc_lo, exec_lo, s26
	v_add_nc_u32_e32 v0, v8, v0
	v_lshrrev_b32_e32 v1, s14, v0
	v_mul_lo_u32 v0, v1, s12
	v_sub_nc_u32_e32 v2, v8, v0
	v_mul_lo_u32 v0, v2, s8
	v_mul_lo_u32 v2, v2, s9
	s_cbranch_vccnz .LBB5_133
; %bb.132:
	v_mul_hi_u32 v3, s16, v1
	v_add_nc_u32_e32 v3, v1, v3
	v_lshrrev_b32_e32 v3, s17, v3
	v_mul_lo_u32 v3, v3, s15
	v_sub_nc_u32_e32 v3, v1, v3
	v_mad_u64_u32 v[0:1], null, v3, s10, v[0:1]
	v_mad_u64_u32 v[2:3], null, v3, s11, v[2:3]
.LBB5_133:
	s_waitcnt lgkmcnt(0)
	global_load_dwordx2 v[1:2], v2, s[6:7]
                                        ; implicit-def: $vgpr7
                                        ; implicit-def: $vgpr3_vgpr4
                                        ; implicit-def: $vgpr5_vgpr6
	s_waitcnt vmcnt(0)
	v_cmp_ngt_f64_e64 s0, 0x41d00000, |v[1:2]|
	s_and_saveexec_b32 s1, s0
	s_xor_b32 s0, exec_lo, s1
	s_cbranch_execz .LBB5_135
; %bb.134:
	v_ldexp_f64 v[3:4], |v[1:2]|, 0xffffff80
	v_cmp_le_f64_e64 vcc_lo, 0x7b000000, |v[1:2]|
	v_trig_preop_f64 v[5:6], |v[1:2]|, 0
	v_and_b32_e32 v7, 0x7fffffff, v2
	v_trig_preop_f64 v[9:10], |v[1:2]|, 1
	v_trig_preop_f64 v[19:20], |v[1:2]|, 2
	v_mov_b32_e32 v27, 0
	s_mov_b32 s20, 0x54442d18
	s_mov_b32 s21, 0x3ff921fb
	;; [unrolled: 1-line block ×4, first 2 shown]
	v_cndmask_b32_e32 v4, v7, v4, vcc_lo
	v_cndmask_b32_e32 v3, v1, v3, vcc_lo
	v_mul_f64 v[11:12], v[5:6], v[3:4]
	v_mul_f64 v[13:14], v[9:10], v[3:4]
	;; [unrolled: 1-line block ×3, first 2 shown]
	v_fma_f64 v[5:6], v[5:6], v[3:4], -v[11:12]
	v_fma_f64 v[9:10], v[9:10], v[3:4], -v[13:14]
	v_fma_f64 v[3:4], v[19:20], v[3:4], -v[25:26]
	v_add_f64 v[15:16], v[13:14], v[5:6]
	v_add_f64 v[17:18], v[15:16], -v[13:14]
	v_add_f64 v[23:24], v[11:12], v[15:16]
	v_add_f64 v[21:22], v[15:16], -v[17:18]
	v_add_f64 v[5:6], v[5:6], -v[17:18]
	v_ldexp_f64 v[17:18], v[23:24], -2
	v_add_f64 v[11:12], v[23:24], -v[11:12]
	v_add_f64 v[13:14], v[13:14], -v[21:22]
	v_add_f64 v[21:22], v[25:26], v[9:10]
	v_cmp_neq_f64_e64 vcc_lo, 0x7ff00000, |v[17:18]|
	v_add_f64 v[11:12], v[15:16], -v[11:12]
	v_add_f64 v[5:6], v[5:6], v[13:14]
	v_fract_f64_e32 v[13:14], v[17:18]
	v_add_f64 v[15:16], v[21:22], v[5:6]
	v_ldexp_f64 v[13:14], v[13:14], 2
	v_add_f64 v[17:18], v[11:12], v[15:16]
	v_cndmask_b32_e32 v14, 0, v14, vcc_lo
	v_cndmask_b32_e32 v13, 0, v13, vcc_lo
	v_add_f64 v[23:24], v[17:18], v[13:14]
	v_add_f64 v[11:12], v[17:18], -v[11:12]
	v_cmp_gt_f64_e32 vcc_lo, 0, v[23:24]
	v_add_f64 v[23:24], v[21:22], -v[25:26]
	v_add_f64 v[11:12], v[15:16], -v[11:12]
	v_cndmask_b32_e64 v28, 0, 0x40100000, vcc_lo
	v_add_f64 v[32:33], v[21:22], -v[23:24]
	v_add_f64 v[9:10], v[9:10], -v[23:24]
	v_add_f64 v[13:14], v[13:14], v[27:28]
	v_add_f64 v[28:29], v[15:16], -v[21:22]
	v_add_f64 v[23:24], v[25:26], -v[32:33]
	v_add_f64 v[30:31], v[17:18], v[13:14]
	;; [unrolled: 3-line block ×3, first 2 shown]
	v_cvt_i32_f64_e32 v7, v[30:31]
	v_add_f64 v[21:22], v[21:22], -v[34:35]
	v_cvt_f64_i32_e32 v[28:29], v7
	v_add_f64 v[5:6], v[5:6], v[21:22]
	v_add_f64 v[13:14], v[13:14], -v[28:29]
	v_add_f64 v[5:6], v[9:10], v[5:6]
	v_add_f64 v[9:10], v[17:18], v[13:14]
	;; [unrolled: 1-line block ×3, first 2 shown]
	v_add_f64 v[5:6], v[9:10], -v[13:14]
	v_cmp_le_f64_e32 vcc_lo, 0.5, v[9:10]
	v_add_f64 v[3:4], v[11:12], v[3:4]
	v_add_f64 v[5:6], v[17:18], -v[5:6]
	v_cndmask_b32_e64 v28, 0, 0x3ff00000, vcc_lo
	v_add_co_ci_u32_e64 v7, null, 0, v7, vcc_lo
	v_add_f64 v[3:4], v[3:4], v[5:6]
	v_add_f64 v[5:6], v[9:10], -v[27:28]
	v_add_f64 v[9:10], v[5:6], v[3:4]
	v_mul_f64 v[11:12], v[9:10], s[20:21]
	v_add_f64 v[5:6], v[9:10], -v[5:6]
	v_fma_f64 v[13:14], v[9:10], s[20:21], -v[11:12]
	v_add_f64 v[3:4], v[3:4], -v[5:6]
	v_fma_f64 v[5:6], v[9:10], s[34:35], v[13:14]
	v_fma_f64 v[5:6], v[3:4], s[20:21], v[5:6]
	v_add_f64 v[3:4], v[11:12], v[5:6]
	v_add_f64 v[9:10], v[3:4], -v[11:12]
	v_add_f64 v[5:6], v[5:6], -v[9:10]
.LBB5_135:
	s_andn2_saveexec_b32 s0, s0
	s_cbranch_execz .LBB5_137
; %bb.136:
	s_mov_b32 s20, 0x6dc9c883
	s_mov_b32 s21, 0x3fe45f30
	;; [unrolled: 1-line block ×3, first 2 shown]
	v_mul_f64 v[3:4], |v[1:2]|, s[20:21]
	s_mov_b32 s20, 0x54442d18
	s_mov_b32 s21, 0xbff921fb
	s_mov_b32 s34, 0x33145c00
	v_rndne_f64_e32 v[9:10], v[3:4]
	v_fma_f64 v[3:4], v[9:10], s[20:21], |v[1:2]|
	v_mul_f64 v[5:6], v[9:10], s[34:35]
	s_mov_b32 s20, 0x252049c0
	s_mov_b32 s21, 0xb97b839a
	v_cvt_i32_f64_e32 v7, v[9:10]
	v_fma_f64 v[13:14], v[9:10], s[34:35], v[3:4]
	v_add_f64 v[11:12], v[3:4], v[5:6]
	s_mov_b32 s35, 0x3c91a626
	v_add_f64 v[3:4], v[3:4], -v[11:12]
	v_add_f64 v[11:12], v[11:12], -v[13:14]
	v_add_f64 v[3:4], v[3:4], v[5:6]
	v_fma_f64 v[5:6], v[9:10], s[34:35], v[5:6]
	v_add_f64 v[3:4], v[11:12], v[3:4]
	v_add_f64 v[3:4], v[3:4], -v[5:6]
	v_fma_f64 v[5:6], v[9:10], s[20:21], v[3:4]
	v_add_f64 v[3:4], v[13:14], v[5:6]
	v_add_f64 v[11:12], v[3:4], -v[13:14]
	v_add_f64 v[5:6], v[5:6], -v[11:12]
.LBB5_137:
	s_or_b32 exec_lo, exec_lo, s0
	v_mul_f64 v[9:10], v[3:4], v[3:4]
	s_mov_b32 s0, 0xb42fdfa7
	s_mov_b32 s20, 0xf9a43bb8
	;; [unrolled: 1-line block ×6, first 2 shown]
	v_mul_f64 v[19:20], v[5:6], 0.5
	v_add_nc_u32_e32 v8, 0x80, v8
	v_fma_f64 v[11:12], v[9:10], s[20:21], s[0:1]
	s_mov_b32 s0, 0x9037ab78
	s_mov_b32 s20, 0x46cc5e42
	;; [unrolled: 1-line block ×4, first 2 shown]
	v_mul_f64 v[15:16], v[9:10], 0.5
	v_fma_f64 v[13:14], v[9:10], s[20:21], s[0:1]
	s_mov_b32 s0, 0xa17f65f6
	s_mov_b32 s20, 0x19e83e5c
	;; [unrolled: 1-line block ×4, first 2 shown]
	v_mul_f64 v[21:22], v[3:4], -v[9:10]
	v_fma_f64 v[11:12], v[9:10], v[11:12], s[34:35]
	v_add_f64 v[17:18], -v[15:16], 1.0
	v_fma_f64 v[13:14], v[9:10], v[13:14], s[0:1]
	s_mov_b32 s0, 0x19f4ec90
	s_mov_b32 s1, 0x3efa01a0
	v_fma_f64 v[11:12], v[9:10], v[11:12], s[20:21]
	s_mov_b32 s20, 0x11110bb3
	s_mov_b32 s21, 0x3f811111
	v_add_f64 v[23:24], -v[17:18], 1.0
	v_fma_f64 v[13:14], v[9:10], v[13:14], s[0:1]
	s_mov_b32 s0, 0x16c16967
	s_mov_b32 s1, 0xbf56c16c
	v_fma_f64 v[11:12], v[9:10], v[11:12], s[20:21]
	v_add_f64 v[15:16], v[23:24], -v[15:16]
	v_fma_f64 v[13:14], v[9:10], v[13:14], s[0:1]
	s_mov_b32 s1, 0x3fa55555
	s_mov_b32 s0, 0x55555555
	v_fma_f64 v[11:12], v[21:22], v[11:12], v[19:20]
	v_mul_f64 v[19:20], v[9:10], v[9:10]
	v_fma_f64 v[15:16], v[3:4], -v[5:6], v[15:16]
	v_fma_f64 v[13:14], v[9:10], v[13:14], s[0:1]
	s_mov_b32 s1, 0xbfc55555
	v_fma_f64 v[5:6], v[9:10], v[11:12], -v[5:6]
	v_fma_f64 v[9:10], v[19:20], v[13:14], v[15:16]
	v_fma_f64 v[5:6], v[21:22], s[0:1], v[5:6]
	v_cmp_class_f64_e64 s0, v[1:2], 0x1f8
	v_lshlrev_b32_e32 v1, 30, v7
	v_add_f64 v[9:10], v[17:18], v[9:10]
	v_xor_b32_e32 v1, v1, v2
	v_and_b32_e32 v1, 0x80000000, v1
	v_add_f64 v[3:4], v[3:4], -v[5:6]
	v_and_b32_e32 v5, 1, v7
	v_cmp_eq_u32_e32 vcc_lo, 0, v5
	v_cndmask_b32_e32 v2, v10, v4, vcc_lo
	v_cndmask_b32_e32 v3, v9, v3, vcc_lo
	v_xor_b32_e32 v2, v2, v1
	v_cndmask_b32_e64 v1, 0, v3, s0
	v_cndmask_b32_e64 v2, 0x7ff80000, v2, s0
	global_store_dwordx2 v0, v[1:2], s[4:5]
	s_or_b32 exec_lo, exec_lo, s30
	s_mov_b32 s20, exec_lo
	v_cmpx_gt_i32_e64 s27, v8
	s_cbranch_execz .LBB5_124
.LBB5_138:
	s_andn2_b32 vcc_lo, exec_lo, s24
	s_cbranch_vccnz .LBB5_143
; %bb.139:
	s_andn2_b32 vcc_lo, exec_lo, s29
	s_cbranch_vccnz .LBB5_144
; %bb.140:
	s_add_i32 s28, s28, 1
	s_cmp_eq_u32 s23, 2
	s_cbranch_scc1 .LBB5_145
; %bb.141:
	v_mov_b32_e32 v2, 0
	v_mov_b32_e32 v0, 0
	;; [unrolled: 1-line block ×3, first 2 shown]
	s_and_b32 s21, s28, 28
	s_mov_b32 s27, 0
	s_mov_b64 s[0:1], s[2:3]
.LBB5_142:                              ; =>This Inner Loop Header: Depth=1
	s_clause 0x1
	s_load_dwordx8 s[36:43], s[0:1], 0x4
	s_load_dwordx4 s[52:55], s[0:1], 0x24
	s_load_dwordx8 s[44:51], s[18:19], 0x0
	s_add_u32 s0, s0, 48
	s_addc_u32 s1, s1, 0
	s_add_i32 s27, s27, 4
	s_add_u32 s18, s18, 32
	s_addc_u32 s19, s19, 0
	s_cmp_eq_u32 s21, s27
	s_waitcnt lgkmcnt(0)
	v_mul_hi_u32 v3, s37, v1
	v_add_nc_u32_e32 v3, v1, v3
	v_lshrrev_b32_e32 v3, s38, v3
	v_mul_hi_u32 v4, s40, v3
	v_mul_lo_u32 v6, v3, s36
	v_add_nc_u32_e32 v4, v3, v4
	v_sub_nc_u32_e32 v1, v1, v6
	v_lshrrev_b32_e32 v4, s41, v4
	v_mul_lo_u32 v6, v1, s44
	v_mul_lo_u32 v9, v1, s45
	v_mul_hi_u32 v5, s43, v4
	v_add_nc_u32_e32 v5, v4, v5
	v_lshrrev_b32_e32 v5, s52, v5
	v_mul_hi_u32 v7, s54, v5
	v_mul_lo_u32 v10, v5, s42
	v_add_nc_u32_e32 v1, v5, v7
	v_mul_lo_u32 v7, v4, s39
	v_sub_nc_u32_e32 v4, v4, v10
	v_lshrrev_b32_e32 v1, s55, v1
	v_mul_lo_u32 v10, v4, s48
	v_mul_lo_u32 v4, v4, s49
	v_sub_nc_u32_e32 v3, v3, v7
	v_mul_lo_u32 v11, v1, s53
	v_mul_lo_u32 v7, v3, s46
	;; [unrolled: 1-line block ×3, first 2 shown]
	v_sub_nc_u32_e32 v5, v5, v11
	v_add3_u32 v0, v6, v0, v7
	v_mul_lo_u32 v11, v5, s50
	v_mul_lo_u32 v5, v5, s51
	v_add3_u32 v2, v9, v2, v3
	v_add3_u32 v0, v10, v0, v11
	;; [unrolled: 1-line block ×3, first 2 shown]
	s_cbranch_scc0 .LBB5_142
	s_branch .LBB5_146
.LBB5_143:
                                        ; implicit-def: $vgpr0
                                        ; implicit-def: $vgpr2
	s_branch .LBB5_150
.LBB5_144:
	v_mov_b32_e32 v0, 0
	v_mov_b32_e32 v2, 0
	s_branch .LBB5_149
.LBB5_145:
	v_mov_b32_e32 v0, 0
	v_mov_b32_e32 v2, 0
	;; [unrolled: 1-line block ×3, first 2 shown]
	s_mov_b32 s21, 0
.LBB5_146:
	s_and_b32 s27, s28, 3
	s_cmp_eq_u32 s27, 0
	s_cbranch_scc1 .LBB5_149
; %bb.147:
	s_lshl_b32 s0, s21, 3
	s_mul_i32 s18, s21, 12
	s_add_u32 s0, s2, s0
	s_addc_u32 s1, s3, 0
	s_add_u32 s0, s0, 0xc4
	s_addc_u32 s1, s1, 0
	;; [unrolled: 2-line block ×3, first 2 shown]
	.p2align	6
.LBB5_148:                              ; =>This Inner Loop Header: Depth=1
	s_clause 0x1
	s_load_dwordx2 s[28:29], s[18:19], 0x4
	s_load_dword s21, s[18:19], 0xc
	s_load_dwordx2 s[30:31], s[0:1], 0x0
	s_add_u32 s18, s18, 12
	s_addc_u32 s19, s19, 0
	s_add_u32 s0, s0, 8
	s_addc_u32 s1, s1, 0
	s_add_i32 s27, s27, -1
	s_cmp_lg_u32 s27, 0
	s_waitcnt lgkmcnt(0)
	v_mul_hi_u32 v3, s29, v1
	v_add_nc_u32_e32 v3, v1, v3
	v_lshrrev_b32_e32 v4, s21, v3
	v_mul_lo_u32 v3, v4, s28
	v_sub_nc_u32_e32 v3, v1, v3
	v_mad_u64_u32 v[0:1], null, v3, s30, v[0:1]
	v_mad_u64_u32 v[2:3], null, v3, s31, v[2:3]
	v_mov_b32_e32 v1, v4
	s_cbranch_scc1 .LBB5_148
.LBB5_149:
	s_cbranch_execnz .LBB5_152
.LBB5_150:
	s_waitcnt lgkmcnt(0)
	v_mul_hi_u32 v0, s13, v8
	s_andn2_b32 vcc_lo, exec_lo, s26
	v_add_nc_u32_e32 v0, v8, v0
	v_lshrrev_b32_e32 v1, s14, v0
	v_mul_lo_u32 v0, v1, s12
	v_sub_nc_u32_e32 v2, v8, v0
	v_mul_lo_u32 v0, v2, s8
	v_mul_lo_u32 v2, v2, s9
	s_cbranch_vccnz .LBB5_152
; %bb.151:
	v_mul_hi_u32 v3, s16, v1
	v_add_nc_u32_e32 v3, v1, v3
	v_lshrrev_b32_e32 v3, s17, v3
	v_mul_lo_u32 v3, v3, s15
	v_sub_nc_u32_e32 v3, v1, v3
	v_mad_u64_u32 v[0:1], null, v3, s10, v[0:1]
	v_mad_u64_u32 v[2:3], null, v3, s11, v[2:3]
.LBB5_152:
	s_waitcnt lgkmcnt(0)
	global_load_dwordx2 v[1:2], v2, s[6:7]
                                        ; implicit-def: $vgpr7
                                        ; implicit-def: $vgpr3_vgpr4
                                        ; implicit-def: $vgpr5_vgpr6
	s_waitcnt vmcnt(0)
	v_cmp_ngt_f64_e64 s0, 0x41d00000, |v[1:2]|
	s_and_saveexec_b32 s1, s0
	s_xor_b32 s0, exec_lo, s1
	s_cbranch_execz .LBB5_154
; %bb.153:
	v_ldexp_f64 v[3:4], |v[1:2]|, 0xffffff80
	v_cmp_le_f64_e64 vcc_lo, 0x7b000000, |v[1:2]|
	v_trig_preop_f64 v[5:6], |v[1:2]|, 0
	v_and_b32_e32 v7, 0x7fffffff, v2
	v_trig_preop_f64 v[17:18], |v[1:2]|, 2
	v_mov_b32_e32 v25, 0
	s_mov_b32 s6, 0x54442d18
	s_mov_b32 s7, 0x3ff921fb
	;; [unrolled: 1-line block ×4, first 2 shown]
	v_cndmask_b32_e32 v4, v7, v4, vcc_lo
	v_cndmask_b32_e32 v3, v1, v3, vcc_lo
	v_trig_preop_f64 v[7:8], |v[1:2]|, 1
	v_mul_f64 v[9:10], v[5:6], v[3:4]
	v_mul_f64 v[23:24], v[17:18], v[3:4]
	v_mul_f64 v[11:12], v[7:8], v[3:4]
	v_fma_f64 v[5:6], v[5:6], v[3:4], -v[9:10]
	v_fma_f64 v[7:8], v[7:8], v[3:4], -v[11:12]
	;; [unrolled: 1-line block ×3, first 2 shown]
	v_add_f64 v[13:14], v[11:12], v[5:6]
	v_add_f64 v[15:16], v[13:14], -v[11:12]
	v_add_f64 v[21:22], v[9:10], v[13:14]
	v_add_f64 v[19:20], v[13:14], -v[15:16]
	v_add_f64 v[5:6], v[5:6], -v[15:16]
	v_ldexp_f64 v[15:16], v[21:22], -2
	v_add_f64 v[9:10], v[21:22], -v[9:10]
	v_add_f64 v[11:12], v[11:12], -v[19:20]
	v_add_f64 v[19:20], v[23:24], v[7:8]
	v_cmp_neq_f64_e64 vcc_lo, 0x7ff00000, |v[15:16]|
	v_add_f64 v[9:10], v[13:14], -v[9:10]
	v_add_f64 v[5:6], v[5:6], v[11:12]
	v_fract_f64_e32 v[11:12], v[15:16]
	v_add_f64 v[13:14], v[19:20], v[5:6]
	v_ldexp_f64 v[11:12], v[11:12], 2
	v_add_f64 v[15:16], v[9:10], v[13:14]
	v_cndmask_b32_e32 v12, 0, v12, vcc_lo
	v_cndmask_b32_e32 v11, 0, v11, vcc_lo
	v_add_f64 v[21:22], v[15:16], v[11:12]
	v_add_f64 v[9:10], v[15:16], -v[9:10]
	v_cmp_gt_f64_e32 vcc_lo, 0, v[21:22]
	v_add_f64 v[21:22], v[19:20], -v[23:24]
	v_cndmask_b32_e64 v26, 0, 0x40100000, vcc_lo
	v_add_f64 v[30:31], v[19:20], -v[21:22]
	v_add_f64 v[7:8], v[7:8], -v[21:22]
	v_add_f64 v[11:12], v[11:12], v[25:26]
	v_add_f64 v[26:27], v[13:14], -v[19:20]
	v_add_f64 v[21:22], v[23:24], -v[30:31]
	v_add_f64 v[28:29], v[15:16], v[11:12]
	;; [unrolled: 3-line block ×3, first 2 shown]
	v_cvt_i32_f64_e32 v28, v[28:29]
	v_add_f64 v[19:20], v[19:20], -v[32:33]
	v_cvt_f64_i32_e32 v[26:27], v28
	v_add_f64 v[5:6], v[5:6], v[19:20]
	v_add_f64 v[11:12], v[11:12], -v[26:27]
	v_add_f64 v[5:6], v[7:8], v[5:6]
	v_add_f64 v[7:8], v[13:14], -v[9:10]
	v_add_f64 v[17:18], v[15:16], v[11:12]
	v_add_f64 v[3:4], v[3:4], v[5:6]
	v_add_f64 v[5:6], v[17:18], -v[11:12]
	v_cmp_le_f64_e32 vcc_lo, 0.5, v[17:18]
	v_add_f64 v[3:4], v[7:8], v[3:4]
	v_add_f64 v[5:6], v[15:16], -v[5:6]
	v_cndmask_b32_e64 v26, 0, 0x3ff00000, vcc_lo
	v_add_co_ci_u32_e64 v7, null, 0, v28, vcc_lo
	v_add_f64 v[3:4], v[3:4], v[5:6]
	v_add_f64 v[5:6], v[17:18], -v[25:26]
	v_add_f64 v[8:9], v[5:6], v[3:4]
	v_mul_f64 v[10:11], v[8:9], s[6:7]
	v_add_f64 v[5:6], v[8:9], -v[5:6]
	v_fma_f64 v[12:13], v[8:9], s[6:7], -v[10:11]
	v_add_f64 v[3:4], v[3:4], -v[5:6]
	v_fma_f64 v[5:6], v[8:9], s[8:9], v[12:13]
	v_fma_f64 v[5:6], v[3:4], s[6:7], v[5:6]
	v_add_f64 v[3:4], v[10:11], v[5:6]
	v_add_f64 v[8:9], v[3:4], -v[10:11]
	v_add_f64 v[5:6], v[5:6], -v[8:9]
.LBB5_154:
	s_andn2_saveexec_b32 s0, s0
	s_cbranch_execz .LBB5_156
; %bb.155:
	s_mov_b32 s6, 0x6dc9c883
	s_mov_b32 s7, 0x3fe45f30
	;; [unrolled: 1-line block ×3, first 2 shown]
	v_mul_f64 v[3:4], |v[1:2]|, s[6:7]
	s_mov_b32 s6, 0x54442d18
	s_mov_b32 s7, 0xbff921fb
	;; [unrolled: 1-line block ×3, first 2 shown]
	v_rndne_f64_e32 v[7:8], v[3:4]
	v_fma_f64 v[3:4], v[7:8], s[6:7], |v[1:2]|
	v_mul_f64 v[5:6], v[7:8], s[8:9]
	s_mov_b32 s6, 0x252049c0
	s_mov_b32 s7, 0xb97b839a
	v_fma_f64 v[11:12], v[7:8], s[8:9], v[3:4]
	v_add_f64 v[9:10], v[3:4], v[5:6]
	s_mov_b32 s9, 0x3c91a626
	v_add_f64 v[3:4], v[3:4], -v[9:10]
	v_add_f64 v[9:10], v[9:10], -v[11:12]
	v_add_f64 v[3:4], v[3:4], v[5:6]
	v_fma_f64 v[5:6], v[7:8], s[8:9], v[5:6]
	v_add_f64 v[3:4], v[9:10], v[3:4]
	v_add_f64 v[3:4], v[3:4], -v[5:6]
	v_fma_f64 v[5:6], v[7:8], s[6:7], v[3:4]
	v_cvt_i32_f64_e32 v7, v[7:8]
	v_add_f64 v[3:4], v[11:12], v[5:6]
	v_add_f64 v[9:10], v[3:4], -v[11:12]
	v_add_f64 v[5:6], v[5:6], -v[9:10]
.LBB5_156:
	s_or_b32 exec_lo, exec_lo, s0
	v_mul_f64 v[8:9], v[3:4], v[3:4]
	s_mov_b32 s0, 0xb42fdfa7
	s_mov_b32 s6, 0xf9a43bb8
	;; [unrolled: 1-line block ×6, first 2 shown]
	v_mul_f64 v[18:19], v[5:6], 0.5
	v_fma_f64 v[10:11], v[8:9], s[6:7], s[0:1]
	s_mov_b32 s0, 0x9037ab78
	s_mov_b32 s6, 0x46cc5e42
	;; [unrolled: 1-line block ×4, first 2 shown]
	v_mul_f64 v[14:15], v[8:9], 0.5
	v_fma_f64 v[12:13], v[8:9], s[6:7], s[0:1]
	s_mov_b32 s0, 0xa17f65f6
	s_mov_b32 s6, 0x19e83e5c
	;; [unrolled: 1-line block ×4, first 2 shown]
	v_mul_f64 v[20:21], v[3:4], -v[8:9]
	v_fma_f64 v[10:11], v[8:9], v[10:11], s[8:9]
	v_add_f64 v[16:17], -v[14:15], 1.0
	v_fma_f64 v[12:13], v[8:9], v[12:13], s[0:1]
	s_mov_b32 s0, 0x19f4ec90
	s_mov_b32 s1, 0x3efa01a0
	v_fma_f64 v[10:11], v[8:9], v[10:11], s[6:7]
	s_mov_b32 s6, 0x11110bb3
	s_mov_b32 s7, 0x3f811111
	v_add_f64 v[22:23], -v[16:17], 1.0
	v_fma_f64 v[12:13], v[8:9], v[12:13], s[0:1]
	s_mov_b32 s0, 0x16c16967
	s_mov_b32 s1, 0xbf56c16c
	v_fma_f64 v[10:11], v[8:9], v[10:11], s[6:7]
	v_add_f64 v[14:15], v[22:23], -v[14:15]
	v_fma_f64 v[12:13], v[8:9], v[12:13], s[0:1]
	s_mov_b32 s1, 0x3fa55555
	s_mov_b32 s0, 0x55555555
	v_fma_f64 v[10:11], v[20:21], v[10:11], v[18:19]
	v_mul_f64 v[18:19], v[8:9], v[8:9]
	v_fma_f64 v[14:15], v[3:4], -v[5:6], v[14:15]
	v_fma_f64 v[12:13], v[8:9], v[12:13], s[0:1]
	s_mov_b32 s1, 0xbfc55555
	v_fma_f64 v[5:6], v[8:9], v[10:11], -v[5:6]
	v_fma_f64 v[8:9], v[18:19], v[12:13], v[14:15]
	v_fma_f64 v[5:6], v[20:21], s[0:1], v[5:6]
	v_cmp_class_f64_e64 s0, v[1:2], 0x1f8
	v_lshlrev_b32_e32 v1, 30, v7
	v_add_f64 v[8:9], v[16:17], v[8:9]
	v_xor_b32_e32 v1, v1, v2
	v_and_b32_e32 v1, 0x80000000, v1
	v_add_f64 v[3:4], v[3:4], -v[5:6]
	v_and_b32_e32 v5, 1, v7
	v_cmp_eq_u32_e32 vcc_lo, 0, v5
	v_cndmask_b32_e32 v2, v9, v4, vcc_lo
	v_cndmask_b32_e32 v3, v8, v3, vcc_lo
	v_xor_b32_e32 v2, v2, v1
	v_cndmask_b32_e64 v1, 0, v3, s0
	v_cndmask_b32_e64 v2, 0x7ff80000, v2, s0
	global_store_dwordx2 v0, v[1:2], s[4:5]
	s_or_b32 exec_lo, exec_lo, s20
                                        ; implicit-def: $vgpr9
                                        ; implicit-def: $vgpr8
	s_andn2_saveexec_b32 s0, s25
	s_cbranch_execz .LBB5_125
	s_branch .LBB5_8
	.section	.rodata,"a",@progbits
	.p2align	6, 0x0
	.amdhsa_kernel _ZN2at6native32elementwise_kernel_manual_unrollILi128ELi4EZNS0_22gpu_kernel_impl_nocastIZZZNS0_15sin_kernel_cudaERNS_18TensorIteratorBaseEENKUlvE0_clEvENKUlvE_clEvEUldE_EEvS4_RKT_EUlibE_EEviT1_
		.amdhsa_group_segment_fixed_size 0
		.amdhsa_private_segment_fixed_size 0
		.amdhsa_kernarg_size 360
		.amdhsa_user_sgpr_count 6
		.amdhsa_user_sgpr_private_segment_buffer 1
		.amdhsa_user_sgpr_dispatch_ptr 0
		.amdhsa_user_sgpr_queue_ptr 0
		.amdhsa_user_sgpr_kernarg_segment_ptr 1
		.amdhsa_user_sgpr_dispatch_id 0
		.amdhsa_user_sgpr_flat_scratch_init 0
		.amdhsa_user_sgpr_private_segment_size 0
		.amdhsa_wavefront_size32 1
		.amdhsa_uses_dynamic_stack 0
		.amdhsa_system_sgpr_private_segment_wavefront_offset 0
		.amdhsa_system_sgpr_workgroup_id_x 1
		.amdhsa_system_sgpr_workgroup_id_y 0
		.amdhsa_system_sgpr_workgroup_id_z 0
		.amdhsa_system_sgpr_workgroup_info 0
		.amdhsa_system_vgpr_workitem_id 0
		.amdhsa_next_free_vgpr 62
		.amdhsa_next_free_sgpr 56
		.amdhsa_reserve_vcc 1
		.amdhsa_reserve_flat_scratch 0
		.amdhsa_float_round_mode_32 0
		.amdhsa_float_round_mode_16_64 0
		.amdhsa_float_denorm_mode_32 3
		.amdhsa_float_denorm_mode_16_64 3
		.amdhsa_dx10_clamp 1
		.amdhsa_ieee_mode 1
		.amdhsa_fp16_overflow 0
		.amdhsa_workgroup_processor_mode 1
		.amdhsa_memory_ordered 1
		.amdhsa_forward_progress 1
		.amdhsa_shared_vgpr_count 0
		.amdhsa_exception_fp_ieee_invalid_op 0
		.amdhsa_exception_fp_denorm_src 0
		.amdhsa_exception_fp_ieee_div_zero 0
		.amdhsa_exception_fp_ieee_overflow 0
		.amdhsa_exception_fp_ieee_underflow 0
		.amdhsa_exception_fp_ieee_inexact 0
		.amdhsa_exception_int_div_zero 0
	.end_amdhsa_kernel
	.section	.text._ZN2at6native32elementwise_kernel_manual_unrollILi128ELi4EZNS0_22gpu_kernel_impl_nocastIZZZNS0_15sin_kernel_cudaERNS_18TensorIteratorBaseEENKUlvE0_clEvENKUlvE_clEvEUldE_EEvS4_RKT_EUlibE_EEviT1_,"axG",@progbits,_ZN2at6native32elementwise_kernel_manual_unrollILi128ELi4EZNS0_22gpu_kernel_impl_nocastIZZZNS0_15sin_kernel_cudaERNS_18TensorIteratorBaseEENKUlvE0_clEvENKUlvE_clEvEUldE_EEvS4_RKT_EUlibE_EEviT1_,comdat
.Lfunc_end5:
	.size	_ZN2at6native32elementwise_kernel_manual_unrollILi128ELi4EZNS0_22gpu_kernel_impl_nocastIZZZNS0_15sin_kernel_cudaERNS_18TensorIteratorBaseEENKUlvE0_clEvENKUlvE_clEvEUldE_EEvS4_RKT_EUlibE_EEviT1_, .Lfunc_end5-_ZN2at6native32elementwise_kernel_manual_unrollILi128ELi4EZNS0_22gpu_kernel_impl_nocastIZZZNS0_15sin_kernel_cudaERNS_18TensorIteratorBaseEENKUlvE0_clEvENKUlvE_clEvEUldE_EEvS4_RKT_EUlibE_EEviT1_
                                        ; -- End function
	.set _ZN2at6native32elementwise_kernel_manual_unrollILi128ELi4EZNS0_22gpu_kernel_impl_nocastIZZZNS0_15sin_kernel_cudaERNS_18TensorIteratorBaseEENKUlvE0_clEvENKUlvE_clEvEUldE_EEvS4_RKT_EUlibE_EEviT1_.num_vgpr, 62
	.set _ZN2at6native32elementwise_kernel_manual_unrollILi128ELi4EZNS0_22gpu_kernel_impl_nocastIZZZNS0_15sin_kernel_cudaERNS_18TensorIteratorBaseEENKUlvE0_clEvENKUlvE_clEvEUldE_EEvS4_RKT_EUlibE_EEviT1_.num_agpr, 0
	.set _ZN2at6native32elementwise_kernel_manual_unrollILi128ELi4EZNS0_22gpu_kernel_impl_nocastIZZZNS0_15sin_kernel_cudaERNS_18TensorIteratorBaseEENKUlvE0_clEvENKUlvE_clEvEUldE_EEvS4_RKT_EUlibE_EEviT1_.numbered_sgpr, 56
	.set _ZN2at6native32elementwise_kernel_manual_unrollILi128ELi4EZNS0_22gpu_kernel_impl_nocastIZZZNS0_15sin_kernel_cudaERNS_18TensorIteratorBaseEENKUlvE0_clEvENKUlvE_clEvEUldE_EEvS4_RKT_EUlibE_EEviT1_.num_named_barrier, 0
	.set _ZN2at6native32elementwise_kernel_manual_unrollILi128ELi4EZNS0_22gpu_kernel_impl_nocastIZZZNS0_15sin_kernel_cudaERNS_18TensorIteratorBaseEENKUlvE0_clEvENKUlvE_clEvEUldE_EEvS4_RKT_EUlibE_EEviT1_.private_seg_size, 0
	.set _ZN2at6native32elementwise_kernel_manual_unrollILi128ELi4EZNS0_22gpu_kernel_impl_nocastIZZZNS0_15sin_kernel_cudaERNS_18TensorIteratorBaseEENKUlvE0_clEvENKUlvE_clEvEUldE_EEvS4_RKT_EUlibE_EEviT1_.uses_vcc, 1
	.set _ZN2at6native32elementwise_kernel_manual_unrollILi128ELi4EZNS0_22gpu_kernel_impl_nocastIZZZNS0_15sin_kernel_cudaERNS_18TensorIteratorBaseEENKUlvE0_clEvENKUlvE_clEvEUldE_EEvS4_RKT_EUlibE_EEviT1_.uses_flat_scratch, 0
	.set _ZN2at6native32elementwise_kernel_manual_unrollILi128ELi4EZNS0_22gpu_kernel_impl_nocastIZZZNS0_15sin_kernel_cudaERNS_18TensorIteratorBaseEENKUlvE0_clEvENKUlvE_clEvEUldE_EEvS4_RKT_EUlibE_EEviT1_.has_dyn_sized_stack, 0
	.set _ZN2at6native32elementwise_kernel_manual_unrollILi128ELi4EZNS0_22gpu_kernel_impl_nocastIZZZNS0_15sin_kernel_cudaERNS_18TensorIteratorBaseEENKUlvE0_clEvENKUlvE_clEvEUldE_EEvS4_RKT_EUlibE_EEviT1_.has_recursion, 0
	.set _ZN2at6native32elementwise_kernel_manual_unrollILi128ELi4EZNS0_22gpu_kernel_impl_nocastIZZZNS0_15sin_kernel_cudaERNS_18TensorIteratorBaseEENKUlvE0_clEvENKUlvE_clEvEUldE_EEvS4_RKT_EUlibE_EEviT1_.has_indirect_call, 0
	.section	.AMDGPU.csdata,"",@progbits
; Kernel info:
; codeLenInByte = 15872
; TotalNumSgprs: 58
; NumVgprs: 62
; ScratchSize: 0
; MemoryBound: 0
; FloatMode: 240
; IeeeMode: 1
; LDSByteSize: 0 bytes/workgroup (compile time only)
; SGPRBlocks: 0
; VGPRBlocks: 7
; NumSGPRsForWavesPerEU: 58
; NumVGPRsForWavesPerEU: 62
; Occupancy: 16
; WaveLimiterHint : 1
; COMPUTE_PGM_RSRC2:SCRATCH_EN: 0
; COMPUTE_PGM_RSRC2:USER_SGPR: 6
; COMPUTE_PGM_RSRC2:TRAP_HANDLER: 0
; COMPUTE_PGM_RSRC2:TGID_X_EN: 1
; COMPUTE_PGM_RSRC2:TGID_Y_EN: 0
; COMPUTE_PGM_RSRC2:TGID_Z_EN: 0
; COMPUTE_PGM_RSRC2:TIDIG_COMP_CNT: 0
	.section	.text._ZN2at6native32elementwise_kernel_manual_unrollILi128ELi4EZNS0_15gpu_kernel_implIZZZNS0_15sin_kernel_cudaERNS_18TensorIteratorBaseEENKUlvE0_clEvENKUlvE_clEvEUldE_EEvS4_RKT_EUlibE_EEviT1_,"axG",@progbits,_ZN2at6native32elementwise_kernel_manual_unrollILi128ELi4EZNS0_15gpu_kernel_implIZZZNS0_15sin_kernel_cudaERNS_18TensorIteratorBaseEENKUlvE0_clEvENKUlvE_clEvEUldE_EEvS4_RKT_EUlibE_EEviT1_,comdat
	.globl	_ZN2at6native32elementwise_kernel_manual_unrollILi128ELi4EZNS0_15gpu_kernel_implIZZZNS0_15sin_kernel_cudaERNS_18TensorIteratorBaseEENKUlvE0_clEvENKUlvE_clEvEUldE_EEvS4_RKT_EUlibE_EEviT1_ ; -- Begin function _ZN2at6native32elementwise_kernel_manual_unrollILi128ELi4EZNS0_15gpu_kernel_implIZZZNS0_15sin_kernel_cudaERNS_18TensorIteratorBaseEENKUlvE0_clEvENKUlvE_clEvEUldE_EEvS4_RKT_EUlibE_EEviT1_
	.p2align	8
	.type	_ZN2at6native32elementwise_kernel_manual_unrollILi128ELi4EZNS0_15gpu_kernel_implIZZZNS0_15sin_kernel_cudaERNS_18TensorIteratorBaseEENKUlvE0_clEvENKUlvE_clEvEUldE_EEvS4_RKT_EUlibE_EEviT1_,@function
_ZN2at6native32elementwise_kernel_manual_unrollILi128ELi4EZNS0_15gpu_kernel_implIZZZNS0_15sin_kernel_cudaERNS_18TensorIteratorBaseEENKUlvE0_clEvENKUlvE_clEvEUldE_EEvS4_RKT_EUlibE_EEviT1_: ; @_ZN2at6native32elementwise_kernel_manual_unrollILi128ELi4EZNS0_15gpu_kernel_implIZZZNS0_15sin_kernel_cudaERNS_18TensorIteratorBaseEENKUlvE0_clEvENKUlvE_clEvEUldE_EEvS4_RKT_EUlibE_EEviT1_
; %bb.0:
	v_mov_b32_e32 v1, 0
	s_clause 0x2
	s_load_dword s12, s[4:5], 0x0
	s_load_dwordx2 s[2:3], s[4:5], 0x18
	s_load_dwordx4 s[8:11], s[4:5], 0x8
	v_lshl_or_b32 v24, s6, 9, v0
	s_mov_b32 s7, 0
	global_load_ushort v1, v1, s[4:5] offset:33
	s_mov_b32 s4, 0
	v_or_b32_e32 v0, 0x180, v24
	s_waitcnt vmcnt(0)
	v_readfirstlane_b32 s1, v1
	s_and_b32 s0, 0xffff, s1
	s_lshr_b32 s5, s0, 8
	s_mov_b32 s0, exec_lo
	s_waitcnt lgkmcnt(0)
	v_cmpx_le_i32_e64 s12, v0
	s_xor_b32 s6, exec_lo, s0
	s_cbranch_execz .LBB6_1044
; %bb.1:
	s_mov_b32 s17, -1
	s_mov_b32 s15, 0
	s_mov_b32 s13, 0
	s_mov_b32 s14, exec_lo
	v_cmpx_gt_i32_e64 s12, v24
	s_cbranch_execz .LBB6_256
; %bb.2:
	v_mul_lo_u32 v0, v24, s3
	s_and_b32 s0, 0xffff, s5
	s_cmp_lt_i32 s0, 11
	v_ashrrev_i32_e32 v1, 31, v0
	v_add_co_u32 v0, vcc_lo, s10, v0
	v_add_co_ci_u32_e64 v1, null, s11, v1, vcc_lo
	s_cbranch_scc1 .LBB6_9
; %bb.3:
	s_cmp_gt_i32 s0, 25
	s_cbranch_scc0 .LBB6_61
; %bb.4:
	s_cmp_gt_i32 s0, 28
	s_cbranch_scc0 .LBB6_62
	;; [unrolled: 3-line block ×4, first 2 shown]
; %bb.7:
	s_cmp_eq_u32 s0, 46
	s_mov_b32 s16, 0
	s_cbranch_scc0 .LBB6_68
; %bb.8:
	global_load_dword v2, v[0:1], off
	s_mov_b32 s7, -1
	s_waitcnt vmcnt(0)
	v_lshlrev_b32_e32 v2, 16, v2
	v_cvt_f64_f32_e32 v[2:3], v2
	s_branch .LBB6_70
.LBB6_9:
                                        ; implicit-def: $vgpr2_vgpr3
	s_cbranch_execnz .LBB6_206
.LBB6_10:
	s_andn2_b32 vcc_lo, exec_lo, s7
	s_cbranch_vccnz .LBB6_253
.LBB6_11:
	s_waitcnt vmcnt(0)
	v_cmp_ngt_f64_e64 s0, 0x41d00000, |v[2:3]|
                                        ; implicit-def: $vgpr6
                                        ; implicit-def: $vgpr0_vgpr1
                                        ; implicit-def: $vgpr4_vgpr5
	s_and_saveexec_b32 s7, s0
	s_xor_b32 s0, exec_lo, s7
	s_cbranch_execz .LBB6_13
; %bb.12:
	v_ldexp_f64 v[0:1], |v[2:3]|, 0xffffff80
	v_cmp_le_f64_e64 vcc_lo, 0x7b000000, |v[2:3]|
	v_trig_preop_f64 v[4:5], |v[2:3]|, 0
	v_and_b32_e32 v6, 0x7fffffff, v3
	v_trig_preop_f64 v[16:17], |v[2:3]|, 2
	v_mov_b32_e32 v25, 0
	s_mov_b32 s16, 0x54442d18
	s_mov_b32 s17, 0x3ff921fb
	;; [unrolled: 1-line block ×4, first 2 shown]
	v_cndmask_b32_e32 v1, v6, v1, vcc_lo
	v_cndmask_b32_e32 v0, v2, v0, vcc_lo
	v_trig_preop_f64 v[6:7], |v[2:3]|, 1
	v_mul_f64 v[8:9], v[4:5], v[0:1]
	v_mul_f64 v[22:23], v[16:17], v[0:1]
	;; [unrolled: 1-line block ×3, first 2 shown]
	v_fma_f64 v[4:5], v[4:5], v[0:1], -v[8:9]
	v_fma_f64 v[6:7], v[6:7], v[0:1], -v[10:11]
	;; [unrolled: 1-line block ×3, first 2 shown]
	v_add_f64 v[12:13], v[10:11], v[4:5]
	v_add_f64 v[14:15], v[12:13], -v[10:11]
	v_add_f64 v[20:21], v[8:9], v[12:13]
	v_add_f64 v[18:19], v[12:13], -v[14:15]
	v_add_f64 v[4:5], v[4:5], -v[14:15]
	v_ldexp_f64 v[14:15], v[20:21], -2
	v_add_f64 v[8:9], v[20:21], -v[8:9]
	v_add_f64 v[10:11], v[10:11], -v[18:19]
	v_add_f64 v[18:19], v[22:23], v[6:7]
	v_cmp_neq_f64_e64 vcc_lo, 0x7ff00000, |v[14:15]|
	v_add_f64 v[8:9], v[12:13], -v[8:9]
	v_add_f64 v[4:5], v[4:5], v[10:11]
	v_fract_f64_e32 v[10:11], v[14:15]
	v_add_f64 v[12:13], v[18:19], v[4:5]
	v_ldexp_f64 v[10:11], v[10:11], 2
	v_add_f64 v[14:15], v[8:9], v[12:13]
	v_cndmask_b32_e32 v11, 0, v11, vcc_lo
	v_cndmask_b32_e32 v10, 0, v10, vcc_lo
	v_add_f64 v[20:21], v[14:15], v[10:11]
	v_add_f64 v[8:9], v[14:15], -v[8:9]
	v_cmp_gt_f64_e32 vcc_lo, 0, v[20:21]
	v_add_f64 v[20:21], v[18:19], -v[22:23]
	v_cndmask_b32_e64 v26, 0, 0x40100000, vcc_lo
	v_add_f64 v[30:31], v[18:19], -v[20:21]
	v_add_f64 v[6:7], v[6:7], -v[20:21]
	v_add_f64 v[10:11], v[10:11], v[25:26]
	v_add_f64 v[26:27], v[12:13], -v[18:19]
	v_add_f64 v[20:21], v[22:23], -v[30:31]
	v_add_f64 v[28:29], v[14:15], v[10:11]
	;; [unrolled: 3-line block ×3, first 2 shown]
	v_cvt_i32_f64_e32 v28, v[28:29]
	v_add_f64 v[18:19], v[18:19], -v[32:33]
	v_cvt_f64_i32_e32 v[26:27], v28
	v_add_f64 v[4:5], v[4:5], v[18:19]
	v_add_f64 v[10:11], v[10:11], -v[26:27]
	v_add_f64 v[4:5], v[6:7], v[4:5]
	v_add_f64 v[6:7], v[12:13], -v[8:9]
	v_add_f64 v[16:17], v[14:15], v[10:11]
	v_add_f64 v[0:1], v[0:1], v[4:5]
	v_add_f64 v[4:5], v[16:17], -v[10:11]
	v_cmp_le_f64_e32 vcc_lo, 0.5, v[16:17]
	v_add_f64 v[0:1], v[6:7], v[0:1]
	v_add_f64 v[4:5], v[14:15], -v[4:5]
	v_cndmask_b32_e64 v26, 0, 0x3ff00000, vcc_lo
	v_add_co_ci_u32_e64 v6, null, 0, v28, vcc_lo
	v_add_f64 v[0:1], v[0:1], v[4:5]
	v_add_f64 v[4:5], v[16:17], -v[25:26]
	v_add_f64 v[7:8], v[4:5], v[0:1]
	v_mul_f64 v[9:10], v[7:8], s[16:17]
	v_add_f64 v[4:5], v[7:8], -v[4:5]
	v_fma_f64 v[11:12], v[7:8], s[16:17], -v[9:10]
	v_add_f64 v[0:1], v[0:1], -v[4:5]
	v_fma_f64 v[4:5], v[7:8], s[18:19], v[11:12]
	v_fma_f64 v[4:5], v[0:1], s[16:17], v[4:5]
	v_add_f64 v[0:1], v[9:10], v[4:5]
	v_add_f64 v[7:8], v[0:1], -v[9:10]
	v_add_f64 v[4:5], v[4:5], -v[7:8]
.LBB6_13:
	s_andn2_saveexec_b32 s0, s0
	s_cbranch_execz .LBB6_15
; %bb.14:
	s_mov_b32 s16, 0x6dc9c883
	s_mov_b32 s17, 0x3fe45f30
	s_mov_b32 s19, 0xbc91a626
	v_mul_f64 v[0:1], |v[2:3]|, s[16:17]
	s_mov_b32 s16, 0x54442d18
	s_mov_b32 s17, 0xbff921fb
	s_mov_b32 s18, 0x33145c00
	v_rndne_f64_e32 v[6:7], v[0:1]
	v_fma_f64 v[0:1], v[6:7], s[16:17], |v[2:3]|
	v_mul_f64 v[4:5], v[6:7], s[18:19]
	s_mov_b32 s16, 0x252049c0
	s_mov_b32 s17, 0xb97b839a
	v_fma_f64 v[10:11], v[6:7], s[18:19], v[0:1]
	v_add_f64 v[8:9], v[0:1], v[4:5]
	s_mov_b32 s19, 0x3c91a626
	v_add_f64 v[0:1], v[0:1], -v[8:9]
	v_add_f64 v[8:9], v[8:9], -v[10:11]
	v_add_f64 v[0:1], v[0:1], v[4:5]
	v_fma_f64 v[4:5], v[6:7], s[18:19], v[4:5]
	v_add_f64 v[0:1], v[8:9], v[0:1]
	v_add_f64 v[0:1], v[0:1], -v[4:5]
	v_fma_f64 v[4:5], v[6:7], s[16:17], v[0:1]
	v_cvt_i32_f64_e32 v6, v[6:7]
	v_add_f64 v[0:1], v[10:11], v[4:5]
	v_add_f64 v[8:9], v[0:1], -v[10:11]
	v_add_f64 v[4:5], v[4:5], -v[8:9]
.LBB6_15:
	s_or_b32 exec_lo, exec_lo, s0
	v_mul_f64 v[7:8], v[0:1], v[0:1]
	s_mov_b32 s16, 0xb42fdfa7
	s_mov_b32 s18, 0xf9a43bb8
	;; [unrolled: 1-line block ×6, first 2 shown]
	v_mul_f64 v[17:18], v[4:5], 0.5
	v_cmp_class_f64_e64 s0, v[2:3], 0x1f8
	v_lshlrev_b32_e32 v2, 30, v6
	s_mov_b32 s7, 0
	v_xor_b32_e32 v2, v2, v3
	v_mul_lo_u32 v3, v24, s2
	v_and_b32_e32 v2, 0x80000000, v2
	v_fma_f64 v[9:10], v[7:8], s[18:19], s[16:17]
	s_mov_b32 s16, 0x9037ab78
	s_mov_b32 s18, 0x46cc5e42
	;; [unrolled: 1-line block ×4, first 2 shown]
	v_mul_f64 v[13:14], v[7:8], 0.5
	v_fma_f64 v[11:12], v[7:8], s[18:19], s[16:17]
	s_mov_b32 s16, 0xa17f65f6
	s_mov_b32 s18, 0x19e83e5c
	;; [unrolled: 1-line block ×4, first 2 shown]
	v_mul_f64 v[19:20], v[0:1], -v[7:8]
	v_fma_f64 v[9:10], v[7:8], v[9:10], s[20:21]
	v_add_f64 v[15:16], -v[13:14], 1.0
	v_fma_f64 v[11:12], v[7:8], v[11:12], s[16:17]
	s_mov_b32 s16, 0x19f4ec90
	s_mov_b32 s17, 0x3efa01a0
	v_fma_f64 v[9:10], v[7:8], v[9:10], s[18:19]
	s_mov_b32 s18, 0x11110bb3
	s_mov_b32 s19, 0x3f811111
	v_add_f64 v[21:22], -v[15:16], 1.0
	v_fma_f64 v[11:12], v[7:8], v[11:12], s[16:17]
	s_mov_b32 s16, 0x16c16967
	s_mov_b32 s17, 0xbf56c16c
	v_fma_f64 v[9:10], v[7:8], v[9:10], s[18:19]
	v_add_f64 v[13:14], v[21:22], -v[13:14]
	v_fma_f64 v[11:12], v[7:8], v[11:12], s[16:17]
	s_mov_b32 s17, 0x3fa55555
	s_mov_b32 s16, 0x55555555
	v_fma_f64 v[9:10], v[19:20], v[9:10], v[17:18]
	v_mul_f64 v[17:18], v[7:8], v[7:8]
	v_fma_f64 v[13:14], v[0:1], -v[4:5], v[13:14]
	v_fma_f64 v[11:12], v[7:8], v[11:12], s[16:17]
	s_mov_b32 s17, 0xbfc55555
	v_fma_f64 v[4:5], v[7:8], v[9:10], -v[4:5]
	v_fma_f64 v[7:8], v[17:18], v[11:12], v[13:14]
	v_fma_f64 v[4:5], v[19:20], s[16:17], v[4:5]
	s_and_b32 s16, s1, 0xff
	s_mov_b32 s17, -1
	s_cmp_lt_i32 s16, 11
	v_add_f64 v[7:8], v[15:16], v[7:8]
	v_add_f64 v[0:1], v[0:1], -v[4:5]
	v_and_b32_e32 v4, 1, v6
	v_ashrrev_i32_e32 v5, 31, v3
	v_cmp_eq_u32_e32 vcc_lo, 0, v4
	v_cndmask_b32_e32 v1, v8, v1, vcc_lo
	v_cndmask_b32_e32 v0, v7, v0, vcc_lo
	v_add_co_u32 v4, vcc_lo, s8, v3
	v_add_co_ci_u32_e64 v5, null, s9, v5, vcc_lo
	v_xor_b32_e32 v1, v1, v2
	v_cndmask_b32_e64 v0, 0, v0, s0
	v_cndmask_b32_e64 v1, 0x7ff80000, v1, s0
	s_mov_b32 s0, 0
	s_cbranch_scc1 .LBB6_22
; %bb.16:
	s_and_b32 s17, 0xffff, s16
	s_cmp_gt_i32 s17, 25
	s_cbranch_scc0 .LBB6_63
; %bb.17:
	s_cmp_gt_i32 s17, 28
	s_cbranch_scc0 .LBB6_65
; %bb.18:
	;; [unrolled: 3-line block ×4, first 2 shown]
	s_mov_b32 s18, 0
	s_mov_b32 s7, -1
	s_cmp_eq_u32 s17, 46
	s_cbranch_scc0 .LBB6_74
; %bb.21:
	v_cvt_f32_f64_e32 v2, v[0:1]
	s_mov_b32 s0, -1
	s_mov_b32 s7, 0
	v_bfe_u32 v3, v2, 16, 1
	v_cmp_o_f32_e32 vcc_lo, v2, v2
	v_add3_u32 v2, v2, v3, 0x7fff
	v_mov_b32_e32 v3, 0x7fc0
	v_cndmask_b32_sdwa v2, v3, v2, vcc_lo dst_sel:DWORD dst_unused:UNUSED_PAD src0_sel:DWORD src1_sel:WORD_1
	global_store_dword v[4:5], v2, off
	s_branch .LBB6_74
.LBB6_22:
	s_and_b32 vcc_lo, exec_lo, s17
	s_cbranch_vccz .LBB6_143
; %bb.23:
	s_and_b32 s0, 0xffff, s16
	s_mov_b32 s16, -1
	s_cmp_lt_i32 s0, 5
	s_cbranch_scc1 .LBB6_44
; %bb.24:
	s_cmp_lt_i32 s0, 8
	s_cbranch_scc1 .LBB6_34
; %bb.25:
	;; [unrolled: 3-line block ×3, first 2 shown]
	s_cmp_gt_i32 s0, 9
	s_cbranch_scc0 .LBB6_28
; %bb.27:
	v_mov_b32_e32 v2, 0
	s_mov_b32 s16, 0
	v_mov_b32_e32 v3, v2
	global_store_dwordx4 v[4:5], v[0:3], off
.LBB6_28:
	s_andn2_b32 vcc_lo, exec_lo, s16
	s_cbranch_vccnz .LBB6_30
; %bb.29:
	v_cvt_f32_f64_e32 v2, v[0:1]
	v_mov_b32_e32 v3, 0
	global_store_dwordx2 v[4:5], v[2:3], off
.LBB6_30:
	s_mov_b32 s16, 0
.LBB6_31:
	s_andn2_b32 vcc_lo, exec_lo, s16
	s_cbranch_vccnz .LBB6_33
; %bb.32:
	v_and_or_b32 v2, 0x1ff, v1, v0
	v_lshrrev_b32_e32 v3, 8, v1
	v_bfe_u32 v6, v1, 20, 11
	v_cmp_ne_u32_e32 vcc_lo, 0, v2
	v_sub_nc_u32_e32 v7, 0x3f1, v6
	v_add_nc_u32_e32 v6, 0xfffffc10, v6
	v_cndmask_b32_e64 v2, 0, 1, vcc_lo
	v_and_or_b32 v2, 0xffe, v3, v2
	v_med3_i32 v3, v7, 0, 13
	v_or_b32_e32 v7, 0x1000, v2
	v_lshrrev_b32_e32 v8, v3, v7
	v_lshlrev_b32_e32 v3, v3, v8
	v_cmp_ne_u32_e32 vcc_lo, v3, v7
	v_lshl_or_b32 v7, v6, 12, v2
	v_cndmask_b32_e64 v3, 0, 1, vcc_lo
	v_cmp_gt_i32_e32 vcc_lo, 1, v6
	v_or_b32_e32 v3, v8, v3
	v_cndmask_b32_e32 v3, v7, v3, vcc_lo
	v_and_b32_e32 v7, 7, v3
	v_lshrrev_b32_e32 v3, 2, v3
	v_cmp_lt_i32_e32 vcc_lo, 5, v7
	v_cndmask_b32_e64 v8, 0, 1, vcc_lo
	v_cmp_eq_u32_e32 vcc_lo, 3, v7
	v_cndmask_b32_e64 v7, 0, 1, vcc_lo
	v_cmp_ne_u32_e32 vcc_lo, 0, v2
	v_or_b32_e32 v7, v7, v8
	v_mov_b32_e32 v8, 0x7e00
	v_add_nc_u32_e32 v3, v3, v7
	v_cndmask_b32_e32 v2, 0x7c00, v8, vcc_lo
	v_cmp_gt_i32_e32 vcc_lo, 31, v6
	v_cndmask_b32_e32 v3, 0x7c00, v3, vcc_lo
	v_cmp_eq_u32_e32 vcc_lo, 0x40f, v6
	v_cndmask_b32_e32 v2, v3, v2, vcc_lo
	v_lshrrev_b32_e32 v3, 16, v1
	v_and_or_b32 v2, 0x8000, v3, v2
	v_and_b32_e32 v2, 0xffff, v2
	global_store_dword v[4:5], v2, off
.LBB6_33:
	s_mov_b32 s16, 0
.LBB6_34:
	s_andn2_b32 vcc_lo, exec_lo, s16
	s_cbranch_vccnz .LBB6_43
; %bb.35:
	s_cmp_lt_i32 s0, 6
	s_mov_b32 s16, -1
	s_cbranch_scc1 .LBB6_41
; %bb.36:
	s_cmp_gt_i32 s0, 6
	s_cbranch_scc0 .LBB6_38
; %bb.37:
	s_mov_b32 s16, 0
	global_store_dwordx2 v[4:5], v[0:1], off
.LBB6_38:
	s_andn2_b32 vcc_lo, exec_lo, s16
	s_cbranch_vccnz .LBB6_40
; %bb.39:
	v_cvt_f32_f64_e32 v2, v[0:1]
	global_store_dword v[4:5], v2, off
.LBB6_40:
	s_mov_b32 s16, 0
.LBB6_41:
	s_andn2_b32 vcc_lo, exec_lo, s16
	s_cbranch_vccnz .LBB6_43
; %bb.42:
	v_and_or_b32 v2, 0x1ff, v1, v0
	v_lshrrev_b32_e32 v3, 8, v1
	v_bfe_u32 v6, v1, 20, 11
	v_cmp_ne_u32_e32 vcc_lo, 0, v2
	v_sub_nc_u32_e32 v7, 0x3f1, v6
	v_add_nc_u32_e32 v6, 0xfffffc10, v6
	v_cndmask_b32_e64 v2, 0, 1, vcc_lo
	v_and_or_b32 v2, 0xffe, v3, v2
	v_med3_i32 v3, v7, 0, 13
	v_or_b32_e32 v7, 0x1000, v2
	v_lshrrev_b32_e32 v8, v3, v7
	v_lshlrev_b32_e32 v3, v3, v8
	v_cmp_ne_u32_e32 vcc_lo, v3, v7
	v_lshl_or_b32 v7, v6, 12, v2
	v_cndmask_b32_e64 v3, 0, 1, vcc_lo
	v_cmp_gt_i32_e32 vcc_lo, 1, v6
	v_or_b32_e32 v3, v8, v3
	v_cndmask_b32_e32 v3, v7, v3, vcc_lo
	v_and_b32_e32 v7, 7, v3
	v_lshrrev_b32_e32 v3, 2, v3
	v_cmp_lt_i32_e32 vcc_lo, 5, v7
	v_cndmask_b32_e64 v8, 0, 1, vcc_lo
	v_cmp_eq_u32_e32 vcc_lo, 3, v7
	v_cndmask_b32_e64 v7, 0, 1, vcc_lo
	v_cmp_ne_u32_e32 vcc_lo, 0, v2
	v_or_b32_e32 v7, v7, v8
	v_mov_b32_e32 v8, 0x7e00
	v_add_nc_u32_e32 v3, v3, v7
	v_cndmask_b32_e32 v2, 0x7c00, v8, vcc_lo
	v_cmp_gt_i32_e32 vcc_lo, 31, v6
	v_cndmask_b32_e32 v3, 0x7c00, v3, vcc_lo
	v_cmp_eq_u32_e32 vcc_lo, 0x40f, v6
	v_cndmask_b32_e32 v2, v3, v2, vcc_lo
	v_lshrrev_b32_e32 v3, 16, v1
	v_and_or_b32 v2, 0x8000, v3, v2
	global_store_short v[4:5], v2, off
.LBB6_43:
	s_mov_b32 s16, 0
.LBB6_44:
	s_andn2_b32 vcc_lo, exec_lo, s16
	s_cbranch_vccnz .LBB6_60
; %bb.45:
	s_cmp_lt_i32 s0, 2
	s_mov_b32 s16, -1
	s_cbranch_scc1 .LBB6_55
; %bb.46:
	s_cmp_lt_i32 s0, 3
	s_cbranch_scc1 .LBB6_52
; %bb.47:
	s_cmp_gt_i32 s0, 3
	s_cbranch_scc0 .LBB6_49
; %bb.48:
	v_trunc_f64_e32 v[2:3], v[0:1]
	s_mov_b32 s16, 0
	v_ldexp_f64 v[6:7], v[2:3], 0xffffffe0
	v_floor_f64_e32 v[6:7], v[6:7]
	v_fma_f64 v[2:3], 0xc1f00000, v[6:7], v[2:3]
	v_cvt_i32_f64_e32 v7, v[6:7]
	v_cvt_u32_f64_e32 v6, v[2:3]
	global_store_dwordx2 v[4:5], v[6:7], off
.LBB6_49:
	s_andn2_b32 vcc_lo, exec_lo, s16
	s_cbranch_vccnz .LBB6_51
; %bb.50:
	v_cvt_i32_f64_e32 v2, v[0:1]
	global_store_dword v[4:5], v2, off
.LBB6_51:
	s_mov_b32 s16, 0
.LBB6_52:
	s_andn2_b32 vcc_lo, exec_lo, s16
	s_cbranch_vccnz .LBB6_54
; %bb.53:
	v_cvt_i32_f64_e32 v2, v[0:1]
	global_store_short v[4:5], v2, off
.LBB6_54:
	s_mov_b32 s16, 0
.LBB6_55:
	s_andn2_b32 vcc_lo, exec_lo, s16
	s_cbranch_vccnz .LBB6_60
; %bb.56:
	s_cmp_gt_i32 s0, 0
	s_mov_b32 s0, -1
	s_cbranch_scc0 .LBB6_58
; %bb.57:
	v_cvt_i32_f64_e32 v2, v[0:1]
	s_mov_b32 s0, 0
	global_store_byte v[4:5], v2, off
.LBB6_58:
	s_andn2_b32 vcc_lo, exec_lo, s0
	s_cbranch_vccnz .LBB6_60
; %bb.59:
	v_trunc_f64_e32 v[0:1], v[0:1]
	v_ldexp_f64 v[2:3], v[0:1], 0xffffffe0
	v_floor_f64_e32 v[2:3], v[2:3]
	v_fma_f64 v[0:1], 0xc1f00000, v[2:3], v[0:1]
	v_cvt_u32_f64_e32 v0, v[0:1]
	global_store_byte v[4:5], v0, off
.LBB6_60:
	s_branch .LBB6_144
.LBB6_61:
                                        ; implicit-def: $vgpr2_vgpr3
	s_cbranch_execnz .LBB6_173
	s_branch .LBB6_205
.LBB6_62:
	s_mov_b32 s16, -1
                                        ; implicit-def: $vgpr2_vgpr3
	s_branch .LBB6_152
.LBB6_63:
	s_mov_b32 s18, -1
	s_branch .LBB6_101
.LBB6_64:
	s_mov_b32 s16, -1
                                        ; implicit-def: $vgpr2_vgpr3
	s_branch .LBB6_147
.LBB6_65:
	s_mov_b32 s18, -1
	s_branch .LBB6_84
.LBB6_66:
	s_mov_b32 s16, -1
	s_branch .LBB6_69
.LBB6_67:
	s_mov_b32 s18, -1
	s_branch .LBB6_80
.LBB6_68:
	s_mov_b32 s13, -1
.LBB6_69:
                                        ; implicit-def: $vgpr2_vgpr3
.LBB6_70:
	s_and_b32 vcc_lo, exec_lo, s16
	s_cbranch_vccz .LBB6_146
; %bb.71:
	s_cmp_eq_u32 s0, 44
	s_cbranch_scc0 .LBB6_145
; %bb.72:
	global_load_ubyte v4, v[0:1], off
	s_mov_b32 s13, 0
	s_mov_b32 s7, -1
	s_waitcnt vmcnt(0)
	v_lshlrev_b32_e32 v2, 23, v4
	v_cmp_ne_u32_e32 vcc_lo, 0xff, v4
	v_cvt_f64_f32_e32 v[2:3], v2
	v_cndmask_b32_e32 v2, 0x20000000, v2, vcc_lo
	v_cndmask_b32_e32 v3, 0x7ff80000, v3, vcc_lo
	v_cmp_ne_u32_e32 vcc_lo, 0, v4
	v_cndmask_b32_e32 v3, 0x38000000, v3, vcc_lo
	v_cndmask_b32_e32 v2, 0, v2, vcc_lo
	s_branch .LBB6_146
.LBB6_73:
	s_mov_b32 s18, -1
.LBB6_74:
	s_and_b32 vcc_lo, exec_lo, s18
	s_cbranch_vccz .LBB6_79
; %bb.75:
	s_cmp_eq_u32 s17, 44
	s_mov_b32 s7, -1
	s_cbranch_scc0 .LBB6_79
; %bb.76:
	v_cvt_f32_f64_e32 v2, v[0:1]
	v_mov_b32_e32 v3, 0xff
	s_mov_b32 s7, exec_lo
	v_bfe_u32 v6, v2, 23, 8
	v_cmpx_ne_u32_e32 0xff, v6
	s_cbranch_execz .LBB6_78
; %bb.77:
	v_and_b32_e32 v3, 0x400000, v2
	v_and_or_b32 v6, 0x3fffff, v2, v6
	v_lshrrev_b32_e32 v2, 23, v2
	v_cmp_ne_u32_e32 vcc_lo, 0, v3
	v_cmp_ne_u32_e64 s0, 0, v6
	s_and_b32 s0, vcc_lo, s0
	v_cndmask_b32_e64 v3, 0, 1, s0
	v_add_nc_u32_e32 v3, v2, v3
.LBB6_78:
	s_or_b32 exec_lo, exec_lo, s7
	s_mov_b32 s0, -1
	s_mov_b32 s7, 0
	global_store_byte v[4:5], v3, off
.LBB6_79:
	s_mov_b32 s18, 0
.LBB6_80:
	s_and_b32 vcc_lo, exec_lo, s18
	s_cbranch_vccz .LBB6_83
; %bb.81:
	s_cmp_eq_u32 s17, 29
	s_mov_b32 s7, -1
	s_cbranch_scc0 .LBB6_83
; %bb.82:
	v_trunc_f64_e32 v[2:3], v[0:1]
	s_mov_b32 s0, -1
	s_mov_b32 s7, 0
	s_mov_b32 s18, 0
	v_ldexp_f64 v[6:7], v[2:3], 0xffffffe0
	v_floor_f64_e32 v[6:7], v[6:7]
	v_fma_f64 v[2:3], 0xc1f00000, v[6:7], v[2:3]
	v_cvt_u32_f64_e32 v7, v[6:7]
	v_cvt_u32_f64_e32 v6, v[2:3]
	global_store_dwordx2 v[4:5], v[6:7], off
	s_branch .LBB6_84
.LBB6_83:
	s_mov_b32 s18, 0
.LBB6_84:
	s_and_b32 vcc_lo, exec_lo, s18
	s_cbranch_vccz .LBB6_100
; %bb.85:
	s_cmp_lt_i32 s17, 27
	s_mov_b32 s0, -1
	s_cbranch_scc1 .LBB6_91
; %bb.86:
	v_cvt_u32_f64_e32 v2, v[0:1]
	s_cmp_gt_i32 s17, 27
	s_cbranch_scc0 .LBB6_88
; %bb.87:
	s_mov_b32 s0, 0
	global_store_dword v[4:5], v2, off
.LBB6_88:
	s_andn2_b32 vcc_lo, exec_lo, s0
	s_cbranch_vccnz .LBB6_90
; %bb.89:
	global_store_short v[4:5], v2, off
.LBB6_90:
	s_mov_b32 s0, 0
.LBB6_91:
	s_andn2_b32 vcc_lo, exec_lo, s0
	s_cbranch_vccnz .LBB6_99
; %bb.92:
	v_cvt_f32_f64_e32 v2, v[0:1]
	v_mov_b32_e32 v6, 0x80
	s_mov_b32 s0, exec_lo
	v_and_b32_e32 v3, 0x7fffffff, v2
	v_cmpx_gt_u32_e32 0x43800000, v3
	s_cbranch_execz .LBB6_98
; %bb.93:
	v_cmp_lt_u32_e32 vcc_lo, 0x3bffffff, v3
	s_mov_b32 s18, 0
                                        ; implicit-def: $vgpr3
	s_and_saveexec_b32 s19, vcc_lo
	s_xor_b32 s19, exec_lo, s19
	s_cbranch_execz .LBB6_326
; %bb.94:
	v_bfe_u32 v3, v2, 20, 1
	s_mov_b32 s18, exec_lo
	v_add3_u32 v3, v2, v3, 0x487ffff
	v_lshrrev_b32_e32 v3, 20, v3
	s_andn2_saveexec_b32 s19, s19
	s_cbranch_execnz .LBB6_327
.LBB6_95:
	s_or_b32 exec_lo, exec_lo, s19
	v_mov_b32_e32 v6, 0
	s_and_saveexec_b32 s19, s18
.LBB6_96:
	v_lshrrev_b32_e32 v2, 24, v2
	v_and_or_b32 v6, 0x80, v2, v3
.LBB6_97:
	s_or_b32 exec_lo, exec_lo, s19
.LBB6_98:
	s_or_b32 exec_lo, exec_lo, s0
	global_store_byte v[4:5], v6, off
.LBB6_99:
	s_mov_b32 s0, -1
.LBB6_100:
	s_mov_b32 s18, 0
.LBB6_101:
	s_and_b32 vcc_lo, exec_lo, s18
	s_cbranch_vccz .LBB6_142
; %bb.102:
	s_cmp_gt_i32 s17, 22
	s_mov_b32 s18, -1
	s_cbranch_scc0 .LBB6_134
; %bb.103:
	s_cmp_lt_i32 s17, 24
	s_mov_b32 s0, -1
	s_cbranch_scc1 .LBB6_123
; %bb.104:
	s_cmp_gt_i32 s17, 24
	s_cbranch_scc0 .LBB6_112
; %bb.105:
	v_cvt_f32_f64_e32 v2, v[0:1]
	v_mov_b32_e32 v6, 0x80
	s_mov_b32 s0, exec_lo
	v_and_b32_e32 v3, 0x7fffffff, v2
	v_cmpx_gt_u32_e32 0x47800000, v3
	s_cbranch_execz .LBB6_111
; %bb.106:
	v_cmp_lt_u32_e32 vcc_lo, 0x37ffffff, v3
	s_mov_b32 s18, 0
                                        ; implicit-def: $vgpr3
	s_and_saveexec_b32 s19, vcc_lo
	s_xor_b32 s19, exec_lo, s19
	s_cbranch_execz .LBB6_330
; %bb.107:
	v_bfe_u32 v3, v2, 21, 1
	s_mov_b32 s18, exec_lo
	v_add3_u32 v3, v2, v3, 0x88fffff
	v_lshrrev_b32_e32 v3, 21, v3
	s_andn2_saveexec_b32 s19, s19
	s_cbranch_execnz .LBB6_331
.LBB6_108:
	s_or_b32 exec_lo, exec_lo, s19
	v_mov_b32_e32 v6, 0
	s_and_saveexec_b32 s19, s18
.LBB6_109:
	v_lshrrev_b32_e32 v2, 24, v2
	v_and_or_b32 v6, 0x80, v2, v3
.LBB6_110:
	s_or_b32 exec_lo, exec_lo, s19
.LBB6_111:
	s_or_b32 exec_lo, exec_lo, s0
	s_mov_b32 s0, 0
	global_store_byte v[4:5], v6, off
.LBB6_112:
	s_and_b32 vcc_lo, exec_lo, s0
	s_cbranch_vccz .LBB6_122
; %bb.113:
	v_cvt_f32_f64_e32 v2, v[0:1]
	s_mov_b32 s0, exec_lo
                                        ; implicit-def: $vgpr3
	v_and_b32_e32 v6, 0x7fffffff, v2
	v_cmpx_gt_u32_e32 0x43f00000, v6
	s_xor_b32 s0, exec_lo, s0
	s_cbranch_execz .LBB6_119
; %bb.114:
	s_mov_b32 s18, exec_lo
                                        ; implicit-def: $vgpr3
	v_cmpx_lt_u32_e32 0x3c7fffff, v6
	s_xor_b32 s18, exec_lo, s18
; %bb.115:
	v_bfe_u32 v3, v2, 20, 1
	v_add3_u32 v3, v2, v3, 0x407ffff
	v_and_b32_e32 v6, 0xff00000, v3
	v_lshrrev_b32_e32 v3, 20, v3
	v_cmp_ne_u32_e32 vcc_lo, 0x7f00000, v6
	v_cndmask_b32_e32 v3, 0x7e, v3, vcc_lo
; %bb.116:
	s_andn2_saveexec_b32 s18, s18
; %bb.117:
	v_add_f32_e64 v3, 0x46800000, |v2|
; %bb.118:
	s_or_b32 exec_lo, exec_lo, s18
                                        ; implicit-def: $vgpr6
.LBB6_119:
	s_andn2_saveexec_b32 s0, s0
; %bb.120:
	v_mov_b32_e32 v3, 0x7f
	v_cmp_lt_u32_e32 vcc_lo, 0x7f800000, v6
	v_cndmask_b32_e32 v3, 0x7e, v3, vcc_lo
; %bb.121:
	s_or_b32 exec_lo, exec_lo, s0
	v_lshrrev_b32_e32 v2, 24, v2
	v_and_or_b32 v2, 0x80, v2, v3
	global_store_byte v[4:5], v2, off
.LBB6_122:
	s_mov_b32 s0, 0
.LBB6_123:
	s_andn2_b32 vcc_lo, exec_lo, s0
	s_cbranch_vccnz .LBB6_133
; %bb.124:
	v_cvt_f32_f64_e32 v2, v[0:1]
	s_mov_b32 s0, exec_lo
                                        ; implicit-def: $vgpr3
	v_and_b32_e32 v6, 0x7fffffff, v2
	v_cmpx_gt_u32_e32 0x47800000, v6
	s_xor_b32 s0, exec_lo, s0
	s_cbranch_execz .LBB6_130
; %bb.125:
	s_mov_b32 s18, exec_lo
                                        ; implicit-def: $vgpr3
	v_cmpx_lt_u32_e32 0x387fffff, v6
	s_xor_b32 s18, exec_lo, s18
; %bb.126:
	v_bfe_u32 v3, v2, 21, 1
	v_add3_u32 v3, v2, v3, 0x80fffff
	v_lshrrev_b32_e32 v3, 21, v3
; %bb.127:
	s_andn2_saveexec_b32 s18, s18
; %bb.128:
	v_add_f32_e64 v3, 0x43000000, |v2|
; %bb.129:
	s_or_b32 exec_lo, exec_lo, s18
                                        ; implicit-def: $vgpr6
.LBB6_130:
	s_andn2_saveexec_b32 s0, s0
; %bb.131:
	v_mov_b32_e32 v3, 0x7f
	v_cmp_lt_u32_e32 vcc_lo, 0x7f800000, v6
	v_cndmask_b32_e32 v3, 0x7c, v3, vcc_lo
; %bb.132:
	s_or_b32 exec_lo, exec_lo, s0
	v_lshrrev_b32_e32 v2, 24, v2
	v_and_or_b32 v2, 0x80, v2, v3
	global_store_byte v[4:5], v2, off
.LBB6_133:
	s_mov_b32 s18, 0
	s_mov_b32 s0, -1
.LBB6_134:
	s_andn2_b32 vcc_lo, exec_lo, s18
	s_cbranch_vccnz .LBB6_142
; %bb.135:
	s_cmp_gt_i32 s17, 14
	s_mov_b32 s18, -1
	s_cbranch_scc0 .LBB6_139
; %bb.136:
	s_cmp_eq_u32 s17, 15
	s_mov_b32 s7, -1
	s_cbranch_scc0 .LBB6_138
; %bb.137:
	v_cvt_f32_f64_e32 v2, v[0:1]
	s_mov_b32 s0, -1
	s_mov_b32 s7, 0
	v_bfe_u32 v3, v2, 16, 1
	v_cmp_o_f32_e32 vcc_lo, v2, v2
	v_add3_u32 v2, v2, v3, 0x7fff
	v_mov_b32_e32 v3, 0x7fc0
	v_cndmask_b32_sdwa v2, v3, v2, vcc_lo dst_sel:DWORD dst_unused:UNUSED_PAD src0_sel:DWORD src1_sel:WORD_1
	global_store_short v[4:5], v2, off
.LBB6_138:
	s_mov_b32 s18, 0
.LBB6_139:
	s_and_b32 vcc_lo, exec_lo, s18
	s_cbranch_vccz .LBB6_142
; %bb.140:
	s_cmp_eq_u32 s17, 11
	s_mov_b32 s7, -1
	s_cbranch_scc0 .LBB6_142
; %bb.141:
	v_cmp_neq_f64_e32 vcc_lo, 0, v[0:1]
	s_mov_b32 s0, -1
	s_mov_b32 s7, 0
	v_cndmask_b32_e64 v2, 0, 1, vcc_lo
	global_store_byte v[4:5], v2, off
.LBB6_142:
.LBB6_143:
	s_andn2_b32 vcc_lo, exec_lo, s0
	s_cbranch_vccnz .LBB6_254
.LBB6_144:
	v_add_nc_u32_e32 v24, 0x80, v24
	s_mov_b32 s0, -1
	s_branch .LBB6_255
.LBB6_145:
	s_mov_b32 s13, -1
                                        ; implicit-def: $vgpr2_vgpr3
.LBB6_146:
	s_mov_b32 s16, 0
.LBB6_147:
	s_and_b32 vcc_lo, exec_lo, s16
	s_cbranch_vccz .LBB6_151
; %bb.148:
	s_cmp_eq_u32 s0, 29
	s_cbranch_scc0 .LBB6_150
; %bb.149:
	global_load_dwordx2 v[2:3], v[0:1], off
	s_mov_b32 s7, -1
	s_mov_b32 s13, 0
	s_mov_b32 s16, 0
	s_waitcnt vmcnt(0)
	v_cvt_f64_u32_e32 v[3:4], v3
	v_cvt_f64_u32_e32 v[5:6], v2
	v_ldexp_f64 v[3:4], v[3:4], 32
	v_add_f64 v[2:3], v[3:4], v[5:6]
	s_branch .LBB6_152
.LBB6_150:
	s_mov_b32 s13, -1
                                        ; implicit-def: $vgpr2_vgpr3
.LBB6_151:
	s_mov_b32 s16, 0
.LBB6_152:
	s_and_b32 vcc_lo, exec_lo, s16
	s_cbranch_vccz .LBB6_172
; %bb.153:
	s_cmp_lt_i32 s0, 27
	s_cbranch_scc1 .LBB6_156
; %bb.154:
	s_cmp_gt_i32 s0, 27
	s_cbranch_scc0 .LBB6_157
; %bb.155:
	global_load_dword v2, v[0:1], off
	s_mov_b32 s7, 0
	s_waitcnt vmcnt(0)
	v_cvt_f64_u32_e32 v[2:3], v2
	s_branch .LBB6_158
.LBB6_156:
	s_mov_b32 s7, -1
                                        ; implicit-def: $vgpr2_vgpr3
	s_branch .LBB6_161
.LBB6_157:
	s_mov_b32 s7, -1
                                        ; implicit-def: $vgpr2_vgpr3
.LBB6_158:
	s_andn2_b32 vcc_lo, exec_lo, s7
	s_cbranch_vccnz .LBB6_160
; %bb.159:
	global_load_ushort v2, v[0:1], off
	s_waitcnt vmcnt(0)
	v_cvt_f64_u32_e32 v[2:3], v2
.LBB6_160:
	s_mov_b32 s7, 0
.LBB6_161:
	s_andn2_b32 vcc_lo, exec_lo, s7
	s_cbranch_vccnz .LBB6_171
; %bb.162:
	global_load_ubyte v4, v[0:1], off
	s_mov_b32 s7, 0
	s_mov_b32 s16, exec_lo
	s_waitcnt vmcnt(0)
	v_cmpx_lt_i16_e32 0x7f, v4
	s_xor_b32 s16, exec_lo, s16
	s_cbranch_execz .LBB6_166
; %bb.163:
	s_mov_b32 s7, -1
	s_mov_b32 s17, exec_lo
	v_cmpx_eq_u16_e32 0x80, v4
; %bb.164:
	s_xor_b32 s7, exec_lo, -1
; %bb.165:
	s_or_b32 exec_lo, exec_lo, s17
	s_and_b32 s7, s7, exec_lo
.LBB6_166:
	s_or_saveexec_b32 s16, s16
	v_bfrev_b32_e32 v2, 4
	v_mov_b32_e32 v3, 0x7ff80000
	s_xor_b32 exec_lo, exec_lo, s16
; %bb.167:
	v_cmp_ne_u16_e32 vcc_lo, 0, v4
	v_mov_b32_e32 v2, 0
	v_mov_b32_e32 v3, 0
	s_andn2_b32 s7, s7, exec_lo
	s_and_b32 s17, vcc_lo, exec_lo
	s_or_b32 s7, s7, s17
; %bb.168:
	s_or_b32 exec_lo, exec_lo, s16
	s_and_saveexec_b32 s16, s7
	s_cbranch_execz .LBB6_170
; %bb.169:
	v_and_b32_e32 v2, 0xffff, v4
	v_lshlrev_b32_e32 v4, 24, v4
	v_and_b32_e32 v3, 7, v2
	v_bfe_u32 v7, v2, 3, 4
	v_ffbh_u32_e32 v5, v3
	v_cmp_eq_u32_e32 vcc_lo, 0, v7
	v_min_u32_e32 v5, 32, v5
	v_subrev_nc_u32_e32 v6, 28, v5
	v_sub_nc_u32_e32 v5, 29, v5
	v_lshlrev_b32_e32 v2, v6, v2
	v_cndmask_b32_e32 v5, v7, v5, vcc_lo
	v_and_b32_e32 v2, 7, v2
	v_cndmask_b32_e32 v2, v3, v2, vcc_lo
	v_and_b32_e32 v3, 0x80000000, v4
	v_lshl_add_u32 v4, v5, 23, 0x3b800000
	v_lshlrev_b32_e32 v2, 20, v2
	v_or3_b32 v2, v3, v4, v2
	v_cvt_f64_f32_e32 v[2:3], v2
.LBB6_170:
	s_or_b32 exec_lo, exec_lo, s16
.LBB6_171:
	s_mov_b32 s7, -1
.LBB6_172:
	s_branch .LBB6_205
.LBB6_173:
	s_cmp_gt_i32 s0, 22
	s_cbranch_scc0 .LBB6_185
; %bb.174:
	s_cmp_lt_i32 s0, 24
	s_cbranch_scc1 .LBB6_186
; %bb.175:
	s_cmp_gt_i32 s0, 24
	s_cbranch_scc0 .LBB6_187
; %bb.176:
	global_load_ubyte v4, v[0:1], off
	s_mov_b32 s7, 0
	s_mov_b32 s16, exec_lo
	s_waitcnt vmcnt(0)
	v_cmpx_lt_i16_e32 0x7f, v4
	s_xor_b32 s16, exec_lo, s16
	s_cbranch_execz .LBB6_180
; %bb.177:
	s_mov_b32 s7, -1
	s_mov_b32 s17, exec_lo
	v_cmpx_eq_u16_e32 0x80, v4
; %bb.178:
	s_xor_b32 s7, exec_lo, -1
; %bb.179:
	s_or_b32 exec_lo, exec_lo, s17
	s_and_b32 s7, s7, exec_lo
.LBB6_180:
	s_or_saveexec_b32 s16, s16
	v_bfrev_b32_e32 v2, 4
	v_mov_b32_e32 v3, 0x7ff80000
	s_xor_b32 exec_lo, exec_lo, s16
; %bb.181:
	v_cmp_ne_u16_e32 vcc_lo, 0, v4
	v_mov_b32_e32 v2, 0
	v_mov_b32_e32 v3, 0
	s_andn2_b32 s7, s7, exec_lo
	s_and_b32 s17, vcc_lo, exec_lo
	s_or_b32 s7, s7, s17
; %bb.182:
	s_or_b32 exec_lo, exec_lo, s16
	s_and_saveexec_b32 s16, s7
	s_cbranch_execz .LBB6_184
; %bb.183:
	v_and_b32_e32 v2, 0xffff, v4
	v_lshlrev_b32_e32 v4, 24, v4
	v_and_b32_e32 v3, 3, v2
	v_bfe_u32 v7, v2, 2, 5
	v_ffbh_u32_e32 v5, v3
	v_cmp_eq_u32_e32 vcc_lo, 0, v7
	v_min_u32_e32 v5, 32, v5
	v_subrev_nc_u32_e32 v6, 29, v5
	v_sub_nc_u32_e32 v5, 30, v5
	v_lshlrev_b32_e32 v2, v6, v2
	v_cndmask_b32_e32 v5, v7, v5, vcc_lo
	v_and_b32_e32 v2, 3, v2
	v_cndmask_b32_e32 v2, v3, v2, vcc_lo
	v_and_b32_e32 v3, 0x80000000, v4
	v_lshl_add_u32 v4, v5, 23, 0x37800000
	v_lshlrev_b32_e32 v2, 21, v2
	v_or3_b32 v2, v3, v4, v2
	v_cvt_f64_f32_e32 v[2:3], v2
.LBB6_184:
	s_or_b32 exec_lo, exec_lo, s16
	s_mov_b32 s7, 0
	s_branch .LBB6_188
.LBB6_185:
	s_mov_b32 s16, -1
                                        ; implicit-def: $vgpr2_vgpr3
	s_branch .LBB6_194
.LBB6_186:
	s_mov_b32 s7, -1
                                        ; implicit-def: $vgpr2_vgpr3
	s_branch .LBB6_191
.LBB6_187:
	s_mov_b32 s7, -1
                                        ; implicit-def: $vgpr2_vgpr3
.LBB6_188:
	s_and_b32 vcc_lo, exec_lo, s7
	s_cbranch_vccz .LBB6_190
; %bb.189:
	global_load_ubyte v2, v[0:1], off
	s_waitcnt vmcnt(0)
	v_lshlrev_b32_e32 v2, 24, v2
	v_and_b32_e32 v3, 0x7f000000, v2
	v_ffbh_u32_e32 v4, v3
	v_add_nc_u32_e32 v6, 0x1000000, v3
	v_cmp_ne_u32_e32 vcc_lo, 0, v3
	v_min_u32_e32 v4, 32, v4
	v_sub_nc_u32_e64 v4, v4, 4 clamp
	v_lshlrev_b32_e32 v5, v4, v3
	v_lshlrev_b32_e32 v4, 23, v4
	v_lshrrev_b32_e32 v5, 4, v5
	v_sub_nc_u32_e32 v4, v5, v4
	v_ashrrev_i32_e32 v5, 8, v6
	v_add_nc_u32_e32 v4, 0x3c000000, v4
	v_and_or_b32 v4, 0x7f800000, v5, v4
	v_cndmask_b32_e32 v3, 0, v4, vcc_lo
	v_and_or_b32 v2, 0x80000000, v2, v3
	v_cvt_f64_f32_e32 v[2:3], v2
.LBB6_190:
	s_mov_b32 s7, 0
.LBB6_191:
	s_andn2_b32 vcc_lo, exec_lo, s7
	s_cbranch_vccnz .LBB6_193
; %bb.192:
	global_load_ubyte v2, v[0:1], off
	s_waitcnt vmcnt(0)
	v_lshlrev_b32_e32 v3, 25, v2
	v_lshlrev_b16 v2, 8, v2
	v_lshrrev_b32_e32 v4, 4, v3
	v_and_or_b32 v5, 0x7f00, v2, 0.5
	v_cmp_gt_u32_e32 vcc_lo, 0x8000000, v3
	v_bfe_i32 v2, v2, 0, 16
	v_or_b32_e32 v4, 0x70000000, v4
	v_add_f32_e32 v5, -0.5, v5
	v_mul_f32_e32 v4, 0x7800000, v4
	v_cndmask_b32_e32 v3, v4, v5, vcc_lo
	v_and_or_b32 v2, 0x80000000, v2, v3
	v_cvt_f64_f32_e32 v[2:3], v2
.LBB6_193:
	s_mov_b32 s16, 0
	s_mov_b32 s7, -1
.LBB6_194:
	s_andn2_b32 vcc_lo, exec_lo, s16
	s_cbranch_vccnz .LBB6_205
; %bb.195:
	s_cmp_gt_i32 s0, 14
	s_cbranch_scc0 .LBB6_198
; %bb.196:
	s_cmp_eq_u32 s0, 15
	s_cbranch_scc0 .LBB6_199
; %bb.197:
	global_load_ushort v2, v[0:1], off
	s_mov_b32 s7, -1
	s_mov_b32 s13, 0
	s_waitcnt vmcnt(0)
	v_lshlrev_b32_e32 v2, 16, v2
	v_cvt_f64_f32_e32 v[2:3], v2
	s_branch .LBB6_200
.LBB6_198:
	s_mov_b32 s16, -1
                                        ; implicit-def: $vgpr2_vgpr3
	s_branch .LBB6_201
.LBB6_199:
	s_mov_b32 s13, -1
                                        ; implicit-def: $vgpr2_vgpr3
.LBB6_200:
	s_mov_b32 s16, 0
.LBB6_201:
	s_and_b32 vcc_lo, exec_lo, s16
	s_cbranch_vccz .LBB6_205
; %bb.202:
	s_cmp_eq_u32 s0, 11
	s_cbranch_scc0 .LBB6_204
; %bb.203:
	global_load_ubyte v2, v[0:1], off
	s_mov_b32 s13, 0
	s_mov_b32 s7, -1
	s_waitcnt vmcnt(0)
	v_cmp_ne_u16_e32 vcc_lo, 0, v2
	v_mov_b32_e32 v2, 0
	v_cndmask_b32_e64 v3, 0, 0x3ff00000, vcc_lo
	s_branch .LBB6_205
.LBB6_204:
	s_mov_b32 s13, -1
                                        ; implicit-def: $vgpr2_vgpr3
.LBB6_205:
	s_branch .LBB6_10
.LBB6_206:
	s_cmp_lt_i32 s0, 5
	s_cbranch_scc1 .LBB6_211
; %bb.207:
	s_cmp_lt_i32 s0, 8
	s_cbranch_scc1 .LBB6_212
; %bb.208:
	;; [unrolled: 3-line block ×3, first 2 shown]
	s_cmp_gt_i32 s0, 9
	s_cbranch_scc0 .LBB6_214
; %bb.210:
	global_load_dwordx2 v[2:3], v[0:1], off
	s_mov_b32 s7, 0
	s_branch .LBB6_215
.LBB6_211:
                                        ; implicit-def: $vgpr2_vgpr3
	s_branch .LBB6_233
.LBB6_212:
	s_mov_b32 s7, -1
                                        ; implicit-def: $vgpr2_vgpr3
	s_branch .LBB6_221
.LBB6_213:
	s_mov_b32 s7, -1
                                        ; implicit-def: $vgpr2_vgpr3
	s_branch .LBB6_218
.LBB6_214:
	s_mov_b32 s7, -1
                                        ; implicit-def: $vgpr2_vgpr3
.LBB6_215:
	s_andn2_b32 vcc_lo, exec_lo, s7
	s_cbranch_vccnz .LBB6_217
; %bb.216:
	global_load_dword v2, v[0:1], off
	s_waitcnt vmcnt(0)
	v_cvt_f64_f32_e32 v[2:3], v2
.LBB6_217:
	s_mov_b32 s7, 0
.LBB6_218:
	s_andn2_b32 vcc_lo, exec_lo, s7
	s_cbranch_vccnz .LBB6_220
; %bb.219:
	global_load_dword v2, v[0:1], off
	s_waitcnt vmcnt(0)
	v_cvt_f32_f16_e32 v2, v2
	v_cvt_f64_f32_e32 v[2:3], v2
.LBB6_220:
	s_mov_b32 s7, 0
.LBB6_221:
	s_andn2_b32 vcc_lo, exec_lo, s7
	s_cbranch_vccnz .LBB6_232
; %bb.222:
	s_cmp_lt_i32 s0, 6
	s_cbranch_scc1 .LBB6_225
; %bb.223:
	s_cmp_gt_i32 s0, 6
	s_cbranch_scc0 .LBB6_226
; %bb.224:
	global_load_dwordx2 v[2:3], v[0:1], off
	s_mov_b32 s7, 0
	s_branch .LBB6_227
.LBB6_225:
	s_mov_b32 s7, -1
                                        ; implicit-def: $vgpr2_vgpr3
	s_branch .LBB6_230
.LBB6_226:
	s_mov_b32 s7, -1
                                        ; implicit-def: $vgpr2_vgpr3
.LBB6_227:
	s_andn2_b32 vcc_lo, exec_lo, s7
	s_cbranch_vccnz .LBB6_229
; %bb.228:
	global_load_dword v2, v[0:1], off
	s_waitcnt vmcnt(0)
	v_cvt_f64_f32_e32 v[2:3], v2
.LBB6_229:
	s_mov_b32 s7, 0
.LBB6_230:
	s_andn2_b32 vcc_lo, exec_lo, s7
	s_cbranch_vccnz .LBB6_232
; %bb.231:
	global_load_ushort v2, v[0:1], off
	s_waitcnt vmcnt(0)
	v_cvt_f32_f16_e32 v2, v2
	v_cvt_f64_f32_e32 v[2:3], v2
.LBB6_232:
	s_cbranch_execnz .LBB6_252
.LBB6_233:
	s_cmp_lt_i32 s0, 2
	s_cbranch_scc1 .LBB6_237
; %bb.234:
	s_cmp_lt_i32 s0, 3
	s_cbranch_scc1 .LBB6_238
; %bb.235:
	s_cmp_gt_i32 s0, 3
	s_cbranch_scc0 .LBB6_239
; %bb.236:
	global_load_dwordx2 v[2:3], v[0:1], off
	s_mov_b32 s7, 0
	s_waitcnt vmcnt(0)
	v_cvt_f64_i32_e32 v[3:4], v3
	v_cvt_f64_u32_e32 v[5:6], v2
	v_ldexp_f64 v[3:4], v[3:4], 32
	v_add_f64 v[2:3], v[3:4], v[5:6]
	s_branch .LBB6_240
.LBB6_237:
	s_mov_b32 s7, -1
                                        ; implicit-def: $vgpr2_vgpr3
	s_branch .LBB6_246
.LBB6_238:
	s_mov_b32 s7, -1
                                        ; implicit-def: $vgpr2_vgpr3
	s_branch .LBB6_243
.LBB6_239:
	s_mov_b32 s7, -1
                                        ; implicit-def: $vgpr2_vgpr3
.LBB6_240:
	s_andn2_b32 vcc_lo, exec_lo, s7
	s_cbranch_vccnz .LBB6_242
; %bb.241:
	global_load_dword v2, v[0:1], off
	s_waitcnt vmcnt(0)
	v_cvt_f64_i32_e32 v[2:3], v2
.LBB6_242:
	s_mov_b32 s7, 0
.LBB6_243:
	s_andn2_b32 vcc_lo, exec_lo, s7
	s_cbranch_vccnz .LBB6_245
; %bb.244:
	global_load_sshort v2, v[0:1], off
	s_waitcnt vmcnt(0)
	v_cvt_f64_i32_e32 v[2:3], v2
.LBB6_245:
	s_mov_b32 s7, 0
.LBB6_246:
	s_andn2_b32 vcc_lo, exec_lo, s7
	s_cbranch_vccnz .LBB6_252
; %bb.247:
	s_cmp_gt_i32 s0, 0
	s_mov_b32 s0, 0
	s_cbranch_scc0 .LBB6_249
; %bb.248:
	global_load_sbyte v2, v[0:1], off
	s_waitcnt vmcnt(0)
	v_cvt_f64_i32_e32 v[2:3], v2
	s_branch .LBB6_250
.LBB6_249:
	s_mov_b32 s0, -1
                                        ; implicit-def: $vgpr2_vgpr3
.LBB6_250:
	s_andn2_b32 vcc_lo, exec_lo, s0
	s_cbranch_vccnz .LBB6_252
; %bb.251:
	global_load_ubyte v0, v[0:1], off
	s_waitcnt vmcnt(0)
	v_cvt_f64_u32_e32 v[2:3], v0
.LBB6_252:
	s_branch .LBB6_11
.LBB6_253:
	s_mov_b32 s7, 0
.LBB6_254:
	s_mov_b32 s0, 0
                                        ; implicit-def: $vgpr24
.LBB6_255:
	s_and_b32 s7, s7, exec_lo
	s_and_b32 s13, s13, exec_lo
	s_orn2_b32 s17, s0, exec_lo
.LBB6_256:
	s_or_b32 exec_lo, exec_lo, s14
	s_mov_b32 s16, 0
	s_mov_b32 s0, 0
                                        ; implicit-def: $vgpr0_vgpr1
                                        ; implicit-def: $vgpr2_vgpr3
	s_and_saveexec_b32 s14, s17
	s_cbranch_execz .LBB6_265
; %bb.257:
	s_mov_b32 s0, -1
	s_mov_b32 s15, s13
	s_mov_b32 s16, s7
	s_mov_b32 s17, exec_lo
	v_cmpx_gt_i32_e64 s12, v24
	s_cbranch_execz .LBB6_522
; %bb.258:
	v_mul_lo_u32 v0, v24, s3
	s_and_b32 s0, 0xffff, s5
	s_cmp_lt_i32 s0, 11
	v_ashrrev_i32_e32 v1, 31, v0
	v_add_co_u32 v0, vcc_lo, s10, v0
	v_add_co_ci_u32_e64 v1, null, s11, v1, vcc_lo
	s_cbranch_scc1 .LBB6_268
; %bb.259:
	s_cmp_gt_i32 s0, 25
	s_cbranch_scc0 .LBB6_321
; %bb.260:
	s_cmp_gt_i32 s0, 28
	s_cbranch_scc0 .LBB6_322
	;; [unrolled: 3-line block ×4, first 2 shown]
; %bb.263:
	s_cmp_eq_u32 s0, 46
	s_mov_b32 s18, 0
	s_cbranch_scc0 .LBB6_332
; %bb.264:
	global_load_dword v2, v[0:1], off
	s_mov_b32 s16, -1
	s_mov_b32 s15, 0
	s_waitcnt vmcnt(0)
	v_lshlrev_b32_e32 v2, 16, v2
	v_cvt_f64_f32_e32 v[2:3], v2
	s_branch .LBB6_334
.LBB6_265:
	s_or_b32 exec_lo, exec_lo, s14
	s_mov_b32 s12, 0
	s_and_saveexec_b32 s14, s13
	s_cbranch_execnz .LBB6_873
.LBB6_266:
	s_or_b32 exec_lo, exec_lo, s14
	s_and_saveexec_b32 s13, s15
	s_xor_b32 s13, exec_lo, s13
	s_cbranch_execz .LBB6_874
.LBB6_267:
	global_load_ubyte v2, v[0:1], off
	s_or_b32 s0, s0, exec_lo
	s_waitcnt vmcnt(0)
	v_cmp_ne_u16_e32 vcc_lo, 0, v2
	v_mov_b32_e32 v2, 0
	v_cndmask_b32_e64 v3, 0, 0x3ff00000, vcc_lo
	s_or_b32 exec_lo, exec_lo, s13
	s_and_saveexec_b32 s13, s16
	s_cbranch_execz .LBB6_920
	s_branch .LBB6_875
.LBB6_268:
	s_mov_b32 s16, 0
	s_mov_b32 s15, s13
                                        ; implicit-def: $vgpr2_vgpr3
	s_cbranch_execnz .LBB6_471
.LBB6_269:
	s_andn2_b32 vcc_lo, exec_lo, s16
	s_cbranch_vccnz .LBB6_519
.LBB6_270:
	s_waitcnt vmcnt(0)
	v_cmp_ngt_f64_e64 s0, 0x41d00000, |v[2:3]|
                                        ; implicit-def: $vgpr6
                                        ; implicit-def: $vgpr0_vgpr1
                                        ; implicit-def: $vgpr4_vgpr5
	s_and_saveexec_b32 s16, s0
	s_xor_b32 s0, exec_lo, s16
	s_cbranch_execz .LBB6_272
; %bb.271:
	v_ldexp_f64 v[0:1], |v[2:3]|, 0xffffff80
	v_cmp_le_f64_e64 vcc_lo, 0x7b000000, |v[2:3]|
	v_trig_preop_f64 v[4:5], |v[2:3]|, 0
	v_and_b32_e32 v6, 0x7fffffff, v3
	v_trig_preop_f64 v[16:17], |v[2:3]|, 2
	v_mov_b32_e32 v25, 0
	s_mov_b32 s18, 0x54442d18
	s_mov_b32 s19, 0x3ff921fb
	;; [unrolled: 1-line block ×4, first 2 shown]
	v_cndmask_b32_e32 v1, v6, v1, vcc_lo
	v_cndmask_b32_e32 v0, v2, v0, vcc_lo
	v_trig_preop_f64 v[6:7], |v[2:3]|, 1
	v_mul_f64 v[8:9], v[4:5], v[0:1]
	v_mul_f64 v[22:23], v[16:17], v[0:1]
	;; [unrolled: 1-line block ×3, first 2 shown]
	v_fma_f64 v[4:5], v[4:5], v[0:1], -v[8:9]
	v_fma_f64 v[6:7], v[6:7], v[0:1], -v[10:11]
	;; [unrolled: 1-line block ×3, first 2 shown]
	v_add_f64 v[12:13], v[10:11], v[4:5]
	v_add_f64 v[14:15], v[12:13], -v[10:11]
	v_add_f64 v[20:21], v[8:9], v[12:13]
	v_add_f64 v[18:19], v[12:13], -v[14:15]
	v_add_f64 v[4:5], v[4:5], -v[14:15]
	v_ldexp_f64 v[14:15], v[20:21], -2
	v_add_f64 v[8:9], v[20:21], -v[8:9]
	v_add_f64 v[10:11], v[10:11], -v[18:19]
	v_add_f64 v[18:19], v[22:23], v[6:7]
	v_cmp_neq_f64_e64 vcc_lo, 0x7ff00000, |v[14:15]|
	v_add_f64 v[8:9], v[12:13], -v[8:9]
	v_add_f64 v[4:5], v[4:5], v[10:11]
	v_fract_f64_e32 v[10:11], v[14:15]
	v_add_f64 v[12:13], v[18:19], v[4:5]
	v_ldexp_f64 v[10:11], v[10:11], 2
	v_add_f64 v[14:15], v[8:9], v[12:13]
	v_cndmask_b32_e32 v11, 0, v11, vcc_lo
	v_cndmask_b32_e32 v10, 0, v10, vcc_lo
	v_add_f64 v[20:21], v[14:15], v[10:11]
	v_add_f64 v[8:9], v[14:15], -v[8:9]
	v_cmp_gt_f64_e32 vcc_lo, 0, v[20:21]
	v_add_f64 v[20:21], v[18:19], -v[22:23]
	v_cndmask_b32_e64 v26, 0, 0x40100000, vcc_lo
	v_add_f64 v[30:31], v[18:19], -v[20:21]
	v_add_f64 v[6:7], v[6:7], -v[20:21]
	v_add_f64 v[10:11], v[10:11], v[25:26]
	v_add_f64 v[26:27], v[12:13], -v[18:19]
	v_add_f64 v[20:21], v[22:23], -v[30:31]
	v_add_f64 v[28:29], v[14:15], v[10:11]
	v_add_f64 v[32:33], v[12:13], -v[26:27]
	v_add_f64 v[4:5], v[4:5], -v[26:27]
	v_add_f64 v[6:7], v[6:7], v[20:21]
	v_cvt_i32_f64_e32 v28, v[28:29]
	v_add_f64 v[18:19], v[18:19], -v[32:33]
	v_cvt_f64_i32_e32 v[26:27], v28
	v_add_f64 v[4:5], v[4:5], v[18:19]
	v_add_f64 v[10:11], v[10:11], -v[26:27]
	v_add_f64 v[4:5], v[6:7], v[4:5]
	v_add_f64 v[6:7], v[12:13], -v[8:9]
	v_add_f64 v[16:17], v[14:15], v[10:11]
	v_add_f64 v[0:1], v[0:1], v[4:5]
	v_add_f64 v[4:5], v[16:17], -v[10:11]
	v_cmp_le_f64_e32 vcc_lo, 0.5, v[16:17]
	v_add_f64 v[0:1], v[6:7], v[0:1]
	v_add_f64 v[4:5], v[14:15], -v[4:5]
	v_cndmask_b32_e64 v26, 0, 0x3ff00000, vcc_lo
	v_add_co_ci_u32_e64 v6, null, 0, v28, vcc_lo
	v_add_f64 v[0:1], v[0:1], v[4:5]
	v_add_f64 v[4:5], v[16:17], -v[25:26]
	v_add_f64 v[7:8], v[4:5], v[0:1]
	v_mul_f64 v[9:10], v[7:8], s[18:19]
	v_add_f64 v[4:5], v[7:8], -v[4:5]
	v_fma_f64 v[11:12], v[7:8], s[18:19], -v[9:10]
	v_add_f64 v[0:1], v[0:1], -v[4:5]
	v_fma_f64 v[4:5], v[7:8], s[20:21], v[11:12]
	v_fma_f64 v[4:5], v[0:1], s[18:19], v[4:5]
	v_add_f64 v[0:1], v[9:10], v[4:5]
	v_add_f64 v[7:8], v[0:1], -v[9:10]
	v_add_f64 v[4:5], v[4:5], -v[7:8]
.LBB6_272:
	s_andn2_saveexec_b32 s0, s0
	s_cbranch_execz .LBB6_274
; %bb.273:
	s_mov_b32 s18, 0x6dc9c883
	s_mov_b32 s19, 0x3fe45f30
	;; [unrolled: 1-line block ×3, first 2 shown]
	v_mul_f64 v[0:1], |v[2:3]|, s[18:19]
	s_mov_b32 s18, 0x54442d18
	s_mov_b32 s19, 0xbff921fb
	s_mov_b32 s20, 0x33145c00
	v_rndne_f64_e32 v[6:7], v[0:1]
	v_fma_f64 v[0:1], v[6:7], s[18:19], |v[2:3]|
	v_mul_f64 v[4:5], v[6:7], s[20:21]
	s_mov_b32 s18, 0x252049c0
	s_mov_b32 s19, 0xb97b839a
	v_fma_f64 v[10:11], v[6:7], s[20:21], v[0:1]
	v_add_f64 v[8:9], v[0:1], v[4:5]
	s_mov_b32 s21, 0x3c91a626
	v_add_f64 v[0:1], v[0:1], -v[8:9]
	v_add_f64 v[8:9], v[8:9], -v[10:11]
	v_add_f64 v[0:1], v[0:1], v[4:5]
	v_fma_f64 v[4:5], v[6:7], s[20:21], v[4:5]
	v_add_f64 v[0:1], v[8:9], v[0:1]
	v_add_f64 v[0:1], v[0:1], -v[4:5]
	v_fma_f64 v[4:5], v[6:7], s[18:19], v[0:1]
	v_cvt_i32_f64_e32 v6, v[6:7]
	v_add_f64 v[0:1], v[10:11], v[4:5]
	v_add_f64 v[8:9], v[0:1], -v[10:11]
	v_add_f64 v[4:5], v[4:5], -v[8:9]
.LBB6_274:
	s_or_b32 exec_lo, exec_lo, s0
	v_mul_f64 v[7:8], v[0:1], v[0:1]
	s_mov_b32 s18, 0xb42fdfa7
	s_mov_b32 s20, 0xf9a43bb8
	;; [unrolled: 1-line block ×6, first 2 shown]
	v_mul_f64 v[17:18], v[4:5], 0.5
	v_cmp_class_f64_e64 s0, v[2:3], 0x1f8
	v_lshlrev_b32_e32 v2, 30, v6
	s_and_b32 s16, s1, 0xff
	s_cmp_lt_i32 s16, 11
	v_xor_b32_e32 v2, v2, v3
	v_mul_lo_u32 v3, v24, s2
	v_and_b32_e32 v2, 0x80000000, v2
	v_fma_f64 v[9:10], v[7:8], s[20:21], s[18:19]
	s_mov_b32 s18, 0x9037ab78
	s_mov_b32 s20, 0x46cc5e42
	;; [unrolled: 1-line block ×4, first 2 shown]
	v_mul_f64 v[13:14], v[7:8], 0.5
	v_fma_f64 v[11:12], v[7:8], s[20:21], s[18:19]
	s_mov_b32 s18, 0xa17f65f6
	s_mov_b32 s20, 0x19e83e5c
	;; [unrolled: 1-line block ×4, first 2 shown]
	v_mul_f64 v[19:20], v[0:1], -v[7:8]
	v_fma_f64 v[9:10], v[7:8], v[9:10], s[22:23]
	v_add_f64 v[15:16], -v[13:14], 1.0
	v_fma_f64 v[11:12], v[7:8], v[11:12], s[18:19]
	s_mov_b32 s18, 0x19f4ec90
	s_mov_b32 s19, 0x3efa01a0
	v_fma_f64 v[9:10], v[7:8], v[9:10], s[20:21]
	s_mov_b32 s20, 0x11110bb3
	s_mov_b32 s21, 0x3f811111
	v_add_f64 v[21:22], -v[15:16], 1.0
	v_fma_f64 v[11:12], v[7:8], v[11:12], s[18:19]
	s_mov_b32 s18, 0x16c16967
	s_mov_b32 s19, 0xbf56c16c
	v_fma_f64 v[9:10], v[7:8], v[9:10], s[20:21]
	v_add_f64 v[13:14], v[21:22], -v[13:14]
	v_fma_f64 v[11:12], v[7:8], v[11:12], s[18:19]
	s_mov_b32 s19, 0x3fa55555
	s_mov_b32 s18, 0x55555555
	v_fma_f64 v[9:10], v[19:20], v[9:10], v[17:18]
	v_mul_f64 v[17:18], v[7:8], v[7:8]
	v_fma_f64 v[13:14], v[0:1], -v[4:5], v[13:14]
	v_fma_f64 v[11:12], v[7:8], v[11:12], s[18:19]
	s_mov_b32 s19, 0xbfc55555
	v_fma_f64 v[4:5], v[7:8], v[9:10], -v[4:5]
	v_fma_f64 v[7:8], v[17:18], v[11:12], v[13:14]
	v_fma_f64 v[4:5], v[19:20], s[18:19], v[4:5]
	s_mov_b32 s19, 0
	s_mov_b32 s18, -1
	v_add_f64 v[7:8], v[15:16], v[7:8]
	v_add_f64 v[0:1], v[0:1], -v[4:5]
	v_and_b32_e32 v4, 1, v6
	v_ashrrev_i32_e32 v5, 31, v3
	v_cmp_eq_u32_e32 vcc_lo, 0, v4
	v_cndmask_b32_e32 v1, v8, v1, vcc_lo
	v_cndmask_b32_e32 v0, v7, v0, vcc_lo
	v_add_co_u32 v4, vcc_lo, s8, v3
	v_add_co_ci_u32_e64 v5, null, s9, v5, vcc_lo
	v_xor_b32_e32 v1, v1, v2
	v_cndmask_b32_e64 v0, 0, v0, s0
	v_cndmask_b32_e64 v1, 0x7ff80000, v1, s0
	s_mov_b32 s0, s7
	s_cbranch_scc1 .LBB6_281
; %bb.275:
	s_and_b32 s18, 0xffff, s16
	s_cmp_gt_i32 s18, 25
	s_cbranch_scc0 .LBB6_323
; %bb.276:
	s_cmp_gt_i32 s18, 28
	s_cbranch_scc0 .LBB6_325
; %bb.277:
	;; [unrolled: 3-line block ×4, first 2 shown]
	s_mov_b32 s20, 0
	s_mov_b32 s0, -1
	s_cmp_eq_u32 s18, 46
	s_cbranch_scc0 .LBB6_338
; %bb.280:
	v_cvt_f32_f64_e32 v2, v[0:1]
	s_mov_b32 s19, -1
	s_mov_b32 s0, 0
	v_bfe_u32 v3, v2, 16, 1
	v_cmp_o_f32_e32 vcc_lo, v2, v2
	v_add3_u32 v2, v2, v3, 0x7fff
	v_mov_b32_e32 v3, 0x7fc0
	v_cndmask_b32_sdwa v2, v3, v2, vcc_lo dst_sel:DWORD dst_unused:UNUSED_PAD src0_sel:DWORD src1_sel:WORD_1
	global_store_dword v[4:5], v2, off
	s_branch .LBB6_338
.LBB6_281:
	s_and_b32 vcc_lo, exec_lo, s18
	s_cbranch_vccz .LBB6_407
; %bb.282:
	s_and_b32 s16, 0xffff, s16
	s_mov_b32 s18, -1
	s_cmp_lt_i32 s16, 5
	s_cbranch_scc1 .LBB6_303
; %bb.283:
	s_cmp_lt_i32 s16, 8
	s_cbranch_scc1 .LBB6_293
; %bb.284:
	;; [unrolled: 3-line block ×3, first 2 shown]
	s_cmp_gt_i32 s16, 9
	s_cbranch_scc0 .LBB6_287
; %bb.286:
	v_mov_b32_e32 v2, 0
	s_mov_b32 s18, 0
	v_mov_b32_e32 v3, v2
	global_store_dwordx4 v[4:5], v[0:3], off
.LBB6_287:
	s_andn2_b32 vcc_lo, exec_lo, s18
	s_cbranch_vccnz .LBB6_289
; %bb.288:
	v_cvt_f32_f64_e32 v2, v[0:1]
	v_mov_b32_e32 v3, 0
	global_store_dwordx2 v[4:5], v[2:3], off
.LBB6_289:
	s_mov_b32 s18, 0
.LBB6_290:
	s_andn2_b32 vcc_lo, exec_lo, s18
	s_cbranch_vccnz .LBB6_292
; %bb.291:
	v_and_or_b32 v2, 0x1ff, v1, v0
	v_lshrrev_b32_e32 v3, 8, v1
	v_bfe_u32 v6, v1, 20, 11
	v_cmp_ne_u32_e32 vcc_lo, 0, v2
	v_sub_nc_u32_e32 v7, 0x3f1, v6
	v_add_nc_u32_e32 v6, 0xfffffc10, v6
	v_cndmask_b32_e64 v2, 0, 1, vcc_lo
	v_and_or_b32 v2, 0xffe, v3, v2
	v_med3_i32 v3, v7, 0, 13
	v_or_b32_e32 v7, 0x1000, v2
	v_lshrrev_b32_e32 v8, v3, v7
	v_lshlrev_b32_e32 v3, v3, v8
	v_cmp_ne_u32_e32 vcc_lo, v3, v7
	v_lshl_or_b32 v7, v6, 12, v2
	v_cndmask_b32_e64 v3, 0, 1, vcc_lo
	v_cmp_gt_i32_e32 vcc_lo, 1, v6
	v_or_b32_e32 v3, v8, v3
	v_cndmask_b32_e32 v3, v7, v3, vcc_lo
	v_and_b32_e32 v7, 7, v3
	v_lshrrev_b32_e32 v3, 2, v3
	v_cmp_lt_i32_e32 vcc_lo, 5, v7
	v_cndmask_b32_e64 v8, 0, 1, vcc_lo
	v_cmp_eq_u32_e32 vcc_lo, 3, v7
	v_cndmask_b32_e64 v7, 0, 1, vcc_lo
	v_cmp_ne_u32_e32 vcc_lo, 0, v2
	v_or_b32_e32 v7, v7, v8
	v_mov_b32_e32 v8, 0x7e00
	v_add_nc_u32_e32 v3, v3, v7
	v_cndmask_b32_e32 v2, 0x7c00, v8, vcc_lo
	v_cmp_gt_i32_e32 vcc_lo, 31, v6
	v_cndmask_b32_e32 v3, 0x7c00, v3, vcc_lo
	v_cmp_eq_u32_e32 vcc_lo, 0x40f, v6
	v_cndmask_b32_e32 v2, v3, v2, vcc_lo
	v_lshrrev_b32_e32 v3, 16, v1
	v_and_or_b32 v2, 0x8000, v3, v2
	v_and_b32_e32 v2, 0xffff, v2
	global_store_dword v[4:5], v2, off
.LBB6_292:
	s_mov_b32 s18, 0
.LBB6_293:
	s_andn2_b32 vcc_lo, exec_lo, s18
	s_cbranch_vccnz .LBB6_302
; %bb.294:
	s_cmp_lt_i32 s16, 6
	s_mov_b32 s18, -1
	s_cbranch_scc1 .LBB6_300
; %bb.295:
	s_cmp_gt_i32 s16, 6
	s_cbranch_scc0 .LBB6_297
; %bb.296:
	s_mov_b32 s18, 0
	global_store_dwordx2 v[4:5], v[0:1], off
.LBB6_297:
	s_andn2_b32 vcc_lo, exec_lo, s18
	s_cbranch_vccnz .LBB6_299
; %bb.298:
	v_cvt_f32_f64_e32 v2, v[0:1]
	global_store_dword v[4:5], v2, off
.LBB6_299:
	s_mov_b32 s18, 0
.LBB6_300:
	s_andn2_b32 vcc_lo, exec_lo, s18
	s_cbranch_vccnz .LBB6_302
; %bb.301:
	v_and_or_b32 v2, 0x1ff, v1, v0
	v_lshrrev_b32_e32 v3, 8, v1
	v_bfe_u32 v6, v1, 20, 11
	v_cmp_ne_u32_e32 vcc_lo, 0, v2
	v_sub_nc_u32_e32 v7, 0x3f1, v6
	v_add_nc_u32_e32 v6, 0xfffffc10, v6
	v_cndmask_b32_e64 v2, 0, 1, vcc_lo
	v_and_or_b32 v2, 0xffe, v3, v2
	v_med3_i32 v3, v7, 0, 13
	v_or_b32_e32 v7, 0x1000, v2
	v_lshrrev_b32_e32 v8, v3, v7
	v_lshlrev_b32_e32 v3, v3, v8
	v_cmp_ne_u32_e32 vcc_lo, v3, v7
	v_lshl_or_b32 v7, v6, 12, v2
	v_cndmask_b32_e64 v3, 0, 1, vcc_lo
	v_cmp_gt_i32_e32 vcc_lo, 1, v6
	v_or_b32_e32 v3, v8, v3
	v_cndmask_b32_e32 v3, v7, v3, vcc_lo
	v_and_b32_e32 v7, 7, v3
	v_lshrrev_b32_e32 v3, 2, v3
	v_cmp_lt_i32_e32 vcc_lo, 5, v7
	v_cndmask_b32_e64 v8, 0, 1, vcc_lo
	v_cmp_eq_u32_e32 vcc_lo, 3, v7
	v_cndmask_b32_e64 v7, 0, 1, vcc_lo
	v_cmp_ne_u32_e32 vcc_lo, 0, v2
	v_or_b32_e32 v7, v7, v8
	v_mov_b32_e32 v8, 0x7e00
	v_add_nc_u32_e32 v3, v3, v7
	v_cndmask_b32_e32 v2, 0x7c00, v8, vcc_lo
	v_cmp_gt_i32_e32 vcc_lo, 31, v6
	v_cndmask_b32_e32 v3, 0x7c00, v3, vcc_lo
	v_cmp_eq_u32_e32 vcc_lo, 0x40f, v6
	v_cndmask_b32_e32 v2, v3, v2, vcc_lo
	v_lshrrev_b32_e32 v3, 16, v1
	v_and_or_b32 v2, 0x8000, v3, v2
	global_store_short v[4:5], v2, off
.LBB6_302:
	s_mov_b32 s18, 0
.LBB6_303:
	s_andn2_b32 vcc_lo, exec_lo, s18
	s_cbranch_vccnz .LBB6_319
; %bb.304:
	s_cmp_lt_i32 s16, 2
	s_mov_b32 s18, -1
	s_cbranch_scc1 .LBB6_314
; %bb.305:
	s_cmp_lt_i32 s16, 3
	s_cbranch_scc1 .LBB6_311
; %bb.306:
	s_cmp_gt_i32 s16, 3
	s_cbranch_scc0 .LBB6_308
; %bb.307:
	v_trunc_f64_e32 v[2:3], v[0:1]
	s_mov_b32 s18, 0
	v_ldexp_f64 v[6:7], v[2:3], 0xffffffe0
	v_floor_f64_e32 v[6:7], v[6:7]
	v_fma_f64 v[2:3], 0xc1f00000, v[6:7], v[2:3]
	v_cvt_i32_f64_e32 v7, v[6:7]
	v_cvt_u32_f64_e32 v6, v[2:3]
	global_store_dwordx2 v[4:5], v[6:7], off
.LBB6_308:
	s_andn2_b32 vcc_lo, exec_lo, s18
	s_cbranch_vccnz .LBB6_310
; %bb.309:
	v_cvt_i32_f64_e32 v2, v[0:1]
	global_store_dword v[4:5], v2, off
.LBB6_310:
	s_mov_b32 s18, 0
.LBB6_311:
	s_andn2_b32 vcc_lo, exec_lo, s18
	s_cbranch_vccnz .LBB6_313
; %bb.312:
	v_cvt_i32_f64_e32 v2, v[0:1]
	global_store_short v[4:5], v2, off
.LBB6_313:
	s_mov_b32 s18, 0
.LBB6_314:
	s_andn2_b32 vcc_lo, exec_lo, s18
	s_cbranch_vccnz .LBB6_319
; %bb.315:
	s_cmp_gt_i32 s16, 0
	s_mov_b32 s16, -1
	s_cbranch_scc0 .LBB6_317
; %bb.316:
	v_cvt_i32_f64_e32 v2, v[0:1]
	s_mov_b32 s16, 0
	global_store_byte v[4:5], v2, off
.LBB6_317:
	s_andn2_b32 vcc_lo, exec_lo, s16
	s_cbranch_vccnz .LBB6_319
; %bb.318:
	v_trunc_f64_e32 v[0:1], v[0:1]
	v_ldexp_f64 v[2:3], v[0:1], 0xffffffe0
	v_floor_f64_e32 v[2:3], v[2:3]
	v_fma_f64 v[0:1], 0xc1f00000, v[2:3], v[0:1]
	v_cvt_u32_f64_e32 v0, v[0:1]
	global_store_byte v[4:5], v0, off
.LBB6_319:
	s_branch .LBB6_408
.LBB6_320:
	s_mov_b32 s18, 0
	s_branch .LBB6_520
.LBB6_321:
	s_mov_b32 s18, -1
	s_mov_b32 s16, 0
	s_mov_b32 s15, s13
                                        ; implicit-def: $vgpr2_vgpr3
	s_branch .LBB6_437
.LBB6_322:
	s_mov_b32 s18, -1
	s_mov_b32 s16, 0
	s_mov_b32 s15, s13
                                        ; implicit-def: $vgpr2_vgpr3
	s_branch .LBB6_416
.LBB6_323:
	s_mov_b32 s20, -1
	s_mov_b32 s0, s7
	s_branch .LBB6_365
.LBB6_324:
	s_mov_b32 s18, -1
	s_mov_b32 s16, 0
	s_mov_b32 s15, s13
                                        ; implicit-def: $vgpr2_vgpr3
	s_branch .LBB6_411
.LBB6_325:
	s_mov_b32 s20, -1
	s_mov_b32 s0, s7
	s_branch .LBB6_348
.LBB6_326:
	s_andn2_saveexec_b32 s19, s19
	s_cbranch_execz .LBB6_95
.LBB6_327:
	v_add_f32_e64 v3, 0x46000000, |v2|
	s_andn2_b32 s18, s18, exec_lo
	v_and_b32_e32 v3, 0xff, v3
	v_cmp_ne_u32_e32 vcc_lo, 0, v3
	s_and_b32 s20, vcc_lo, exec_lo
	s_or_b32 s18, s18, s20
	s_or_b32 exec_lo, exec_lo, s19
	v_mov_b32_e32 v6, 0
	s_and_saveexec_b32 s19, s18
	s_cbranch_execnz .LBB6_96
	s_branch .LBB6_97
.LBB6_328:
	s_mov_b32 s18, -1
	s_mov_b32 s16, 0
	s_mov_b32 s15, s13
	s_branch .LBB6_333
.LBB6_329:
	s_mov_b32 s20, -1
	s_mov_b32 s0, s7
	s_branch .LBB6_344
.LBB6_330:
	s_andn2_saveexec_b32 s19, s19
	s_cbranch_execz .LBB6_108
.LBB6_331:
	v_add_f32_e64 v3, 0x42800000, |v2|
	s_andn2_b32 s18, s18, exec_lo
	v_and_b32_e32 v3, 0xff, v3
	v_cmp_ne_u32_e32 vcc_lo, 0, v3
	s_and_b32 s20, vcc_lo, exec_lo
	s_or_b32 s18, s18, s20
	s_or_b32 exec_lo, exec_lo, s19
	v_mov_b32_e32 v6, 0
	s_and_saveexec_b32 s19, s18
	s_cbranch_execnz .LBB6_109
	s_branch .LBB6_110
.LBB6_332:
	s_mov_b32 s15, -1
	s_mov_b32 s16, 0
.LBB6_333:
                                        ; implicit-def: $vgpr2_vgpr3
.LBB6_334:
	s_and_b32 vcc_lo, exec_lo, s18
	s_cbranch_vccz .LBB6_410
; %bb.335:
	s_cmp_eq_u32 s0, 44
	s_cbranch_scc0 .LBB6_409
; %bb.336:
	global_load_ubyte v4, v[0:1], off
	s_mov_b32 s15, 0
	s_mov_b32 s16, -1
	s_waitcnt vmcnt(0)
	v_lshlrev_b32_e32 v2, 23, v4
	v_cmp_ne_u32_e32 vcc_lo, 0xff, v4
	v_cvt_f64_f32_e32 v[2:3], v2
	v_cndmask_b32_e32 v2, 0x20000000, v2, vcc_lo
	v_cndmask_b32_e32 v3, 0x7ff80000, v3, vcc_lo
	v_cmp_ne_u32_e32 vcc_lo, 0, v4
	v_cndmask_b32_e32 v3, 0x38000000, v3, vcc_lo
	v_cndmask_b32_e32 v2, 0, v2, vcc_lo
	s_branch .LBB6_410
.LBB6_337:
	s_mov_b32 s20, -1
	s_mov_b32 s0, s7
.LBB6_338:
	s_and_b32 vcc_lo, exec_lo, s20
	s_cbranch_vccz .LBB6_343
; %bb.339:
	s_cmp_eq_u32 s18, 44
	s_mov_b32 s0, -1
	s_cbranch_scc0 .LBB6_343
; %bb.340:
	v_cvt_f32_f64_e32 v2, v[0:1]
	v_mov_b32_e32 v3, 0xff
	s_mov_b32 s19, exec_lo
	v_bfe_u32 v6, v2, 23, 8
	v_cmpx_ne_u32_e32 0xff, v6
	s_cbranch_execz .LBB6_342
; %bb.341:
	v_and_b32_e32 v3, 0x400000, v2
	v_and_or_b32 v6, 0x3fffff, v2, v6
	v_lshrrev_b32_e32 v2, 23, v2
	v_cmp_ne_u32_e32 vcc_lo, 0, v3
	v_cmp_ne_u32_e64 s0, 0, v6
	s_and_b32 s0, vcc_lo, s0
	v_cndmask_b32_e64 v3, 0, 1, s0
	v_add_nc_u32_e32 v3, v2, v3
.LBB6_342:
	s_or_b32 exec_lo, exec_lo, s19
	s_mov_b32 s19, -1
	s_mov_b32 s0, 0
	global_store_byte v[4:5], v3, off
.LBB6_343:
	s_mov_b32 s20, 0
.LBB6_344:
	s_and_b32 vcc_lo, exec_lo, s20
	s_cbranch_vccz .LBB6_347
; %bb.345:
	s_cmp_eq_u32 s18, 29
	s_mov_b32 s0, -1
	s_cbranch_scc0 .LBB6_347
; %bb.346:
	v_trunc_f64_e32 v[2:3], v[0:1]
	s_mov_b32 s19, -1
	s_mov_b32 s0, 0
	s_mov_b32 s20, 0
	v_ldexp_f64 v[6:7], v[2:3], 0xffffffe0
	v_floor_f64_e32 v[6:7], v[6:7]
	v_fma_f64 v[2:3], 0xc1f00000, v[6:7], v[2:3]
	v_cvt_u32_f64_e32 v7, v[6:7]
	v_cvt_u32_f64_e32 v6, v[2:3]
	global_store_dwordx2 v[4:5], v[6:7], off
	s_branch .LBB6_348
.LBB6_347:
	s_mov_b32 s20, 0
.LBB6_348:
	s_and_b32 vcc_lo, exec_lo, s20
	s_cbranch_vccz .LBB6_364
; %bb.349:
	s_cmp_lt_i32 s18, 27
	s_mov_b32 s19, -1
	s_cbranch_scc1 .LBB6_355
; %bb.350:
	v_cvt_u32_f64_e32 v2, v[0:1]
	s_cmp_gt_i32 s18, 27
	s_cbranch_scc0 .LBB6_352
; %bb.351:
	s_mov_b32 s19, 0
	global_store_dword v[4:5], v2, off
.LBB6_352:
	s_andn2_b32 vcc_lo, exec_lo, s19
	s_cbranch_vccnz .LBB6_354
; %bb.353:
	global_store_short v[4:5], v2, off
.LBB6_354:
	s_mov_b32 s19, 0
.LBB6_355:
	s_andn2_b32 vcc_lo, exec_lo, s19
	s_cbranch_vccnz .LBB6_363
; %bb.356:
	v_cvt_f32_f64_e32 v2, v[0:1]
	v_mov_b32_e32 v6, 0x80
	s_mov_b32 s19, exec_lo
	v_and_b32_e32 v3, 0x7fffffff, v2
	v_cmpx_gt_u32_e32 0x43800000, v3
	s_cbranch_execz .LBB6_362
; %bb.357:
	v_cmp_lt_u32_e32 vcc_lo, 0x3bffffff, v3
	s_mov_b32 s20, 0
                                        ; implicit-def: $vgpr3
	s_and_saveexec_b32 s21, vcc_lo
	s_xor_b32 s21, exec_lo, s21
	s_cbranch_execz .LBB6_535
; %bb.358:
	v_bfe_u32 v3, v2, 20, 1
	s_mov_b32 s20, exec_lo
	v_add3_u32 v3, v2, v3, 0x487ffff
	v_lshrrev_b32_e32 v3, 20, v3
	s_andn2_saveexec_b32 s21, s21
	s_cbranch_execnz .LBB6_536
.LBB6_359:
	s_or_b32 exec_lo, exec_lo, s21
	v_mov_b32_e32 v6, 0
	s_and_saveexec_b32 s21, s20
.LBB6_360:
	v_lshrrev_b32_e32 v2, 24, v2
	v_and_or_b32 v6, 0x80, v2, v3
.LBB6_361:
	s_or_b32 exec_lo, exec_lo, s21
.LBB6_362:
	s_or_b32 exec_lo, exec_lo, s19
	global_store_byte v[4:5], v6, off
.LBB6_363:
	s_mov_b32 s19, -1
.LBB6_364:
	s_mov_b32 s20, 0
.LBB6_365:
	s_and_b32 vcc_lo, exec_lo, s20
	s_cbranch_vccz .LBB6_406
; %bb.366:
	s_cmp_gt_i32 s18, 22
	s_mov_b32 s20, -1
	s_cbranch_scc0 .LBB6_398
; %bb.367:
	s_cmp_lt_i32 s18, 24
	s_mov_b32 s19, -1
	s_cbranch_scc1 .LBB6_387
; %bb.368:
	s_cmp_gt_i32 s18, 24
	s_cbranch_scc0 .LBB6_376
; %bb.369:
	v_cvt_f32_f64_e32 v2, v[0:1]
	v_mov_b32_e32 v6, 0x80
	s_mov_b32 s19, exec_lo
	v_and_b32_e32 v3, 0x7fffffff, v2
	v_cmpx_gt_u32_e32 0x47800000, v3
	s_cbranch_execz .LBB6_375
; %bb.370:
	v_cmp_lt_u32_e32 vcc_lo, 0x37ffffff, v3
	s_mov_b32 s20, 0
                                        ; implicit-def: $vgpr3
	s_and_saveexec_b32 s21, vcc_lo
	s_xor_b32 s21, exec_lo, s21
	s_cbranch_execz .LBB6_538
; %bb.371:
	v_bfe_u32 v3, v2, 21, 1
	s_mov_b32 s20, exec_lo
	v_add3_u32 v3, v2, v3, 0x88fffff
	v_lshrrev_b32_e32 v3, 21, v3
	s_andn2_saveexec_b32 s21, s21
	s_cbranch_execnz .LBB6_539
.LBB6_372:
	s_or_b32 exec_lo, exec_lo, s21
	v_mov_b32_e32 v6, 0
	s_and_saveexec_b32 s21, s20
.LBB6_373:
	v_lshrrev_b32_e32 v2, 24, v2
	v_and_or_b32 v6, 0x80, v2, v3
.LBB6_374:
	s_or_b32 exec_lo, exec_lo, s21
.LBB6_375:
	s_or_b32 exec_lo, exec_lo, s19
	s_mov_b32 s19, 0
	global_store_byte v[4:5], v6, off
.LBB6_376:
	s_and_b32 vcc_lo, exec_lo, s19
	s_cbranch_vccz .LBB6_386
; %bb.377:
	v_cvt_f32_f64_e32 v2, v[0:1]
	s_mov_b32 s19, exec_lo
                                        ; implicit-def: $vgpr3
	v_and_b32_e32 v6, 0x7fffffff, v2
	v_cmpx_gt_u32_e32 0x43f00000, v6
	s_xor_b32 s19, exec_lo, s19
	s_cbranch_execz .LBB6_383
; %bb.378:
	s_mov_b32 s20, exec_lo
                                        ; implicit-def: $vgpr3
	v_cmpx_lt_u32_e32 0x3c7fffff, v6
	s_xor_b32 s20, exec_lo, s20
; %bb.379:
	v_bfe_u32 v3, v2, 20, 1
	v_add3_u32 v3, v2, v3, 0x407ffff
	v_and_b32_e32 v6, 0xff00000, v3
	v_lshrrev_b32_e32 v3, 20, v3
	v_cmp_ne_u32_e32 vcc_lo, 0x7f00000, v6
	v_cndmask_b32_e32 v3, 0x7e, v3, vcc_lo
; %bb.380:
	s_andn2_saveexec_b32 s20, s20
; %bb.381:
	v_add_f32_e64 v3, 0x46800000, |v2|
; %bb.382:
	s_or_b32 exec_lo, exec_lo, s20
                                        ; implicit-def: $vgpr6
.LBB6_383:
	s_andn2_saveexec_b32 s19, s19
; %bb.384:
	v_mov_b32_e32 v3, 0x7f
	v_cmp_lt_u32_e32 vcc_lo, 0x7f800000, v6
	v_cndmask_b32_e32 v3, 0x7e, v3, vcc_lo
; %bb.385:
	s_or_b32 exec_lo, exec_lo, s19
	v_lshrrev_b32_e32 v2, 24, v2
	v_and_or_b32 v2, 0x80, v2, v3
	global_store_byte v[4:5], v2, off
.LBB6_386:
	s_mov_b32 s19, 0
.LBB6_387:
	s_andn2_b32 vcc_lo, exec_lo, s19
	s_cbranch_vccnz .LBB6_397
; %bb.388:
	v_cvt_f32_f64_e32 v2, v[0:1]
	s_mov_b32 s19, exec_lo
                                        ; implicit-def: $vgpr3
	v_and_b32_e32 v6, 0x7fffffff, v2
	v_cmpx_gt_u32_e32 0x47800000, v6
	s_xor_b32 s19, exec_lo, s19
	s_cbranch_execz .LBB6_394
; %bb.389:
	s_mov_b32 s20, exec_lo
                                        ; implicit-def: $vgpr3
	v_cmpx_lt_u32_e32 0x387fffff, v6
	s_xor_b32 s20, exec_lo, s20
; %bb.390:
	v_bfe_u32 v3, v2, 21, 1
	v_add3_u32 v3, v2, v3, 0x80fffff
	v_lshrrev_b32_e32 v3, 21, v3
; %bb.391:
	s_andn2_saveexec_b32 s20, s20
; %bb.392:
	v_add_f32_e64 v3, 0x43000000, |v2|
; %bb.393:
	s_or_b32 exec_lo, exec_lo, s20
                                        ; implicit-def: $vgpr6
.LBB6_394:
	s_andn2_saveexec_b32 s19, s19
; %bb.395:
	v_mov_b32_e32 v3, 0x7f
	v_cmp_lt_u32_e32 vcc_lo, 0x7f800000, v6
	v_cndmask_b32_e32 v3, 0x7c, v3, vcc_lo
; %bb.396:
	s_or_b32 exec_lo, exec_lo, s19
	v_lshrrev_b32_e32 v2, 24, v2
	v_and_or_b32 v2, 0x80, v2, v3
	global_store_byte v[4:5], v2, off
.LBB6_397:
	s_mov_b32 s20, 0
	s_mov_b32 s19, -1
.LBB6_398:
	s_andn2_b32 vcc_lo, exec_lo, s20
	s_cbranch_vccnz .LBB6_406
; %bb.399:
	s_cmp_gt_i32 s18, 14
	s_mov_b32 s20, -1
	s_cbranch_scc0 .LBB6_403
; %bb.400:
	s_cmp_eq_u32 s18, 15
	s_mov_b32 s0, -1
	s_cbranch_scc0 .LBB6_402
; %bb.401:
	v_cvt_f32_f64_e32 v2, v[0:1]
	s_mov_b32 s19, -1
	s_mov_b32 s0, 0
	v_bfe_u32 v3, v2, 16, 1
	v_cmp_o_f32_e32 vcc_lo, v2, v2
	v_add3_u32 v2, v2, v3, 0x7fff
	v_mov_b32_e32 v3, 0x7fc0
	v_cndmask_b32_sdwa v2, v3, v2, vcc_lo dst_sel:DWORD dst_unused:UNUSED_PAD src0_sel:DWORD src1_sel:WORD_1
	global_store_short v[4:5], v2, off
.LBB6_402:
	s_mov_b32 s20, 0
.LBB6_403:
	s_and_b32 vcc_lo, exec_lo, s20
	s_cbranch_vccz .LBB6_406
; %bb.404:
	s_cmp_eq_u32 s18, 11
	s_mov_b32 s0, -1
	s_cbranch_scc0 .LBB6_406
; %bb.405:
	v_cmp_neq_f64_e32 vcc_lo, 0, v[0:1]
	s_mov_b32 s19, -1
	s_mov_b32 s0, 0
	v_cndmask_b32_e64 v2, 0, 1, vcc_lo
	global_store_byte v[4:5], v2, off
.LBB6_406:
.LBB6_407:
	s_andn2_b32 vcc_lo, exec_lo, s19
	s_cbranch_vccnz .LBB6_320
.LBB6_408:
	v_add_nc_u32_e32 v24, 0x80, v24
	s_mov_b32 s18, -1
	s_branch .LBB6_521
.LBB6_409:
	s_mov_b32 s15, -1
                                        ; implicit-def: $vgpr2_vgpr3
.LBB6_410:
	s_mov_b32 s18, 0
.LBB6_411:
	s_and_b32 vcc_lo, exec_lo, s18
	s_cbranch_vccz .LBB6_415
; %bb.412:
	s_cmp_eq_u32 s0, 29
	s_cbranch_scc0 .LBB6_414
; %bb.413:
	global_load_dwordx2 v[2:3], v[0:1], off
	s_mov_b32 s16, -1
	s_mov_b32 s15, 0
	s_mov_b32 s18, 0
	s_waitcnt vmcnt(0)
	v_cvt_f64_u32_e32 v[3:4], v3
	v_cvt_f64_u32_e32 v[5:6], v2
	v_ldexp_f64 v[3:4], v[3:4], 32
	v_add_f64 v[2:3], v[3:4], v[5:6]
	s_branch .LBB6_416
.LBB6_414:
	s_mov_b32 s15, -1
                                        ; implicit-def: $vgpr2_vgpr3
.LBB6_415:
	s_mov_b32 s18, 0
.LBB6_416:
	s_and_b32 vcc_lo, exec_lo, s18
	s_cbranch_vccz .LBB6_436
; %bb.417:
	s_cmp_lt_i32 s0, 27
	s_cbranch_scc1 .LBB6_420
; %bb.418:
	s_cmp_gt_i32 s0, 27
	s_cbranch_scc0 .LBB6_421
; %bb.419:
	global_load_dword v2, v[0:1], off
	s_mov_b32 s16, 0
	s_waitcnt vmcnt(0)
	v_cvt_f64_u32_e32 v[2:3], v2
	s_branch .LBB6_422
.LBB6_420:
	s_mov_b32 s16, -1
                                        ; implicit-def: $vgpr2_vgpr3
	s_branch .LBB6_425
.LBB6_421:
	s_mov_b32 s16, -1
                                        ; implicit-def: $vgpr2_vgpr3
.LBB6_422:
	s_andn2_b32 vcc_lo, exec_lo, s16
	s_cbranch_vccnz .LBB6_424
; %bb.423:
	global_load_ushort v2, v[0:1], off
	s_waitcnt vmcnt(0)
	v_cvt_f64_u32_e32 v[2:3], v2
.LBB6_424:
	s_mov_b32 s16, 0
.LBB6_425:
	s_andn2_b32 vcc_lo, exec_lo, s16
	s_cbranch_vccnz .LBB6_435
; %bb.426:
	global_load_ubyte v4, v[0:1], off
	s_mov_b32 s16, 0
	s_mov_b32 s18, exec_lo
	s_waitcnt vmcnt(0)
	v_cmpx_lt_i16_e32 0x7f, v4
	s_xor_b32 s18, exec_lo, s18
	s_cbranch_execz .LBB6_430
; %bb.427:
	s_mov_b32 s16, -1
	s_mov_b32 s19, exec_lo
	v_cmpx_eq_u16_e32 0x80, v4
; %bb.428:
	s_xor_b32 s16, exec_lo, -1
; %bb.429:
	s_or_b32 exec_lo, exec_lo, s19
	s_and_b32 s16, s16, exec_lo
.LBB6_430:
	s_or_saveexec_b32 s18, s18
	v_bfrev_b32_e32 v2, 4
	v_mov_b32_e32 v3, 0x7ff80000
	s_xor_b32 exec_lo, exec_lo, s18
; %bb.431:
	v_cmp_ne_u16_e32 vcc_lo, 0, v4
	v_mov_b32_e32 v2, 0
	v_mov_b32_e32 v3, 0
	s_andn2_b32 s16, s16, exec_lo
	s_and_b32 s19, vcc_lo, exec_lo
	s_or_b32 s16, s16, s19
; %bb.432:
	s_or_b32 exec_lo, exec_lo, s18
	s_and_saveexec_b32 s18, s16
	s_cbranch_execz .LBB6_434
; %bb.433:
	v_and_b32_e32 v2, 0xffff, v4
	v_lshlrev_b32_e32 v4, 24, v4
	v_and_b32_e32 v3, 7, v2
	v_bfe_u32 v7, v2, 3, 4
	v_ffbh_u32_e32 v5, v3
	v_cmp_eq_u32_e32 vcc_lo, 0, v7
	v_min_u32_e32 v5, 32, v5
	v_subrev_nc_u32_e32 v6, 28, v5
	v_sub_nc_u32_e32 v5, 29, v5
	v_lshlrev_b32_e32 v2, v6, v2
	v_cndmask_b32_e32 v5, v7, v5, vcc_lo
	v_and_b32_e32 v2, 7, v2
	v_cndmask_b32_e32 v2, v3, v2, vcc_lo
	v_and_b32_e32 v3, 0x80000000, v4
	v_lshl_add_u32 v4, v5, 23, 0x3b800000
	v_lshlrev_b32_e32 v2, 20, v2
	v_or3_b32 v2, v3, v4, v2
	v_cvt_f64_f32_e32 v[2:3], v2
.LBB6_434:
	s_or_b32 exec_lo, exec_lo, s18
.LBB6_435:
	s_mov_b32 s16, -1
.LBB6_436:
	s_mov_b32 s18, 0
.LBB6_437:
	s_and_b32 vcc_lo, exec_lo, s18
	s_cbranch_vccz .LBB6_470
; %bb.438:
	s_cmp_gt_i32 s0, 22
	s_cbranch_scc0 .LBB6_450
; %bb.439:
	s_cmp_lt_i32 s0, 24
	s_cbranch_scc1 .LBB6_451
; %bb.440:
	s_cmp_gt_i32 s0, 24
	s_cbranch_scc0 .LBB6_452
; %bb.441:
	global_load_ubyte v4, v[0:1], off
	s_mov_b32 s16, 0
	s_mov_b32 s18, exec_lo
	s_waitcnt vmcnt(0)
	v_cmpx_lt_i16_e32 0x7f, v4
	s_xor_b32 s18, exec_lo, s18
	s_cbranch_execz .LBB6_445
; %bb.442:
	s_mov_b32 s16, -1
	s_mov_b32 s19, exec_lo
	v_cmpx_eq_u16_e32 0x80, v4
; %bb.443:
	s_xor_b32 s16, exec_lo, -1
; %bb.444:
	s_or_b32 exec_lo, exec_lo, s19
	s_and_b32 s16, s16, exec_lo
.LBB6_445:
	s_or_saveexec_b32 s18, s18
	v_bfrev_b32_e32 v2, 4
	v_mov_b32_e32 v3, 0x7ff80000
	s_xor_b32 exec_lo, exec_lo, s18
; %bb.446:
	v_cmp_ne_u16_e32 vcc_lo, 0, v4
	v_mov_b32_e32 v2, 0
	v_mov_b32_e32 v3, 0
	s_andn2_b32 s16, s16, exec_lo
	s_and_b32 s19, vcc_lo, exec_lo
	s_or_b32 s16, s16, s19
; %bb.447:
	s_or_b32 exec_lo, exec_lo, s18
	s_and_saveexec_b32 s18, s16
	s_cbranch_execz .LBB6_449
; %bb.448:
	v_and_b32_e32 v2, 0xffff, v4
	v_lshlrev_b32_e32 v4, 24, v4
	v_and_b32_e32 v3, 3, v2
	v_bfe_u32 v7, v2, 2, 5
	v_ffbh_u32_e32 v5, v3
	v_cmp_eq_u32_e32 vcc_lo, 0, v7
	v_min_u32_e32 v5, 32, v5
	v_subrev_nc_u32_e32 v6, 29, v5
	v_sub_nc_u32_e32 v5, 30, v5
	v_lshlrev_b32_e32 v2, v6, v2
	v_cndmask_b32_e32 v5, v7, v5, vcc_lo
	v_and_b32_e32 v2, 3, v2
	v_cndmask_b32_e32 v2, v3, v2, vcc_lo
	v_and_b32_e32 v3, 0x80000000, v4
	v_lshl_add_u32 v4, v5, 23, 0x37800000
	v_lshlrev_b32_e32 v2, 21, v2
	v_or3_b32 v2, v3, v4, v2
	v_cvt_f64_f32_e32 v[2:3], v2
.LBB6_449:
	s_or_b32 exec_lo, exec_lo, s18
	s_mov_b32 s16, 0
	s_branch .LBB6_453
.LBB6_450:
	s_mov_b32 s18, -1
                                        ; implicit-def: $vgpr2_vgpr3
	s_branch .LBB6_459
.LBB6_451:
	s_mov_b32 s16, -1
                                        ; implicit-def: $vgpr2_vgpr3
	s_branch .LBB6_456
.LBB6_452:
	s_mov_b32 s16, -1
                                        ; implicit-def: $vgpr2_vgpr3
.LBB6_453:
	s_and_b32 vcc_lo, exec_lo, s16
	s_cbranch_vccz .LBB6_455
; %bb.454:
	global_load_ubyte v2, v[0:1], off
	s_waitcnt vmcnt(0)
	v_lshlrev_b32_e32 v2, 24, v2
	v_and_b32_e32 v3, 0x7f000000, v2
	v_ffbh_u32_e32 v4, v3
	v_add_nc_u32_e32 v6, 0x1000000, v3
	v_cmp_ne_u32_e32 vcc_lo, 0, v3
	v_min_u32_e32 v4, 32, v4
	v_sub_nc_u32_e64 v4, v4, 4 clamp
	v_lshlrev_b32_e32 v5, v4, v3
	v_lshlrev_b32_e32 v4, 23, v4
	v_lshrrev_b32_e32 v5, 4, v5
	v_sub_nc_u32_e32 v4, v5, v4
	v_ashrrev_i32_e32 v5, 8, v6
	v_add_nc_u32_e32 v4, 0x3c000000, v4
	v_and_or_b32 v4, 0x7f800000, v5, v4
	v_cndmask_b32_e32 v3, 0, v4, vcc_lo
	v_and_or_b32 v2, 0x80000000, v2, v3
	v_cvt_f64_f32_e32 v[2:3], v2
.LBB6_455:
	s_mov_b32 s16, 0
.LBB6_456:
	s_andn2_b32 vcc_lo, exec_lo, s16
	s_cbranch_vccnz .LBB6_458
; %bb.457:
	global_load_ubyte v2, v[0:1], off
	s_waitcnt vmcnt(0)
	v_lshlrev_b32_e32 v3, 25, v2
	v_lshlrev_b16 v2, 8, v2
	v_lshrrev_b32_e32 v4, 4, v3
	v_and_or_b32 v5, 0x7f00, v2, 0.5
	v_cmp_gt_u32_e32 vcc_lo, 0x8000000, v3
	v_bfe_i32 v2, v2, 0, 16
	v_or_b32_e32 v4, 0x70000000, v4
	v_add_f32_e32 v5, -0.5, v5
	v_mul_f32_e32 v4, 0x7800000, v4
	v_cndmask_b32_e32 v3, v4, v5, vcc_lo
	v_and_or_b32 v2, 0x80000000, v2, v3
	v_cvt_f64_f32_e32 v[2:3], v2
.LBB6_458:
	s_mov_b32 s18, 0
	s_mov_b32 s16, -1
.LBB6_459:
	s_andn2_b32 vcc_lo, exec_lo, s18
	s_cbranch_vccnz .LBB6_470
; %bb.460:
	s_cmp_gt_i32 s0, 14
	s_cbranch_scc0 .LBB6_463
; %bb.461:
	s_cmp_eq_u32 s0, 15
	s_cbranch_scc0 .LBB6_464
; %bb.462:
	global_load_ushort v2, v[0:1], off
	s_mov_b32 s16, -1
	s_mov_b32 s15, 0
	s_waitcnt vmcnt(0)
	v_lshlrev_b32_e32 v2, 16, v2
	v_cvt_f64_f32_e32 v[2:3], v2
	s_branch .LBB6_465
.LBB6_463:
	s_mov_b32 s18, -1
                                        ; implicit-def: $vgpr2_vgpr3
	s_branch .LBB6_466
.LBB6_464:
	s_mov_b32 s15, -1
                                        ; implicit-def: $vgpr2_vgpr3
.LBB6_465:
	s_mov_b32 s18, 0
.LBB6_466:
	s_and_b32 vcc_lo, exec_lo, s18
	s_cbranch_vccz .LBB6_470
; %bb.467:
	s_cmp_eq_u32 s0, 11
	s_cbranch_scc0 .LBB6_469
; %bb.468:
	global_load_ubyte v2, v[0:1], off
	s_mov_b32 s15, 0
	s_mov_b32 s16, -1
	s_waitcnt vmcnt(0)
	v_cmp_ne_u16_e32 vcc_lo, 0, v2
	v_mov_b32_e32 v2, 0
	v_cndmask_b32_e64 v3, 0, 0x3ff00000, vcc_lo
	s_branch .LBB6_470
.LBB6_469:
	s_mov_b32 s15, -1
                                        ; implicit-def: $vgpr2_vgpr3
.LBB6_470:
	s_branch .LBB6_269
.LBB6_471:
	s_cmp_lt_i32 s0, 5
	s_cbranch_scc1 .LBB6_476
; %bb.472:
	s_cmp_lt_i32 s0, 8
	s_cbranch_scc1 .LBB6_477
; %bb.473:
	;; [unrolled: 3-line block ×3, first 2 shown]
	s_cmp_gt_i32 s0, 9
	s_cbranch_scc0 .LBB6_479
; %bb.475:
	global_load_dwordx2 v[2:3], v[0:1], off
	s_mov_b32 s16, 0
	s_branch .LBB6_480
.LBB6_476:
	s_mov_b32 s16, -1
                                        ; implicit-def: $vgpr2_vgpr3
	s_branch .LBB6_498
.LBB6_477:
	s_mov_b32 s16, -1
                                        ; implicit-def: $vgpr2_vgpr3
	s_branch .LBB6_486
.LBB6_478:
	s_mov_b32 s16, -1
                                        ; implicit-def: $vgpr2_vgpr3
	s_branch .LBB6_483
.LBB6_479:
	s_mov_b32 s16, -1
                                        ; implicit-def: $vgpr2_vgpr3
.LBB6_480:
	s_andn2_b32 vcc_lo, exec_lo, s16
	s_cbranch_vccnz .LBB6_482
; %bb.481:
	global_load_dword v2, v[0:1], off
	s_waitcnt vmcnt(0)
	v_cvt_f64_f32_e32 v[2:3], v2
.LBB6_482:
	s_mov_b32 s16, 0
.LBB6_483:
	s_andn2_b32 vcc_lo, exec_lo, s16
	s_cbranch_vccnz .LBB6_485
; %bb.484:
	global_load_dword v2, v[0:1], off
	s_waitcnt vmcnt(0)
	v_cvt_f32_f16_e32 v2, v2
	v_cvt_f64_f32_e32 v[2:3], v2
.LBB6_485:
	s_mov_b32 s16, 0
.LBB6_486:
	s_andn2_b32 vcc_lo, exec_lo, s16
	s_cbranch_vccnz .LBB6_497
; %bb.487:
	s_cmp_lt_i32 s0, 6
	s_cbranch_scc1 .LBB6_490
; %bb.488:
	s_cmp_gt_i32 s0, 6
	s_cbranch_scc0 .LBB6_491
; %bb.489:
	global_load_dwordx2 v[2:3], v[0:1], off
	s_mov_b32 s16, 0
	s_branch .LBB6_492
.LBB6_490:
	s_mov_b32 s16, -1
                                        ; implicit-def: $vgpr2_vgpr3
	s_branch .LBB6_495
.LBB6_491:
	s_mov_b32 s16, -1
                                        ; implicit-def: $vgpr2_vgpr3
.LBB6_492:
	s_andn2_b32 vcc_lo, exec_lo, s16
	s_cbranch_vccnz .LBB6_494
; %bb.493:
	global_load_dword v2, v[0:1], off
	s_waitcnt vmcnt(0)
	v_cvt_f64_f32_e32 v[2:3], v2
.LBB6_494:
	s_mov_b32 s16, 0
.LBB6_495:
	s_andn2_b32 vcc_lo, exec_lo, s16
	s_cbranch_vccnz .LBB6_497
; %bb.496:
	global_load_ushort v2, v[0:1], off
	s_waitcnt vmcnt(0)
	v_cvt_f32_f16_e32 v2, v2
	v_cvt_f64_f32_e32 v[2:3], v2
.LBB6_497:
	s_mov_b32 s16, 0
.LBB6_498:
	s_andn2_b32 vcc_lo, exec_lo, s16
	s_cbranch_vccnz .LBB6_518
; %bb.499:
	s_cmp_lt_i32 s0, 2
	s_cbranch_scc1 .LBB6_503
; %bb.500:
	s_cmp_lt_i32 s0, 3
	s_cbranch_scc1 .LBB6_504
; %bb.501:
	s_cmp_gt_i32 s0, 3
	s_cbranch_scc0 .LBB6_505
; %bb.502:
	global_load_dwordx2 v[2:3], v[0:1], off
	s_mov_b32 s16, 0
	s_waitcnt vmcnt(0)
	v_cvt_f64_i32_e32 v[3:4], v3
	v_cvt_f64_u32_e32 v[5:6], v2
	v_ldexp_f64 v[3:4], v[3:4], 32
	v_add_f64 v[2:3], v[3:4], v[5:6]
	s_branch .LBB6_506
.LBB6_503:
	s_mov_b32 s16, -1
                                        ; implicit-def: $vgpr2_vgpr3
	s_branch .LBB6_512
.LBB6_504:
	s_mov_b32 s16, -1
                                        ; implicit-def: $vgpr2_vgpr3
	s_branch .LBB6_509
.LBB6_505:
	s_mov_b32 s16, -1
                                        ; implicit-def: $vgpr2_vgpr3
.LBB6_506:
	s_andn2_b32 vcc_lo, exec_lo, s16
	s_cbranch_vccnz .LBB6_508
; %bb.507:
	global_load_dword v2, v[0:1], off
	s_waitcnt vmcnt(0)
	v_cvt_f64_i32_e32 v[2:3], v2
.LBB6_508:
	s_mov_b32 s16, 0
.LBB6_509:
	s_andn2_b32 vcc_lo, exec_lo, s16
	s_cbranch_vccnz .LBB6_511
; %bb.510:
	global_load_sshort v2, v[0:1], off
	s_waitcnt vmcnt(0)
	v_cvt_f64_i32_e32 v[2:3], v2
.LBB6_511:
	s_mov_b32 s16, 0
.LBB6_512:
	s_andn2_b32 vcc_lo, exec_lo, s16
	s_cbranch_vccnz .LBB6_518
; %bb.513:
	s_cmp_gt_i32 s0, 0
	s_mov_b32 s0, 0
	s_cbranch_scc0 .LBB6_515
; %bb.514:
	global_load_sbyte v2, v[0:1], off
	s_waitcnt vmcnt(0)
	v_cvt_f64_i32_e32 v[2:3], v2
	s_branch .LBB6_516
.LBB6_515:
	s_mov_b32 s0, -1
                                        ; implicit-def: $vgpr2_vgpr3
.LBB6_516:
	s_andn2_b32 vcc_lo, exec_lo, s0
	s_cbranch_vccnz .LBB6_518
; %bb.517:
	global_load_ubyte v0, v[0:1], off
	s_waitcnt vmcnt(0)
	v_cvt_f64_u32_e32 v[2:3], v0
.LBB6_518:
	s_branch .LBB6_270
.LBB6_519:
	s_mov_b32 s18, 0
	s_mov_b32 s0, s7
.LBB6_520:
                                        ; implicit-def: $vgpr24
.LBB6_521:
	s_andn2_b32 s16, s7, exec_lo
	s_and_b32 s0, s0, exec_lo
	s_andn2_b32 s19, s13, exec_lo
	s_and_b32 s15, s15, exec_lo
	s_or_b32 s16, s16, s0
	s_or_b32 s15, s19, s15
	s_orn2_b32 s0, s18, exec_lo
.LBB6_522:
	s_or_b32 exec_lo, exec_lo, s17
	s_mov_b32 s18, 0
	s_mov_b32 s19, 0
	;; [unrolled: 1-line block ×3, first 2 shown]
                                        ; implicit-def: $vgpr0_vgpr1
                                        ; implicit-def: $vgpr2_vgpr3
	s_and_saveexec_b32 s17, s0
	s_cbranch_execz .LBB6_872
; %bb.523:
	s_mov_b32 s20, -1
	s_mov_b32 s0, s15
	s_mov_b32 s19, s16
	s_mov_b32 s18, exec_lo
	v_cmpx_gt_i32_e64 s12, v24
	s_cbranch_execz .LBB6_786
; %bb.524:
	v_mul_lo_u32 v0, v24, s3
	s_and_b32 s0, 0xffff, s5
	s_cmp_lt_i32 s0, 11
	v_ashrrev_i32_e32 v1, 31, v0
	v_add_co_u32 v0, vcc_lo, s10, v0
	v_add_co_ci_u32_e64 v1, null, s11, v1, vcc_lo
	s_cbranch_scc1 .LBB6_531
; %bb.525:
	s_cmp_gt_i32 s0, 25
	s_cbranch_scc0 .LBB6_532
; %bb.526:
	s_cmp_gt_i32 s0, 28
	s_cbranch_scc0 .LBB6_533
	;; [unrolled: 3-line block ×4, first 2 shown]
; %bb.529:
	s_cmp_eq_u32 s0, 46
	s_mov_b32 s21, 0
	s_cbranch_scc0 .LBB6_540
; %bb.530:
	global_load_dword v2, v[0:1], off
	s_mov_b32 s19, 0
	s_waitcnt vmcnt(0)
	v_lshlrev_b32_e32 v2, 16, v2
	v_cvt_f64_f32_e32 v[2:3], v2
	s_branch .LBB6_542
.LBB6_531:
	s_mov_b32 s21, -1
	s_mov_b32 s20, 0
	s_mov_b32 s19, s15
                                        ; implicit-def: $vgpr2_vgpr3
	s_branch .LBB6_607
.LBB6_532:
	s_mov_b32 s21, -1
	s_mov_b32 s20, 0
	s_mov_b32 s19, s15
                                        ; implicit-def: $vgpr2_vgpr3
	s_branch .LBB6_573
.LBB6_533:
	s_mov_b32 s21, -1
	s_mov_b32 s20, 0
	s_mov_b32 s19, s15
                                        ; implicit-def: $vgpr2_vgpr3
	s_branch .LBB6_552
.LBB6_534:
	s_mov_b32 s21, -1
	s_mov_b32 s20, 0
	s_mov_b32 s19, s15
                                        ; implicit-def: $vgpr2_vgpr3
	s_branch .LBB6_547
.LBB6_535:
	s_andn2_saveexec_b32 s21, s21
	s_cbranch_execz .LBB6_359
.LBB6_536:
	v_add_f32_e64 v3, 0x46000000, |v2|
	s_andn2_b32 s20, s20, exec_lo
	v_and_b32_e32 v3, 0xff, v3
	v_cmp_ne_u32_e32 vcc_lo, 0, v3
	s_and_b32 s22, vcc_lo, exec_lo
	s_or_b32 s20, s20, s22
	s_or_b32 exec_lo, exec_lo, s21
	v_mov_b32_e32 v6, 0
	s_and_saveexec_b32 s21, s20
	s_cbranch_execnz .LBB6_360
	s_branch .LBB6_361
.LBB6_537:
	s_mov_b32 s21, -1
	s_mov_b32 s20, 0
	s_mov_b32 s19, s15
	s_branch .LBB6_541
.LBB6_538:
	s_andn2_saveexec_b32 s21, s21
	s_cbranch_execz .LBB6_372
.LBB6_539:
	v_add_f32_e64 v3, 0x42800000, |v2|
	s_andn2_b32 s20, s20, exec_lo
	v_and_b32_e32 v3, 0xff, v3
	v_cmp_ne_u32_e32 vcc_lo, 0, v3
	s_and_b32 s22, vcc_lo, exec_lo
	s_or_b32 s20, s20, s22
	s_or_b32 exec_lo, exec_lo, s21
	v_mov_b32_e32 v6, 0
	s_and_saveexec_b32 s21, s20
	s_cbranch_execnz .LBB6_373
	s_branch .LBB6_374
.LBB6_540:
	s_mov_b32 s19, -1
	s_mov_b32 s20, 0
.LBB6_541:
                                        ; implicit-def: $vgpr2_vgpr3
.LBB6_542:
	s_and_b32 vcc_lo, exec_lo, s21
	s_cbranch_vccz .LBB6_546
; %bb.543:
	s_cmp_eq_u32 s0, 44
	s_cbranch_scc0 .LBB6_545
; %bb.544:
	global_load_ubyte v4, v[0:1], off
	s_mov_b32 s19, 0
	s_mov_b32 s20, -1
	s_waitcnt vmcnt(0)
	v_lshlrev_b32_e32 v2, 23, v4
	v_cmp_ne_u32_e32 vcc_lo, 0xff, v4
	v_cvt_f64_f32_e32 v[2:3], v2
	v_cndmask_b32_e32 v2, 0x20000000, v2, vcc_lo
	v_cndmask_b32_e32 v3, 0x7ff80000, v3, vcc_lo
	v_cmp_ne_u32_e32 vcc_lo, 0, v4
	v_cndmask_b32_e32 v3, 0x38000000, v3, vcc_lo
	v_cndmask_b32_e32 v2, 0, v2, vcc_lo
	s_branch .LBB6_546
.LBB6_545:
	s_mov_b32 s19, -1
                                        ; implicit-def: $vgpr2_vgpr3
.LBB6_546:
	s_mov_b32 s21, 0
.LBB6_547:
	s_and_b32 vcc_lo, exec_lo, s21
	s_cbranch_vccz .LBB6_551
; %bb.548:
	s_cmp_eq_u32 s0, 29
	s_cbranch_scc0 .LBB6_550
; %bb.549:
	global_load_dwordx2 v[2:3], v[0:1], off
	s_mov_b32 s20, -1
	s_mov_b32 s19, 0
	s_mov_b32 s21, 0
	s_waitcnt vmcnt(0)
	v_cvt_f64_u32_e32 v[3:4], v3
	v_cvt_f64_u32_e32 v[5:6], v2
	v_ldexp_f64 v[3:4], v[3:4], 32
	v_add_f64 v[2:3], v[3:4], v[5:6]
	s_branch .LBB6_552
.LBB6_550:
	s_mov_b32 s19, -1
                                        ; implicit-def: $vgpr2_vgpr3
.LBB6_551:
	s_mov_b32 s21, 0
.LBB6_552:
	s_and_b32 vcc_lo, exec_lo, s21
	s_cbranch_vccz .LBB6_572
; %bb.553:
	s_cmp_lt_i32 s0, 27
	s_cbranch_scc1 .LBB6_556
; %bb.554:
	s_cmp_gt_i32 s0, 27
	s_cbranch_scc0 .LBB6_557
; %bb.555:
	global_load_dword v2, v[0:1], off
	s_mov_b32 s20, 0
	s_waitcnt vmcnt(0)
	v_cvt_f64_u32_e32 v[2:3], v2
	s_branch .LBB6_558
.LBB6_556:
	s_mov_b32 s20, -1
                                        ; implicit-def: $vgpr2_vgpr3
	s_branch .LBB6_561
.LBB6_557:
	s_mov_b32 s20, -1
                                        ; implicit-def: $vgpr2_vgpr3
.LBB6_558:
	s_andn2_b32 vcc_lo, exec_lo, s20
	s_cbranch_vccnz .LBB6_560
; %bb.559:
	global_load_ushort v2, v[0:1], off
	s_waitcnt vmcnt(0)
	v_cvt_f64_u32_e32 v[2:3], v2
.LBB6_560:
	s_mov_b32 s20, 0
.LBB6_561:
	s_andn2_b32 vcc_lo, exec_lo, s20
	s_cbranch_vccnz .LBB6_571
; %bb.562:
	global_load_ubyte v4, v[0:1], off
	s_mov_b32 s20, 0
	s_mov_b32 s21, exec_lo
	s_waitcnt vmcnt(0)
	v_cmpx_lt_i16_e32 0x7f, v4
	s_xor_b32 s21, exec_lo, s21
	s_cbranch_execz .LBB6_566
; %bb.563:
	s_mov_b32 s20, -1
	s_mov_b32 s22, exec_lo
	v_cmpx_eq_u16_e32 0x80, v4
; %bb.564:
	s_xor_b32 s20, exec_lo, -1
; %bb.565:
	s_or_b32 exec_lo, exec_lo, s22
	s_and_b32 s20, s20, exec_lo
.LBB6_566:
	s_or_saveexec_b32 s21, s21
	v_bfrev_b32_e32 v2, 4
	v_mov_b32_e32 v3, 0x7ff80000
	s_xor_b32 exec_lo, exec_lo, s21
; %bb.567:
	v_cmp_ne_u16_e32 vcc_lo, 0, v4
	v_mov_b32_e32 v2, 0
	v_mov_b32_e32 v3, 0
	s_andn2_b32 s20, s20, exec_lo
	s_and_b32 s22, vcc_lo, exec_lo
	s_or_b32 s20, s20, s22
; %bb.568:
	s_or_b32 exec_lo, exec_lo, s21
	s_and_saveexec_b32 s21, s20
	s_cbranch_execz .LBB6_570
; %bb.569:
	v_and_b32_e32 v2, 0xffff, v4
	v_lshlrev_b32_e32 v4, 24, v4
	v_and_b32_e32 v3, 7, v2
	v_bfe_u32 v7, v2, 3, 4
	v_ffbh_u32_e32 v5, v3
	v_cmp_eq_u32_e32 vcc_lo, 0, v7
	v_min_u32_e32 v5, 32, v5
	v_subrev_nc_u32_e32 v6, 28, v5
	v_sub_nc_u32_e32 v5, 29, v5
	v_lshlrev_b32_e32 v2, v6, v2
	v_cndmask_b32_e32 v5, v7, v5, vcc_lo
	v_and_b32_e32 v2, 7, v2
	v_cndmask_b32_e32 v2, v3, v2, vcc_lo
	v_and_b32_e32 v3, 0x80000000, v4
	v_lshl_add_u32 v4, v5, 23, 0x3b800000
	v_lshlrev_b32_e32 v2, 20, v2
	v_or3_b32 v2, v3, v4, v2
	v_cvt_f64_f32_e32 v[2:3], v2
.LBB6_570:
	s_or_b32 exec_lo, exec_lo, s21
.LBB6_571:
	s_mov_b32 s20, -1
.LBB6_572:
	s_mov_b32 s21, 0
.LBB6_573:
	s_and_b32 vcc_lo, exec_lo, s21
	s_cbranch_vccz .LBB6_606
; %bb.574:
	s_cmp_gt_i32 s0, 22
	s_cbranch_scc0 .LBB6_586
; %bb.575:
	s_cmp_lt_i32 s0, 24
	s_cbranch_scc1 .LBB6_587
; %bb.576:
	s_cmp_gt_i32 s0, 24
	s_cbranch_scc0 .LBB6_588
; %bb.577:
	global_load_ubyte v4, v[0:1], off
	s_mov_b32 s20, 0
	s_mov_b32 s21, exec_lo
	s_waitcnt vmcnt(0)
	v_cmpx_lt_i16_e32 0x7f, v4
	s_xor_b32 s21, exec_lo, s21
	s_cbranch_execz .LBB6_581
; %bb.578:
	s_mov_b32 s20, -1
	s_mov_b32 s22, exec_lo
	v_cmpx_eq_u16_e32 0x80, v4
; %bb.579:
	s_xor_b32 s20, exec_lo, -1
; %bb.580:
	s_or_b32 exec_lo, exec_lo, s22
	s_and_b32 s20, s20, exec_lo
.LBB6_581:
	s_or_saveexec_b32 s21, s21
	v_bfrev_b32_e32 v2, 4
	v_mov_b32_e32 v3, 0x7ff80000
	s_xor_b32 exec_lo, exec_lo, s21
; %bb.582:
	v_cmp_ne_u16_e32 vcc_lo, 0, v4
	v_mov_b32_e32 v2, 0
	v_mov_b32_e32 v3, 0
	s_andn2_b32 s20, s20, exec_lo
	s_and_b32 s22, vcc_lo, exec_lo
	s_or_b32 s20, s20, s22
; %bb.583:
	s_or_b32 exec_lo, exec_lo, s21
	s_and_saveexec_b32 s21, s20
	s_cbranch_execz .LBB6_585
; %bb.584:
	v_and_b32_e32 v2, 0xffff, v4
	v_lshlrev_b32_e32 v4, 24, v4
	v_and_b32_e32 v3, 3, v2
	v_bfe_u32 v7, v2, 2, 5
	v_ffbh_u32_e32 v5, v3
	v_cmp_eq_u32_e32 vcc_lo, 0, v7
	v_min_u32_e32 v5, 32, v5
	v_subrev_nc_u32_e32 v6, 29, v5
	v_sub_nc_u32_e32 v5, 30, v5
	v_lshlrev_b32_e32 v2, v6, v2
	v_cndmask_b32_e32 v5, v7, v5, vcc_lo
	v_and_b32_e32 v2, 3, v2
	v_cndmask_b32_e32 v2, v3, v2, vcc_lo
	v_and_b32_e32 v3, 0x80000000, v4
	v_lshl_add_u32 v4, v5, 23, 0x37800000
	v_lshlrev_b32_e32 v2, 21, v2
	v_or3_b32 v2, v3, v4, v2
	v_cvt_f64_f32_e32 v[2:3], v2
.LBB6_585:
	s_or_b32 exec_lo, exec_lo, s21
	s_mov_b32 s20, 0
	s_branch .LBB6_589
.LBB6_586:
	s_mov_b32 s21, -1
                                        ; implicit-def: $vgpr2_vgpr3
	s_branch .LBB6_595
.LBB6_587:
	s_mov_b32 s20, -1
                                        ; implicit-def: $vgpr2_vgpr3
	s_branch .LBB6_592
.LBB6_588:
	s_mov_b32 s20, -1
                                        ; implicit-def: $vgpr2_vgpr3
.LBB6_589:
	s_and_b32 vcc_lo, exec_lo, s20
	s_cbranch_vccz .LBB6_591
; %bb.590:
	global_load_ubyte v2, v[0:1], off
	s_waitcnt vmcnt(0)
	v_lshlrev_b32_e32 v2, 24, v2
	v_and_b32_e32 v3, 0x7f000000, v2
	v_ffbh_u32_e32 v4, v3
	v_add_nc_u32_e32 v6, 0x1000000, v3
	v_cmp_ne_u32_e32 vcc_lo, 0, v3
	v_min_u32_e32 v4, 32, v4
	v_sub_nc_u32_e64 v4, v4, 4 clamp
	v_lshlrev_b32_e32 v5, v4, v3
	v_lshlrev_b32_e32 v4, 23, v4
	v_lshrrev_b32_e32 v5, 4, v5
	v_sub_nc_u32_e32 v4, v5, v4
	v_ashrrev_i32_e32 v5, 8, v6
	v_add_nc_u32_e32 v4, 0x3c000000, v4
	v_and_or_b32 v4, 0x7f800000, v5, v4
	v_cndmask_b32_e32 v3, 0, v4, vcc_lo
	v_and_or_b32 v2, 0x80000000, v2, v3
	v_cvt_f64_f32_e32 v[2:3], v2
.LBB6_591:
	s_mov_b32 s20, 0
.LBB6_592:
	s_andn2_b32 vcc_lo, exec_lo, s20
	s_cbranch_vccnz .LBB6_594
; %bb.593:
	global_load_ubyte v2, v[0:1], off
	s_waitcnt vmcnt(0)
	v_lshlrev_b32_e32 v3, 25, v2
	v_lshlrev_b16 v2, 8, v2
	v_lshrrev_b32_e32 v4, 4, v3
	v_and_or_b32 v5, 0x7f00, v2, 0.5
	v_cmp_gt_u32_e32 vcc_lo, 0x8000000, v3
	v_bfe_i32 v2, v2, 0, 16
	v_or_b32_e32 v4, 0x70000000, v4
	v_add_f32_e32 v5, -0.5, v5
	v_mul_f32_e32 v4, 0x7800000, v4
	v_cndmask_b32_e32 v3, v4, v5, vcc_lo
	v_and_or_b32 v2, 0x80000000, v2, v3
	v_cvt_f64_f32_e32 v[2:3], v2
.LBB6_594:
	s_mov_b32 s21, 0
	s_mov_b32 s20, -1
.LBB6_595:
	s_andn2_b32 vcc_lo, exec_lo, s21
	s_cbranch_vccnz .LBB6_606
; %bb.596:
	s_cmp_gt_i32 s0, 14
	s_cbranch_scc0 .LBB6_599
; %bb.597:
	s_cmp_eq_u32 s0, 15
	s_cbranch_scc0 .LBB6_600
; %bb.598:
	global_load_ushort v2, v[0:1], off
	s_mov_b32 s20, -1
	s_mov_b32 s19, 0
	s_waitcnt vmcnt(0)
	v_lshlrev_b32_e32 v2, 16, v2
	v_cvt_f64_f32_e32 v[2:3], v2
	s_branch .LBB6_601
.LBB6_599:
	s_mov_b32 s21, -1
                                        ; implicit-def: $vgpr2_vgpr3
	s_branch .LBB6_602
.LBB6_600:
	s_mov_b32 s19, -1
                                        ; implicit-def: $vgpr2_vgpr3
.LBB6_601:
	s_mov_b32 s21, 0
.LBB6_602:
	s_and_b32 vcc_lo, exec_lo, s21
	s_cbranch_vccz .LBB6_606
; %bb.603:
	s_cmp_eq_u32 s0, 11
	s_cbranch_scc0 .LBB6_605
; %bb.604:
	global_load_ubyte v2, v[0:1], off
	s_mov_b32 s19, 0
	s_mov_b32 s20, -1
	s_waitcnt vmcnt(0)
	v_cmp_ne_u16_e32 vcc_lo, 0, v2
	v_mov_b32_e32 v2, 0
	v_cndmask_b32_e64 v3, 0, 0x3ff00000, vcc_lo
	s_branch .LBB6_606
.LBB6_605:
	s_mov_b32 s19, -1
                                        ; implicit-def: $vgpr2_vgpr3
.LBB6_606:
	s_mov_b32 s21, 0
.LBB6_607:
	s_and_b32 vcc_lo, exec_lo, s21
	s_cbranch_vccz .LBB6_656
; %bb.608:
	s_cmp_lt_i32 s0, 5
	s_cbranch_scc1 .LBB6_613
; %bb.609:
	s_cmp_lt_i32 s0, 8
	s_cbranch_scc1 .LBB6_614
; %bb.610:
	s_cmp_lt_i32 s0, 9
	s_cbranch_scc1 .LBB6_615
; %bb.611:
	s_cmp_gt_i32 s0, 9
	s_cbranch_scc0 .LBB6_616
; %bb.612:
	global_load_dwordx2 v[2:3], v[0:1], off
	s_mov_b32 s20, 0
	s_branch .LBB6_617
.LBB6_613:
	s_mov_b32 s20, -1
                                        ; implicit-def: $vgpr2_vgpr3
	s_branch .LBB6_635
.LBB6_614:
	s_mov_b32 s20, -1
                                        ; implicit-def: $vgpr2_vgpr3
	s_branch .LBB6_623
.LBB6_615:
	s_mov_b32 s20, -1
                                        ; implicit-def: $vgpr2_vgpr3
	s_branch .LBB6_620
.LBB6_616:
	s_mov_b32 s20, -1
                                        ; implicit-def: $vgpr2_vgpr3
.LBB6_617:
	s_andn2_b32 vcc_lo, exec_lo, s20
	s_cbranch_vccnz .LBB6_619
; %bb.618:
	global_load_dword v2, v[0:1], off
	s_waitcnt vmcnt(0)
	v_cvt_f64_f32_e32 v[2:3], v2
.LBB6_619:
	s_mov_b32 s20, 0
.LBB6_620:
	s_andn2_b32 vcc_lo, exec_lo, s20
	s_cbranch_vccnz .LBB6_622
; %bb.621:
	global_load_dword v2, v[0:1], off
	s_waitcnt vmcnt(0)
	v_cvt_f32_f16_e32 v2, v2
	v_cvt_f64_f32_e32 v[2:3], v2
.LBB6_622:
	s_mov_b32 s20, 0
.LBB6_623:
	s_andn2_b32 vcc_lo, exec_lo, s20
	s_cbranch_vccnz .LBB6_634
; %bb.624:
	s_cmp_lt_i32 s0, 6
	s_cbranch_scc1 .LBB6_627
; %bb.625:
	s_cmp_gt_i32 s0, 6
	s_cbranch_scc0 .LBB6_628
; %bb.626:
	global_load_dwordx2 v[2:3], v[0:1], off
	s_mov_b32 s20, 0
	s_branch .LBB6_629
.LBB6_627:
	s_mov_b32 s20, -1
                                        ; implicit-def: $vgpr2_vgpr3
	s_branch .LBB6_632
.LBB6_628:
	s_mov_b32 s20, -1
                                        ; implicit-def: $vgpr2_vgpr3
.LBB6_629:
	s_andn2_b32 vcc_lo, exec_lo, s20
	s_cbranch_vccnz .LBB6_631
; %bb.630:
	global_load_dword v2, v[0:1], off
	s_waitcnt vmcnt(0)
	v_cvt_f64_f32_e32 v[2:3], v2
.LBB6_631:
	s_mov_b32 s20, 0
.LBB6_632:
	s_andn2_b32 vcc_lo, exec_lo, s20
	s_cbranch_vccnz .LBB6_634
; %bb.633:
	global_load_ushort v2, v[0:1], off
	s_waitcnt vmcnt(0)
	v_cvt_f32_f16_e32 v2, v2
	v_cvt_f64_f32_e32 v[2:3], v2
.LBB6_634:
	s_mov_b32 s20, 0
.LBB6_635:
	s_andn2_b32 vcc_lo, exec_lo, s20
	s_cbranch_vccnz .LBB6_655
; %bb.636:
	s_cmp_lt_i32 s0, 2
	s_cbranch_scc1 .LBB6_640
; %bb.637:
	s_cmp_lt_i32 s0, 3
	s_cbranch_scc1 .LBB6_641
; %bb.638:
	s_cmp_gt_i32 s0, 3
	s_cbranch_scc0 .LBB6_642
; %bb.639:
	global_load_dwordx2 v[2:3], v[0:1], off
	s_mov_b32 s20, 0
	s_waitcnt vmcnt(0)
	v_cvt_f64_i32_e32 v[3:4], v3
	v_cvt_f64_u32_e32 v[5:6], v2
	v_ldexp_f64 v[3:4], v[3:4], 32
	v_add_f64 v[2:3], v[3:4], v[5:6]
	s_branch .LBB6_643
.LBB6_640:
	s_mov_b32 s20, -1
                                        ; implicit-def: $vgpr2_vgpr3
	s_branch .LBB6_649
.LBB6_641:
	s_mov_b32 s20, -1
                                        ; implicit-def: $vgpr2_vgpr3
	s_branch .LBB6_646
.LBB6_642:
	s_mov_b32 s20, -1
                                        ; implicit-def: $vgpr2_vgpr3
.LBB6_643:
	s_andn2_b32 vcc_lo, exec_lo, s20
	s_cbranch_vccnz .LBB6_645
; %bb.644:
	global_load_dword v2, v[0:1], off
	s_waitcnt vmcnt(0)
	v_cvt_f64_i32_e32 v[2:3], v2
.LBB6_645:
	s_mov_b32 s20, 0
.LBB6_646:
	s_andn2_b32 vcc_lo, exec_lo, s20
	s_cbranch_vccnz .LBB6_648
; %bb.647:
	global_load_sshort v2, v[0:1], off
	s_waitcnt vmcnt(0)
	v_cvt_f64_i32_e32 v[2:3], v2
.LBB6_648:
	s_mov_b32 s20, 0
.LBB6_649:
	s_andn2_b32 vcc_lo, exec_lo, s20
	s_cbranch_vccnz .LBB6_655
; %bb.650:
	s_cmp_gt_i32 s0, 0
	s_mov_b32 s0, 0
	s_cbranch_scc0 .LBB6_652
; %bb.651:
	global_load_sbyte v2, v[0:1], off
	s_waitcnt vmcnt(0)
	v_cvt_f64_i32_e32 v[2:3], v2
	s_branch .LBB6_653
.LBB6_652:
	s_mov_b32 s0, -1
                                        ; implicit-def: $vgpr2_vgpr3
.LBB6_653:
	s_andn2_b32 vcc_lo, exec_lo, s0
	s_cbranch_vccnz .LBB6_655
; %bb.654:
	global_load_ubyte v0, v[0:1], off
	s_waitcnt vmcnt(0)
	v_cvt_f64_u32_e32 v[2:3], v0
.LBB6_655:
	s_mov_b32 s20, -1
.LBB6_656:
	s_andn2_b32 vcc_lo, exec_lo, s20
	s_cbranch_vccnz .LBB6_668
; %bb.657:
	s_waitcnt vmcnt(0)
	v_cmp_ngt_f64_e64 s0, 0x41d00000, |v[2:3]|
                                        ; implicit-def: $vgpr6
                                        ; implicit-def: $vgpr0_vgpr1
                                        ; implicit-def: $vgpr4_vgpr5
	s_and_saveexec_b32 s20, s0
	s_xor_b32 s0, exec_lo, s20
	s_cbranch_execz .LBB6_659
; %bb.658:
	v_ldexp_f64 v[0:1], |v[2:3]|, 0xffffff80
	v_cmp_le_f64_e64 vcc_lo, 0x7b000000, |v[2:3]|
	v_trig_preop_f64 v[4:5], |v[2:3]|, 0
	v_and_b32_e32 v6, 0x7fffffff, v3
	v_trig_preop_f64 v[16:17], |v[2:3]|, 2
	v_mov_b32_e32 v25, 0
	s_mov_b32 s20, 0x54442d18
	s_mov_b32 s21, 0x3ff921fb
	;; [unrolled: 1-line block ×4, first 2 shown]
	v_cndmask_b32_e32 v1, v6, v1, vcc_lo
	v_cndmask_b32_e32 v0, v2, v0, vcc_lo
	v_trig_preop_f64 v[6:7], |v[2:3]|, 1
	v_mul_f64 v[8:9], v[4:5], v[0:1]
	v_mul_f64 v[22:23], v[16:17], v[0:1]
	v_mul_f64 v[10:11], v[6:7], v[0:1]
	v_fma_f64 v[4:5], v[4:5], v[0:1], -v[8:9]
	v_fma_f64 v[6:7], v[6:7], v[0:1], -v[10:11]
	;; [unrolled: 1-line block ×3, first 2 shown]
	v_add_f64 v[12:13], v[10:11], v[4:5]
	v_add_f64 v[14:15], v[12:13], -v[10:11]
	v_add_f64 v[20:21], v[8:9], v[12:13]
	v_add_f64 v[18:19], v[12:13], -v[14:15]
	v_add_f64 v[4:5], v[4:5], -v[14:15]
	v_ldexp_f64 v[14:15], v[20:21], -2
	v_add_f64 v[8:9], v[20:21], -v[8:9]
	v_add_f64 v[10:11], v[10:11], -v[18:19]
	v_add_f64 v[18:19], v[22:23], v[6:7]
	v_cmp_neq_f64_e64 vcc_lo, 0x7ff00000, |v[14:15]|
	v_add_f64 v[8:9], v[12:13], -v[8:9]
	v_add_f64 v[4:5], v[4:5], v[10:11]
	v_fract_f64_e32 v[10:11], v[14:15]
	v_add_f64 v[12:13], v[18:19], v[4:5]
	v_ldexp_f64 v[10:11], v[10:11], 2
	v_add_f64 v[14:15], v[8:9], v[12:13]
	v_cndmask_b32_e32 v11, 0, v11, vcc_lo
	v_cndmask_b32_e32 v10, 0, v10, vcc_lo
	v_add_f64 v[20:21], v[14:15], v[10:11]
	v_add_f64 v[8:9], v[14:15], -v[8:9]
	v_cmp_gt_f64_e32 vcc_lo, 0, v[20:21]
	v_add_f64 v[20:21], v[18:19], -v[22:23]
	v_cndmask_b32_e64 v26, 0, 0x40100000, vcc_lo
	v_add_f64 v[30:31], v[18:19], -v[20:21]
	v_add_f64 v[6:7], v[6:7], -v[20:21]
	v_add_f64 v[10:11], v[10:11], v[25:26]
	v_add_f64 v[26:27], v[12:13], -v[18:19]
	v_add_f64 v[20:21], v[22:23], -v[30:31]
	v_add_f64 v[28:29], v[14:15], v[10:11]
	;; [unrolled: 3-line block ×3, first 2 shown]
	v_cvt_i32_f64_e32 v28, v[28:29]
	v_add_f64 v[18:19], v[18:19], -v[32:33]
	v_cvt_f64_i32_e32 v[26:27], v28
	v_add_f64 v[4:5], v[4:5], v[18:19]
	v_add_f64 v[10:11], v[10:11], -v[26:27]
	v_add_f64 v[4:5], v[6:7], v[4:5]
	v_add_f64 v[6:7], v[12:13], -v[8:9]
	v_add_f64 v[16:17], v[14:15], v[10:11]
	v_add_f64 v[0:1], v[0:1], v[4:5]
	v_add_f64 v[4:5], v[16:17], -v[10:11]
	v_cmp_le_f64_e32 vcc_lo, 0.5, v[16:17]
	v_add_f64 v[0:1], v[6:7], v[0:1]
	v_add_f64 v[4:5], v[14:15], -v[4:5]
	v_cndmask_b32_e64 v26, 0, 0x3ff00000, vcc_lo
	v_add_co_ci_u32_e64 v6, null, 0, v28, vcc_lo
	v_add_f64 v[0:1], v[0:1], v[4:5]
	v_add_f64 v[4:5], v[16:17], -v[25:26]
	v_add_f64 v[7:8], v[4:5], v[0:1]
	v_mul_f64 v[9:10], v[7:8], s[20:21]
	v_add_f64 v[4:5], v[7:8], -v[4:5]
	v_fma_f64 v[11:12], v[7:8], s[20:21], -v[9:10]
	v_add_f64 v[0:1], v[0:1], -v[4:5]
	v_fma_f64 v[4:5], v[7:8], s[22:23], v[11:12]
	v_fma_f64 v[4:5], v[0:1], s[20:21], v[4:5]
	v_add_f64 v[0:1], v[9:10], v[4:5]
	v_add_f64 v[7:8], v[0:1], -v[9:10]
	v_add_f64 v[4:5], v[4:5], -v[7:8]
.LBB6_659:
	s_andn2_saveexec_b32 s0, s0
	s_cbranch_execz .LBB6_661
; %bb.660:
	s_mov_b32 s20, 0x6dc9c883
	s_mov_b32 s21, 0x3fe45f30
	;; [unrolled: 1-line block ×3, first 2 shown]
	v_mul_f64 v[0:1], |v[2:3]|, s[20:21]
	s_mov_b32 s20, 0x54442d18
	s_mov_b32 s21, 0xbff921fb
	;; [unrolled: 1-line block ×3, first 2 shown]
	v_rndne_f64_e32 v[6:7], v[0:1]
	v_fma_f64 v[0:1], v[6:7], s[20:21], |v[2:3]|
	v_mul_f64 v[4:5], v[6:7], s[22:23]
	s_mov_b32 s20, 0x252049c0
	s_mov_b32 s21, 0xb97b839a
	v_fma_f64 v[10:11], v[6:7], s[22:23], v[0:1]
	v_add_f64 v[8:9], v[0:1], v[4:5]
	s_mov_b32 s23, 0x3c91a626
	v_add_f64 v[0:1], v[0:1], -v[8:9]
	v_add_f64 v[8:9], v[8:9], -v[10:11]
	v_add_f64 v[0:1], v[0:1], v[4:5]
	v_fma_f64 v[4:5], v[6:7], s[22:23], v[4:5]
	v_add_f64 v[0:1], v[8:9], v[0:1]
	v_add_f64 v[0:1], v[0:1], -v[4:5]
	v_fma_f64 v[4:5], v[6:7], s[20:21], v[0:1]
	v_cvt_i32_f64_e32 v6, v[6:7]
	v_add_f64 v[0:1], v[10:11], v[4:5]
	v_add_f64 v[8:9], v[0:1], -v[10:11]
	v_add_f64 v[4:5], v[4:5], -v[8:9]
.LBB6_661:
	s_or_b32 exec_lo, exec_lo, s0
	v_mul_f64 v[7:8], v[0:1], v[0:1]
	s_mov_b32 s20, 0xb42fdfa7
	s_mov_b32 s22, 0xf9a43bb8
	;; [unrolled: 1-line block ×6, first 2 shown]
	v_mul_f64 v[17:18], v[4:5], 0.5
	v_cmp_class_f64_e64 s0, v[2:3], 0x1f8
	v_lshlrev_b32_e32 v2, 30, v6
	v_xor_b32_e32 v2, v2, v3
	v_mul_lo_u32 v3, v24, s2
	v_and_b32_e32 v2, 0x80000000, v2
	v_fma_f64 v[9:10], v[7:8], s[22:23], s[20:21]
	s_mov_b32 s20, 0x9037ab78
	s_mov_b32 s22, 0x46cc5e42
	;; [unrolled: 1-line block ×4, first 2 shown]
	v_mul_f64 v[13:14], v[7:8], 0.5
	v_fma_f64 v[11:12], v[7:8], s[22:23], s[20:21]
	s_mov_b32 s20, 0xa17f65f6
	s_mov_b32 s22, 0x19e83e5c
	;; [unrolled: 1-line block ×4, first 2 shown]
	v_mul_f64 v[19:20], v[0:1], -v[7:8]
	v_fma_f64 v[9:10], v[7:8], v[9:10], s[24:25]
	v_add_f64 v[15:16], -v[13:14], 1.0
	v_fma_f64 v[11:12], v[7:8], v[11:12], s[20:21]
	s_mov_b32 s20, 0x19f4ec90
	s_mov_b32 s21, 0x3efa01a0
	v_fma_f64 v[9:10], v[7:8], v[9:10], s[22:23]
	s_mov_b32 s22, 0x11110bb3
	s_mov_b32 s23, 0x3f811111
	v_add_f64 v[21:22], -v[15:16], 1.0
	v_fma_f64 v[11:12], v[7:8], v[11:12], s[20:21]
	s_mov_b32 s20, 0x16c16967
	s_mov_b32 s21, 0xbf56c16c
	v_fma_f64 v[9:10], v[7:8], v[9:10], s[22:23]
	s_mov_b32 s22, 0
	v_add_f64 v[13:14], v[21:22], -v[13:14]
	v_fma_f64 v[11:12], v[7:8], v[11:12], s[20:21]
	s_mov_b32 s21, 0x3fa55555
	s_mov_b32 s20, 0x55555555
	v_fma_f64 v[9:10], v[19:20], v[9:10], v[17:18]
	v_mul_f64 v[17:18], v[7:8], v[7:8]
	v_fma_f64 v[13:14], v[0:1], -v[4:5], v[13:14]
	v_fma_f64 v[11:12], v[7:8], v[11:12], s[20:21]
	s_mov_b32 s21, 0xbfc55555
	v_fma_f64 v[4:5], v[7:8], v[9:10], -v[4:5]
	v_fma_f64 v[7:8], v[17:18], v[11:12], v[13:14]
	v_fma_f64 v[4:5], v[19:20], s[20:21], v[4:5]
	s_and_b32 s20, s1, 0xff
	s_mov_b32 s21, -1
	s_cmp_lt_i32 s20, 11
	v_add_f64 v[7:8], v[15:16], v[7:8]
	v_add_f64 v[0:1], v[0:1], -v[4:5]
	v_and_b32_e32 v4, 1, v6
	v_ashrrev_i32_e32 v5, 31, v3
	v_cmp_eq_u32_e32 vcc_lo, 0, v4
	v_cndmask_b32_e32 v1, v8, v1, vcc_lo
	v_cndmask_b32_e32 v0, v7, v0, vcc_lo
	v_add_co_u32 v4, vcc_lo, s8, v3
	v_add_co_ci_u32_e64 v5, null, s9, v5, vcc_lo
	v_xor_b32_e32 v1, v1, v2
	v_cndmask_b32_e64 v0, 0, v0, s0
	v_cndmask_b32_e64 v1, 0x7ff80000, v1, s0
	s_mov_b32 s0, s16
	s_cbranch_scc1 .LBB6_669
; %bb.662:
	s_and_b32 s21, 0xffff, s20
	s_cmp_gt_i32 s21, 25
	s_cbranch_scc0 .LBB6_710
; %bb.663:
	s_cmp_gt_i32 s21, 28
	s_cbranch_scc0 .LBB6_711
; %bb.664:
	s_cmp_gt_i32 s21, 43
	s_cbranch_scc0 .LBB6_712
; %bb.665:
	s_cmp_gt_i32 s21, 45
	s_cbranch_scc0 .LBB6_713
; %bb.666:
	s_mov_b32 s23, 0
	s_mov_b32 s0, -1
	s_cmp_eq_u32 s21, 46
	s_cbranch_scc0 .LBB6_714
; %bb.667:
	v_cvt_f32_f64_e32 v2, v[0:1]
	s_mov_b32 s22, -1
	s_mov_b32 s0, 0
	v_bfe_u32 v3, v2, 16, 1
	v_cmp_o_f32_e32 vcc_lo, v2, v2
	v_add3_u32 v2, v2, v3, 0x7fff
	v_mov_b32_e32 v3, 0x7fc0
	v_cndmask_b32_sdwa v2, v3, v2, vcc_lo dst_sel:DWORD dst_unused:UNUSED_PAD src0_sel:DWORD src1_sel:WORD_1
	global_store_dword v[4:5], v2, off
	s_branch .LBB6_714
.LBB6_668:
	s_mov_b32 s20, 0
	s_mov_b32 s0, s16
	s_branch .LBB6_709
.LBB6_669:
	s_and_b32 vcc_lo, exec_lo, s21
	s_cbranch_vccz .LBB6_783
; %bb.670:
	s_and_b32 s20, 0xffff, s20
	s_mov_b32 s21, -1
	s_cmp_lt_i32 s20, 5
	s_cbranch_scc1 .LBB6_691
; %bb.671:
	s_cmp_lt_i32 s20, 8
	s_cbranch_scc1 .LBB6_681
; %bb.672:
	;; [unrolled: 3-line block ×3, first 2 shown]
	s_cmp_gt_i32 s20, 9
	s_cbranch_scc0 .LBB6_675
; %bb.674:
	v_mov_b32_e32 v2, 0
	s_mov_b32 s21, 0
	v_mov_b32_e32 v3, v2
	global_store_dwordx4 v[4:5], v[0:3], off
.LBB6_675:
	s_andn2_b32 vcc_lo, exec_lo, s21
	s_cbranch_vccnz .LBB6_677
; %bb.676:
	v_cvt_f32_f64_e32 v2, v[0:1]
	v_mov_b32_e32 v3, 0
	global_store_dwordx2 v[4:5], v[2:3], off
.LBB6_677:
	s_mov_b32 s21, 0
.LBB6_678:
	s_andn2_b32 vcc_lo, exec_lo, s21
	s_cbranch_vccnz .LBB6_680
; %bb.679:
	v_and_or_b32 v2, 0x1ff, v1, v0
	v_lshrrev_b32_e32 v3, 8, v1
	v_bfe_u32 v6, v1, 20, 11
	v_cmp_ne_u32_e32 vcc_lo, 0, v2
	v_sub_nc_u32_e32 v7, 0x3f1, v6
	v_add_nc_u32_e32 v6, 0xfffffc10, v6
	v_cndmask_b32_e64 v2, 0, 1, vcc_lo
	v_and_or_b32 v2, 0xffe, v3, v2
	v_med3_i32 v3, v7, 0, 13
	v_or_b32_e32 v7, 0x1000, v2
	v_lshrrev_b32_e32 v8, v3, v7
	v_lshlrev_b32_e32 v3, v3, v8
	v_cmp_ne_u32_e32 vcc_lo, v3, v7
	v_lshl_or_b32 v7, v6, 12, v2
	v_cndmask_b32_e64 v3, 0, 1, vcc_lo
	v_cmp_gt_i32_e32 vcc_lo, 1, v6
	v_or_b32_e32 v3, v8, v3
	v_cndmask_b32_e32 v3, v7, v3, vcc_lo
	v_and_b32_e32 v7, 7, v3
	v_lshrrev_b32_e32 v3, 2, v3
	v_cmp_lt_i32_e32 vcc_lo, 5, v7
	v_cndmask_b32_e64 v8, 0, 1, vcc_lo
	v_cmp_eq_u32_e32 vcc_lo, 3, v7
	v_cndmask_b32_e64 v7, 0, 1, vcc_lo
	v_cmp_ne_u32_e32 vcc_lo, 0, v2
	v_or_b32_e32 v7, v7, v8
	v_mov_b32_e32 v8, 0x7e00
	v_add_nc_u32_e32 v3, v3, v7
	v_cndmask_b32_e32 v2, 0x7c00, v8, vcc_lo
	v_cmp_gt_i32_e32 vcc_lo, 31, v6
	v_cndmask_b32_e32 v3, 0x7c00, v3, vcc_lo
	v_cmp_eq_u32_e32 vcc_lo, 0x40f, v6
	v_cndmask_b32_e32 v2, v3, v2, vcc_lo
	v_lshrrev_b32_e32 v3, 16, v1
	v_and_or_b32 v2, 0x8000, v3, v2
	v_and_b32_e32 v2, 0xffff, v2
	global_store_dword v[4:5], v2, off
.LBB6_680:
	s_mov_b32 s21, 0
.LBB6_681:
	s_andn2_b32 vcc_lo, exec_lo, s21
	s_cbranch_vccnz .LBB6_690
; %bb.682:
	s_cmp_lt_i32 s20, 6
	s_mov_b32 s21, -1
	s_cbranch_scc1 .LBB6_688
; %bb.683:
	s_cmp_gt_i32 s20, 6
	s_cbranch_scc0 .LBB6_685
; %bb.684:
	s_mov_b32 s21, 0
	global_store_dwordx2 v[4:5], v[0:1], off
.LBB6_685:
	s_andn2_b32 vcc_lo, exec_lo, s21
	s_cbranch_vccnz .LBB6_687
; %bb.686:
	v_cvt_f32_f64_e32 v2, v[0:1]
	global_store_dword v[4:5], v2, off
.LBB6_687:
	s_mov_b32 s21, 0
.LBB6_688:
	s_andn2_b32 vcc_lo, exec_lo, s21
	s_cbranch_vccnz .LBB6_690
; %bb.689:
	v_and_or_b32 v2, 0x1ff, v1, v0
	v_lshrrev_b32_e32 v3, 8, v1
	v_bfe_u32 v6, v1, 20, 11
	v_cmp_ne_u32_e32 vcc_lo, 0, v2
	v_sub_nc_u32_e32 v7, 0x3f1, v6
	v_add_nc_u32_e32 v6, 0xfffffc10, v6
	v_cndmask_b32_e64 v2, 0, 1, vcc_lo
	v_and_or_b32 v2, 0xffe, v3, v2
	v_med3_i32 v3, v7, 0, 13
	v_or_b32_e32 v7, 0x1000, v2
	v_lshrrev_b32_e32 v8, v3, v7
	v_lshlrev_b32_e32 v3, v3, v8
	v_cmp_ne_u32_e32 vcc_lo, v3, v7
	v_lshl_or_b32 v7, v6, 12, v2
	v_cndmask_b32_e64 v3, 0, 1, vcc_lo
	v_cmp_gt_i32_e32 vcc_lo, 1, v6
	v_or_b32_e32 v3, v8, v3
	v_cndmask_b32_e32 v3, v7, v3, vcc_lo
	v_and_b32_e32 v7, 7, v3
	v_lshrrev_b32_e32 v3, 2, v3
	v_cmp_lt_i32_e32 vcc_lo, 5, v7
	v_cndmask_b32_e64 v8, 0, 1, vcc_lo
	v_cmp_eq_u32_e32 vcc_lo, 3, v7
	v_cndmask_b32_e64 v7, 0, 1, vcc_lo
	v_cmp_ne_u32_e32 vcc_lo, 0, v2
	v_or_b32_e32 v7, v7, v8
	v_mov_b32_e32 v8, 0x7e00
	v_add_nc_u32_e32 v3, v3, v7
	v_cndmask_b32_e32 v2, 0x7c00, v8, vcc_lo
	v_cmp_gt_i32_e32 vcc_lo, 31, v6
	v_cndmask_b32_e32 v3, 0x7c00, v3, vcc_lo
	v_cmp_eq_u32_e32 vcc_lo, 0x40f, v6
	v_cndmask_b32_e32 v2, v3, v2, vcc_lo
	v_lshrrev_b32_e32 v3, 16, v1
	v_and_or_b32 v2, 0x8000, v3, v2
	global_store_short v[4:5], v2, off
.LBB6_690:
	s_mov_b32 s21, 0
.LBB6_691:
	s_andn2_b32 vcc_lo, exec_lo, s21
	s_cbranch_vccnz .LBB6_707
; %bb.692:
	s_cmp_lt_i32 s20, 2
	s_mov_b32 s21, -1
	s_cbranch_scc1 .LBB6_702
; %bb.693:
	s_cmp_lt_i32 s20, 3
	s_cbranch_scc1 .LBB6_699
; %bb.694:
	s_cmp_gt_i32 s20, 3
	s_cbranch_scc0 .LBB6_696
; %bb.695:
	v_trunc_f64_e32 v[2:3], v[0:1]
	s_mov_b32 s21, 0
	v_ldexp_f64 v[6:7], v[2:3], 0xffffffe0
	v_floor_f64_e32 v[6:7], v[6:7]
	v_fma_f64 v[2:3], 0xc1f00000, v[6:7], v[2:3]
	v_cvt_i32_f64_e32 v7, v[6:7]
	v_cvt_u32_f64_e32 v6, v[2:3]
	global_store_dwordx2 v[4:5], v[6:7], off
.LBB6_696:
	s_andn2_b32 vcc_lo, exec_lo, s21
	s_cbranch_vccnz .LBB6_698
; %bb.697:
	v_cvt_i32_f64_e32 v2, v[0:1]
	global_store_dword v[4:5], v2, off
.LBB6_698:
	s_mov_b32 s21, 0
.LBB6_699:
	s_andn2_b32 vcc_lo, exec_lo, s21
	s_cbranch_vccnz .LBB6_701
; %bb.700:
	v_cvt_i32_f64_e32 v2, v[0:1]
	global_store_short v[4:5], v2, off
.LBB6_701:
	s_mov_b32 s21, 0
.LBB6_702:
	s_andn2_b32 vcc_lo, exec_lo, s21
	s_cbranch_vccnz .LBB6_707
; %bb.703:
	s_cmp_gt_i32 s20, 0
	s_mov_b32 s20, -1
	s_cbranch_scc0 .LBB6_705
; %bb.704:
	v_cvt_i32_f64_e32 v2, v[0:1]
	s_mov_b32 s20, 0
	global_store_byte v[4:5], v2, off
.LBB6_705:
	s_andn2_b32 vcc_lo, exec_lo, s20
	s_cbranch_vccnz .LBB6_707
; %bb.706:
	v_trunc_f64_e32 v[0:1], v[0:1]
	v_ldexp_f64 v[2:3], v[0:1], 0xffffffe0
	v_floor_f64_e32 v[2:3], v[2:3]
	v_fma_f64 v[0:1], 0xc1f00000, v[2:3], v[0:1]
	v_cvt_u32_f64_e32 v0, v[0:1]
	global_store_byte v[4:5], v0, off
.LBB6_707:
	s_branch .LBB6_784
.LBB6_708:
	s_mov_b32 s20, 0
.LBB6_709:
                                        ; implicit-def: $vgpr24
	s_branch .LBB6_785
.LBB6_710:
	s_mov_b32 s23, -1
	s_mov_b32 s0, s16
	s_branch .LBB6_741
.LBB6_711:
	s_mov_b32 s23, -1
	s_mov_b32 s0, s16
	s_branch .LBB6_724
.LBB6_712:
	s_mov_b32 s23, -1
	s_mov_b32 s0, s16
	s_branch .LBB6_720
.LBB6_713:
	s_mov_b32 s23, -1
	s_mov_b32 s0, s16
.LBB6_714:
	s_and_b32 vcc_lo, exec_lo, s23
	s_cbranch_vccz .LBB6_719
; %bb.715:
	s_cmp_eq_u32 s21, 44
	s_mov_b32 s0, -1
	s_cbranch_scc0 .LBB6_719
; %bb.716:
	v_cvt_f32_f64_e32 v2, v[0:1]
	v_mov_b32_e32 v3, 0xff
	s_mov_b32 s22, exec_lo
	v_bfe_u32 v6, v2, 23, 8
	v_cmpx_ne_u32_e32 0xff, v6
	s_cbranch_execz .LBB6_718
; %bb.717:
	v_and_b32_e32 v3, 0x400000, v2
	v_and_or_b32 v6, 0x3fffff, v2, v6
	v_lshrrev_b32_e32 v2, 23, v2
	v_cmp_ne_u32_e32 vcc_lo, 0, v3
	v_cmp_ne_u32_e64 s0, 0, v6
	s_and_b32 s0, vcc_lo, s0
	v_cndmask_b32_e64 v3, 0, 1, s0
	v_add_nc_u32_e32 v3, v2, v3
.LBB6_718:
	s_or_b32 exec_lo, exec_lo, s22
	s_mov_b32 s22, -1
	s_mov_b32 s0, 0
	global_store_byte v[4:5], v3, off
.LBB6_719:
	s_mov_b32 s23, 0
.LBB6_720:
	s_and_b32 vcc_lo, exec_lo, s23
	s_cbranch_vccz .LBB6_723
; %bb.721:
	s_cmp_eq_u32 s21, 29
	s_mov_b32 s0, -1
	s_cbranch_scc0 .LBB6_723
; %bb.722:
	v_trunc_f64_e32 v[2:3], v[0:1]
	s_mov_b32 s22, -1
	s_mov_b32 s0, 0
	s_mov_b32 s23, 0
	v_ldexp_f64 v[6:7], v[2:3], 0xffffffe0
	v_floor_f64_e32 v[6:7], v[6:7]
	v_fma_f64 v[2:3], 0xc1f00000, v[6:7], v[2:3]
	v_cvt_u32_f64_e32 v7, v[6:7]
	v_cvt_u32_f64_e32 v6, v[2:3]
	global_store_dwordx2 v[4:5], v[6:7], off
	s_branch .LBB6_724
.LBB6_723:
	s_mov_b32 s23, 0
.LBB6_724:
	s_and_b32 vcc_lo, exec_lo, s23
	s_cbranch_vccz .LBB6_740
; %bb.725:
	s_cmp_lt_i32 s21, 27
	s_mov_b32 s22, -1
	s_cbranch_scc1 .LBB6_731
; %bb.726:
	v_cvt_u32_f64_e32 v2, v[0:1]
	s_cmp_gt_i32 s21, 27
	s_cbranch_scc0 .LBB6_728
; %bb.727:
	s_mov_b32 s22, 0
	global_store_dword v[4:5], v2, off
.LBB6_728:
	s_andn2_b32 vcc_lo, exec_lo, s22
	s_cbranch_vccnz .LBB6_730
; %bb.729:
	global_store_short v[4:5], v2, off
.LBB6_730:
	s_mov_b32 s22, 0
.LBB6_731:
	s_andn2_b32 vcc_lo, exec_lo, s22
	s_cbranch_vccnz .LBB6_739
; %bb.732:
	v_cvt_f32_f64_e32 v2, v[0:1]
	v_mov_b32_e32 v6, 0x80
	s_mov_b32 s22, exec_lo
	v_and_b32_e32 v3, 0x7fffffff, v2
	v_cmpx_gt_u32_e32 0x43800000, v3
	s_cbranch_execz .LBB6_738
; %bb.733:
	v_cmp_lt_u32_e32 vcc_lo, 0x3bffffff, v3
	s_mov_b32 s23, 0
                                        ; implicit-def: $vgpr3
	s_and_saveexec_b32 s24, vcc_lo
	s_xor_b32 s24, exec_lo, s24
	s_cbranch_execz .LBB6_799
; %bb.734:
	v_bfe_u32 v3, v2, 20, 1
	s_mov_b32 s23, exec_lo
	v_add3_u32 v3, v2, v3, 0x487ffff
	v_lshrrev_b32_e32 v3, 20, v3
	s_andn2_saveexec_b32 s24, s24
	s_cbranch_execnz .LBB6_800
.LBB6_735:
	s_or_b32 exec_lo, exec_lo, s24
	v_mov_b32_e32 v6, 0
	s_and_saveexec_b32 s24, s23
.LBB6_736:
	v_lshrrev_b32_e32 v2, 24, v2
	v_and_or_b32 v6, 0x80, v2, v3
.LBB6_737:
	s_or_b32 exec_lo, exec_lo, s24
.LBB6_738:
	s_or_b32 exec_lo, exec_lo, s22
	global_store_byte v[4:5], v6, off
.LBB6_739:
	s_mov_b32 s22, -1
.LBB6_740:
	s_mov_b32 s23, 0
.LBB6_741:
	s_and_b32 vcc_lo, exec_lo, s23
	s_cbranch_vccz .LBB6_782
; %bb.742:
	s_cmp_gt_i32 s21, 22
	s_mov_b32 s23, -1
	s_cbranch_scc0 .LBB6_774
; %bb.743:
	s_cmp_lt_i32 s21, 24
	s_mov_b32 s22, -1
	s_cbranch_scc1 .LBB6_763
; %bb.744:
	s_cmp_gt_i32 s21, 24
	s_cbranch_scc0 .LBB6_752
; %bb.745:
	v_cvt_f32_f64_e32 v2, v[0:1]
	v_mov_b32_e32 v6, 0x80
	s_mov_b32 s22, exec_lo
	v_and_b32_e32 v3, 0x7fffffff, v2
	v_cmpx_gt_u32_e32 0x47800000, v3
	s_cbranch_execz .LBB6_751
; %bb.746:
	v_cmp_lt_u32_e32 vcc_lo, 0x37ffffff, v3
	s_mov_b32 s23, 0
                                        ; implicit-def: $vgpr3
	s_and_saveexec_b32 s24, vcc_lo
	s_xor_b32 s24, exec_lo, s24
	s_cbranch_execz .LBB6_802
; %bb.747:
	v_bfe_u32 v3, v2, 21, 1
	s_mov_b32 s23, exec_lo
	v_add3_u32 v3, v2, v3, 0x88fffff
	v_lshrrev_b32_e32 v3, 21, v3
	s_andn2_saveexec_b32 s24, s24
	s_cbranch_execnz .LBB6_803
.LBB6_748:
	s_or_b32 exec_lo, exec_lo, s24
	v_mov_b32_e32 v6, 0
	s_and_saveexec_b32 s24, s23
.LBB6_749:
	v_lshrrev_b32_e32 v2, 24, v2
	v_and_or_b32 v6, 0x80, v2, v3
.LBB6_750:
	s_or_b32 exec_lo, exec_lo, s24
.LBB6_751:
	s_or_b32 exec_lo, exec_lo, s22
	s_mov_b32 s22, 0
	global_store_byte v[4:5], v6, off
.LBB6_752:
	s_and_b32 vcc_lo, exec_lo, s22
	s_cbranch_vccz .LBB6_762
; %bb.753:
	v_cvt_f32_f64_e32 v2, v[0:1]
	s_mov_b32 s22, exec_lo
                                        ; implicit-def: $vgpr3
	v_and_b32_e32 v6, 0x7fffffff, v2
	v_cmpx_gt_u32_e32 0x43f00000, v6
	s_xor_b32 s22, exec_lo, s22
	s_cbranch_execz .LBB6_759
; %bb.754:
	s_mov_b32 s23, exec_lo
                                        ; implicit-def: $vgpr3
	v_cmpx_lt_u32_e32 0x3c7fffff, v6
	s_xor_b32 s23, exec_lo, s23
; %bb.755:
	v_bfe_u32 v3, v2, 20, 1
	v_add3_u32 v3, v2, v3, 0x407ffff
	v_and_b32_e32 v6, 0xff00000, v3
	v_lshrrev_b32_e32 v3, 20, v3
	v_cmp_ne_u32_e32 vcc_lo, 0x7f00000, v6
	v_cndmask_b32_e32 v3, 0x7e, v3, vcc_lo
; %bb.756:
	s_andn2_saveexec_b32 s23, s23
; %bb.757:
	v_add_f32_e64 v3, 0x46800000, |v2|
; %bb.758:
	s_or_b32 exec_lo, exec_lo, s23
                                        ; implicit-def: $vgpr6
.LBB6_759:
	s_andn2_saveexec_b32 s22, s22
; %bb.760:
	v_mov_b32_e32 v3, 0x7f
	v_cmp_lt_u32_e32 vcc_lo, 0x7f800000, v6
	v_cndmask_b32_e32 v3, 0x7e, v3, vcc_lo
; %bb.761:
	s_or_b32 exec_lo, exec_lo, s22
	v_lshrrev_b32_e32 v2, 24, v2
	v_and_or_b32 v2, 0x80, v2, v3
	global_store_byte v[4:5], v2, off
.LBB6_762:
	s_mov_b32 s22, 0
.LBB6_763:
	s_andn2_b32 vcc_lo, exec_lo, s22
	s_cbranch_vccnz .LBB6_773
; %bb.764:
	v_cvt_f32_f64_e32 v2, v[0:1]
	s_mov_b32 s22, exec_lo
                                        ; implicit-def: $vgpr3
	v_and_b32_e32 v6, 0x7fffffff, v2
	v_cmpx_gt_u32_e32 0x47800000, v6
	s_xor_b32 s22, exec_lo, s22
	s_cbranch_execz .LBB6_770
; %bb.765:
	s_mov_b32 s23, exec_lo
                                        ; implicit-def: $vgpr3
	v_cmpx_lt_u32_e32 0x387fffff, v6
	s_xor_b32 s23, exec_lo, s23
; %bb.766:
	v_bfe_u32 v3, v2, 21, 1
	v_add3_u32 v3, v2, v3, 0x80fffff
	v_lshrrev_b32_e32 v3, 21, v3
; %bb.767:
	s_andn2_saveexec_b32 s23, s23
; %bb.768:
	v_add_f32_e64 v3, 0x43000000, |v2|
; %bb.769:
	s_or_b32 exec_lo, exec_lo, s23
                                        ; implicit-def: $vgpr6
.LBB6_770:
	s_andn2_saveexec_b32 s22, s22
; %bb.771:
	v_mov_b32_e32 v3, 0x7f
	v_cmp_lt_u32_e32 vcc_lo, 0x7f800000, v6
	v_cndmask_b32_e32 v3, 0x7c, v3, vcc_lo
; %bb.772:
	s_or_b32 exec_lo, exec_lo, s22
	v_lshrrev_b32_e32 v2, 24, v2
	v_and_or_b32 v2, 0x80, v2, v3
	global_store_byte v[4:5], v2, off
.LBB6_773:
	s_mov_b32 s23, 0
	s_mov_b32 s22, -1
.LBB6_774:
	s_andn2_b32 vcc_lo, exec_lo, s23
	s_cbranch_vccnz .LBB6_782
; %bb.775:
	s_cmp_gt_i32 s21, 14
	s_mov_b32 s23, -1
	s_cbranch_scc0 .LBB6_779
; %bb.776:
	s_cmp_eq_u32 s21, 15
	s_mov_b32 s0, -1
	s_cbranch_scc0 .LBB6_778
; %bb.777:
	v_cvt_f32_f64_e32 v2, v[0:1]
	s_mov_b32 s22, -1
	s_mov_b32 s0, 0
	v_bfe_u32 v3, v2, 16, 1
	v_cmp_o_f32_e32 vcc_lo, v2, v2
	v_add3_u32 v2, v2, v3, 0x7fff
	v_mov_b32_e32 v3, 0x7fc0
	v_cndmask_b32_sdwa v2, v3, v2, vcc_lo dst_sel:DWORD dst_unused:UNUSED_PAD src0_sel:DWORD src1_sel:WORD_1
	global_store_short v[4:5], v2, off
.LBB6_778:
	s_mov_b32 s23, 0
.LBB6_779:
	s_and_b32 vcc_lo, exec_lo, s23
	s_cbranch_vccz .LBB6_782
; %bb.780:
	s_cmp_eq_u32 s21, 11
	s_mov_b32 s0, -1
	s_cbranch_scc0 .LBB6_782
; %bb.781:
	v_cmp_neq_f64_e32 vcc_lo, 0, v[0:1]
	s_mov_b32 s22, -1
	s_mov_b32 s0, 0
	v_cndmask_b32_e64 v2, 0, 1, vcc_lo
	global_store_byte v[4:5], v2, off
.LBB6_782:
.LBB6_783:
	s_andn2_b32 vcc_lo, exec_lo, s22
	s_cbranch_vccnz .LBB6_708
.LBB6_784:
	v_add_nc_u32_e32 v24, 0x80, v24
	s_mov_b32 s20, -1
.LBB6_785:
	s_andn2_b32 s21, s16, exec_lo
	s_and_b32 s0, s0, exec_lo
	s_andn2_b32 s22, s15, exec_lo
	s_and_b32 s23, s19, exec_lo
	s_or_b32 s19, s21, s0
	s_or_b32 s0, s22, s23
	s_orn2_b32 s20, s20, exec_lo
.LBB6_786:
	s_or_b32 exec_lo, exec_lo, s18
	s_mov_b32 s21, 0
	s_mov_b32 s22, 0
	;; [unrolled: 1-line block ×3, first 2 shown]
                                        ; implicit-def: $vgpr0_vgpr1
                                        ; implicit-def: $vgpr2_vgpr3
	s_and_saveexec_b32 s18, s20
	s_cbranch_execz .LBB6_871
; %bb.787:
	v_cmp_gt_i32_e32 vcc_lo, s12, v24
	s_mov_b32 s20, 0
	s_mov_b32 s21, s0
	s_mov_b32 s24, 0
                                        ; implicit-def: $vgpr0_vgpr1
                                        ; implicit-def: $vgpr2_vgpr3
	s_and_saveexec_b32 s12, vcc_lo
	s_cbranch_execz .LBB6_870
; %bb.788:
	v_mul_lo_u32 v0, v24, s3
	s_and_b32 s20, 0xffff, s5
	s_cmp_lt_i32 s20, 11
	v_ashrrev_i32_e32 v1, 31, v0
	v_add_co_u32 v0, vcc_lo, s10, v0
	v_add_co_ci_u32_e64 v1, null, s11, v1, vcc_lo
	s_cbranch_scc1 .LBB6_795
; %bb.789:
	s_cmp_gt_i32 s20, 25
	s_cbranch_scc0 .LBB6_796
; %bb.790:
	s_cmp_gt_i32 s20, 28
	s_cbranch_scc0 .LBB6_797
	;; [unrolled: 3-line block ×4, first 2 shown]
; %bb.793:
	s_cmp_eq_u32 s20, 46
	s_cbranch_scc0 .LBB6_804
; %bb.794:
	global_load_dword v2, v[0:1], off
	s_mov_b32 s21, 0
	s_mov_b32 s23, -1
	s_waitcnt vmcnt(0)
	v_lshlrev_b32_e32 v2, 16, v2
	v_cvt_f64_f32_e32 v[2:3], v2
	s_branch .LBB6_806
.LBB6_795:
	s_mov_b32 s20, -1
	s_mov_b32 s21, s0
                                        ; implicit-def: $vgpr2_vgpr3
	s_branch .LBB6_869
.LBB6_796:
	s_mov_b32 s24, -1
	s_mov_b32 s21, s0
                                        ; implicit-def: $vgpr2_vgpr3
	s_branch .LBB6_837
.LBB6_797:
	s_mov_b32 s24, -1
	s_mov_b32 s21, s0
                                        ; implicit-def: $vgpr2_vgpr3
	s_branch .LBB6_816
.LBB6_798:
	s_mov_b32 s24, -1
	s_mov_b32 s21, s0
                                        ; implicit-def: $vgpr2_vgpr3
	s_branch .LBB6_811
.LBB6_799:
	s_andn2_saveexec_b32 s24, s24
	s_cbranch_execz .LBB6_735
.LBB6_800:
	v_add_f32_e64 v3, 0x46000000, |v2|
	s_andn2_b32 s23, s23, exec_lo
	v_and_b32_e32 v3, 0xff, v3
	v_cmp_ne_u32_e32 vcc_lo, 0, v3
	s_and_b32 s25, vcc_lo, exec_lo
	s_or_b32 s23, s23, s25
	s_or_b32 exec_lo, exec_lo, s24
	v_mov_b32_e32 v6, 0
	s_and_saveexec_b32 s24, s23
	s_cbranch_execnz .LBB6_736
	s_branch .LBB6_737
.LBB6_801:
	s_mov_b32 s24, -1
	s_mov_b32 s21, s0
	s_branch .LBB6_805
.LBB6_802:
	s_andn2_saveexec_b32 s24, s24
	s_cbranch_execz .LBB6_748
.LBB6_803:
	v_add_f32_e64 v3, 0x42800000, |v2|
	s_andn2_b32 s23, s23, exec_lo
	v_and_b32_e32 v3, 0xff, v3
	v_cmp_ne_u32_e32 vcc_lo, 0, v3
	s_and_b32 s25, vcc_lo, exec_lo
	s_or_b32 s23, s23, s25
	s_or_b32 exec_lo, exec_lo, s24
	v_mov_b32_e32 v6, 0
	s_and_saveexec_b32 s24, s23
	s_cbranch_execnz .LBB6_749
	s_branch .LBB6_750
.LBB6_804:
	s_mov_b32 s21, -1
.LBB6_805:
                                        ; implicit-def: $vgpr2_vgpr3
.LBB6_806:
	s_and_b32 vcc_lo, exec_lo, s24
	s_cbranch_vccz .LBB6_810
; %bb.807:
	s_cmp_eq_u32 s20, 44
	s_cbranch_scc0 .LBB6_809
; %bb.808:
	global_load_ubyte v4, v[0:1], off
	s_mov_b32 s21, 0
	s_mov_b32 s23, -1
	s_waitcnt vmcnt(0)
	v_lshlrev_b32_e32 v2, 23, v4
	v_cmp_ne_u32_e32 vcc_lo, 0xff, v4
	v_cvt_f64_f32_e32 v[2:3], v2
	v_cndmask_b32_e32 v2, 0x20000000, v2, vcc_lo
	v_cndmask_b32_e32 v3, 0x7ff80000, v3, vcc_lo
	v_cmp_ne_u32_e32 vcc_lo, 0, v4
	v_cndmask_b32_e32 v3, 0x38000000, v3, vcc_lo
	v_cndmask_b32_e32 v2, 0, v2, vcc_lo
	s_branch .LBB6_810
.LBB6_809:
	s_mov_b32 s21, -1
                                        ; implicit-def: $vgpr2_vgpr3
.LBB6_810:
	s_mov_b32 s24, 0
.LBB6_811:
	s_and_b32 vcc_lo, exec_lo, s24
	s_cbranch_vccz .LBB6_815
; %bb.812:
	s_cmp_eq_u32 s20, 29
	s_cbranch_scc0 .LBB6_814
; %bb.813:
	global_load_dwordx2 v[2:3], v[0:1], off
	s_mov_b32 s21, 0
	s_mov_b32 s23, -1
	s_mov_b32 s24, 0
	s_waitcnt vmcnt(0)
	v_cvt_f64_u32_e32 v[3:4], v3
	v_cvt_f64_u32_e32 v[5:6], v2
	v_ldexp_f64 v[3:4], v[3:4], 32
	v_add_f64 v[2:3], v[3:4], v[5:6]
	s_branch .LBB6_816
.LBB6_814:
	s_mov_b32 s21, -1
                                        ; implicit-def: $vgpr2_vgpr3
.LBB6_815:
	s_mov_b32 s24, 0
.LBB6_816:
	s_and_b32 vcc_lo, exec_lo, s24
	s_cbranch_vccz .LBB6_836
; %bb.817:
	s_cmp_lt_i32 s20, 27
	s_cbranch_scc1 .LBB6_820
; %bb.818:
	s_cmp_gt_i32 s20, 27
	s_cbranch_scc0 .LBB6_821
; %bb.819:
	global_load_dword v2, v[0:1], off
	s_mov_b32 s23, 0
	s_waitcnt vmcnt(0)
	v_cvt_f64_u32_e32 v[2:3], v2
	s_branch .LBB6_822
.LBB6_820:
	s_mov_b32 s23, -1
                                        ; implicit-def: $vgpr2_vgpr3
	s_branch .LBB6_825
.LBB6_821:
	s_mov_b32 s23, -1
                                        ; implicit-def: $vgpr2_vgpr3
.LBB6_822:
	s_andn2_b32 vcc_lo, exec_lo, s23
	s_cbranch_vccnz .LBB6_824
; %bb.823:
	global_load_ushort v2, v[0:1], off
	s_waitcnt vmcnt(0)
	v_cvt_f64_u32_e32 v[2:3], v2
.LBB6_824:
	s_mov_b32 s23, 0
.LBB6_825:
	s_andn2_b32 vcc_lo, exec_lo, s23
	s_cbranch_vccnz .LBB6_835
; %bb.826:
	global_load_ubyte v4, v[0:1], off
	s_mov_b32 s23, 0
	s_mov_b32 s24, exec_lo
	s_waitcnt vmcnt(0)
	v_cmpx_lt_i16_e32 0x7f, v4
	s_xor_b32 s24, exec_lo, s24
	s_cbranch_execz .LBB6_830
; %bb.827:
	s_mov_b32 s23, -1
	s_mov_b32 s25, exec_lo
	v_cmpx_eq_u16_e32 0x80, v4
; %bb.828:
	s_xor_b32 s23, exec_lo, -1
; %bb.829:
	s_or_b32 exec_lo, exec_lo, s25
	s_and_b32 s23, s23, exec_lo
.LBB6_830:
	s_or_saveexec_b32 s24, s24
	v_bfrev_b32_e32 v2, 4
	v_mov_b32_e32 v3, 0x7ff80000
	s_xor_b32 exec_lo, exec_lo, s24
; %bb.831:
	v_cmp_ne_u16_e32 vcc_lo, 0, v4
	v_mov_b32_e32 v2, 0
	v_mov_b32_e32 v3, 0
	s_andn2_b32 s23, s23, exec_lo
	s_and_b32 s25, vcc_lo, exec_lo
	s_or_b32 s23, s23, s25
; %bb.832:
	s_or_b32 exec_lo, exec_lo, s24
	s_and_saveexec_b32 s24, s23
	s_cbranch_execz .LBB6_834
; %bb.833:
	v_and_b32_e32 v2, 0xffff, v4
	v_lshlrev_b32_e32 v4, 24, v4
	v_and_b32_e32 v3, 7, v2
	v_bfe_u32 v7, v2, 3, 4
	v_ffbh_u32_e32 v5, v3
	v_cmp_eq_u32_e32 vcc_lo, 0, v7
	v_min_u32_e32 v5, 32, v5
	v_subrev_nc_u32_e32 v6, 28, v5
	v_sub_nc_u32_e32 v5, 29, v5
	v_lshlrev_b32_e32 v2, v6, v2
	v_cndmask_b32_e32 v5, v7, v5, vcc_lo
	v_and_b32_e32 v2, 7, v2
	v_cndmask_b32_e32 v2, v3, v2, vcc_lo
	v_and_b32_e32 v3, 0x80000000, v4
	v_lshl_add_u32 v4, v5, 23, 0x3b800000
	v_lshlrev_b32_e32 v2, 20, v2
	v_or3_b32 v2, v3, v4, v2
	v_cvt_f64_f32_e32 v[2:3], v2
.LBB6_834:
	s_or_b32 exec_lo, exec_lo, s24
.LBB6_835:
	s_mov_b32 s23, -1
.LBB6_836:
	s_mov_b32 s24, 0
.LBB6_837:
	s_and_b32 vcc_lo, exec_lo, s24
	s_cbranch_vccz .LBB6_868
; %bb.838:
	s_cmp_gt_i32 s20, 22
	s_cbranch_scc0 .LBB6_850
; %bb.839:
	s_cmp_lt_i32 s20, 24
	s_cbranch_scc1 .LBB6_851
; %bb.840:
	s_cmp_gt_i32 s20, 24
	s_cbranch_scc0 .LBB6_852
; %bb.841:
	global_load_ubyte v4, v[0:1], off
	s_mov_b32 s23, exec_lo
	s_waitcnt vmcnt(0)
	v_cmpx_lt_i16_e32 0x7f, v4
	s_xor_b32 s23, exec_lo, s23
	s_cbranch_execz .LBB6_845
; %bb.842:
	s_mov_b32 s22, -1
	s_mov_b32 s24, exec_lo
	v_cmpx_eq_u16_e32 0x80, v4
; %bb.843:
	s_xor_b32 s22, exec_lo, -1
; %bb.844:
	s_or_b32 exec_lo, exec_lo, s24
	s_and_b32 s22, s22, exec_lo
.LBB6_845:
	s_or_saveexec_b32 s23, s23
	v_bfrev_b32_e32 v2, 4
	v_mov_b32_e32 v3, 0x7ff80000
	s_xor_b32 exec_lo, exec_lo, s23
; %bb.846:
	v_cmp_ne_u16_e32 vcc_lo, 0, v4
	v_mov_b32_e32 v2, 0
	v_mov_b32_e32 v3, 0
	s_andn2_b32 s22, s22, exec_lo
	s_and_b32 s24, vcc_lo, exec_lo
	s_or_b32 s22, s22, s24
; %bb.847:
	s_or_b32 exec_lo, exec_lo, s23
	s_and_saveexec_b32 s23, s22
	s_cbranch_execz .LBB6_849
; %bb.848:
	v_and_b32_e32 v2, 0xffff, v4
	v_lshlrev_b32_e32 v4, 24, v4
	v_and_b32_e32 v3, 3, v2
	v_bfe_u32 v7, v2, 2, 5
	v_ffbh_u32_e32 v5, v3
	v_cmp_eq_u32_e32 vcc_lo, 0, v7
	v_min_u32_e32 v5, 32, v5
	v_subrev_nc_u32_e32 v6, 29, v5
	v_sub_nc_u32_e32 v5, 30, v5
	v_lshlrev_b32_e32 v2, v6, v2
	v_cndmask_b32_e32 v5, v7, v5, vcc_lo
	v_and_b32_e32 v2, 3, v2
	v_cndmask_b32_e32 v2, v3, v2, vcc_lo
	v_and_b32_e32 v3, 0x80000000, v4
	v_lshl_add_u32 v4, v5, 23, 0x37800000
	v_lshlrev_b32_e32 v2, 21, v2
	v_or3_b32 v2, v3, v4, v2
	v_cvt_f64_f32_e32 v[2:3], v2
.LBB6_849:
	s_or_b32 exec_lo, exec_lo, s23
	s_mov_b32 s22, 0
	s_branch .LBB6_853
.LBB6_850:
	s_mov_b32 s22, -1
                                        ; implicit-def: $vgpr2_vgpr3
	s_branch .LBB6_859
.LBB6_851:
	s_mov_b32 s22, -1
                                        ; implicit-def: $vgpr2_vgpr3
	s_branch .LBB6_856
.LBB6_852:
	s_mov_b32 s22, -1
                                        ; implicit-def: $vgpr2_vgpr3
.LBB6_853:
	s_and_b32 vcc_lo, exec_lo, s22
	s_cbranch_vccz .LBB6_855
; %bb.854:
	global_load_ubyte v2, v[0:1], off
	s_waitcnt vmcnt(0)
	v_lshlrev_b32_e32 v2, 24, v2
	v_and_b32_e32 v3, 0x7f000000, v2
	v_ffbh_u32_e32 v4, v3
	v_add_nc_u32_e32 v6, 0x1000000, v3
	v_cmp_ne_u32_e32 vcc_lo, 0, v3
	v_min_u32_e32 v4, 32, v4
	v_sub_nc_u32_e64 v4, v4, 4 clamp
	v_lshlrev_b32_e32 v5, v4, v3
	v_lshlrev_b32_e32 v4, 23, v4
	v_lshrrev_b32_e32 v5, 4, v5
	v_sub_nc_u32_e32 v4, v5, v4
	v_ashrrev_i32_e32 v5, 8, v6
	v_add_nc_u32_e32 v4, 0x3c000000, v4
	v_and_or_b32 v4, 0x7f800000, v5, v4
	v_cndmask_b32_e32 v3, 0, v4, vcc_lo
	v_and_or_b32 v2, 0x80000000, v2, v3
	v_cvt_f64_f32_e32 v[2:3], v2
.LBB6_855:
	s_mov_b32 s22, 0
.LBB6_856:
	s_andn2_b32 vcc_lo, exec_lo, s22
	s_cbranch_vccnz .LBB6_858
; %bb.857:
	global_load_ubyte v2, v[0:1], off
	s_waitcnt vmcnt(0)
	v_lshlrev_b32_e32 v3, 25, v2
	v_lshlrev_b16 v2, 8, v2
	v_lshrrev_b32_e32 v4, 4, v3
	v_and_or_b32 v5, 0x7f00, v2, 0.5
	v_cmp_gt_u32_e32 vcc_lo, 0x8000000, v3
	v_bfe_i32 v2, v2, 0, 16
	v_or_b32_e32 v4, 0x70000000, v4
	v_add_f32_e32 v5, -0.5, v5
	v_mul_f32_e32 v4, 0x7800000, v4
	v_cndmask_b32_e32 v3, v4, v5, vcc_lo
	v_and_or_b32 v2, 0x80000000, v2, v3
	v_cvt_f64_f32_e32 v[2:3], v2
.LBB6_858:
	s_mov_b32 s22, 0
	s_mov_b32 s23, -1
.LBB6_859:
	s_andn2_b32 vcc_lo, exec_lo, s22
	s_mov_b32 s22, 0
	s_cbranch_vccnz .LBB6_868
; %bb.860:
	s_cmp_gt_i32 s20, 14
	s_cbranch_scc0 .LBB6_863
; %bb.861:
	s_cmp_eq_u32 s20, 15
	s_cbranch_scc0 .LBB6_864
; %bb.862:
	global_load_ushort v2, v[0:1], off
	s_mov_b32 s21, 0
	s_mov_b32 s23, -1
	s_waitcnt vmcnt(0)
	v_lshlrev_b32_e32 v2, 16, v2
	v_cvt_f64_f32_e32 v[2:3], v2
	s_branch .LBB6_866
.LBB6_863:
	s_mov_b32 s22, -1
	s_branch .LBB6_865
.LBB6_864:
	s_mov_b32 s21, -1
.LBB6_865:
                                        ; implicit-def: $vgpr2_vgpr3
.LBB6_866:
	s_and_b32 vcc_lo, exec_lo, s22
	s_mov_b32 s22, 0
	s_cbranch_vccz .LBB6_868
; %bb.867:
	s_cmp_lg_u32 s20, 11
	s_mov_b32 s22, -1
	s_cselect_b32 s20, -1, 0
	s_andn2_b32 s21, s21, exec_lo
	s_and_b32 s20, s20, exec_lo
	s_or_b32 s21, s21, s20
.LBB6_868:
	s_mov_b32 s20, 0
.LBB6_869:
	s_andn2_b32 s25, s0, exec_lo
	s_and_b32 s21, s21, exec_lo
	s_and_b32 s23, s23, exec_lo
	;; [unrolled: 1-line block ×4, first 2 shown]
	s_or_b32 s21, s25, s21
.LBB6_870:
	s_or_b32 exec_lo, exec_lo, s12
	s_andn2_b32 s0, s0, exec_lo
	s_and_b32 s12, s21, exec_lo
	s_and_b32 s23, s23, exec_lo
	;; [unrolled: 1-line block ×4, first 2 shown]
	s_or_b32 s0, s0, s12
.LBB6_871:
	s_or_b32 exec_lo, exec_lo, s18
	s_andn2_b32 s12, s16, exec_lo
	s_and_b32 s16, s19, exec_lo
	s_and_b32 s0, s0, exec_lo
	s_or_b32 s16, s12, s16
	s_andn2_b32 s12, s15, exec_lo
	s_and_b32 s20, s23, exec_lo
	s_and_b32 s19, s22, exec_lo
	;; [unrolled: 1-line block ×3, first 2 shown]
	s_or_b32 s15, s12, s0
.LBB6_872:
	s_or_b32 exec_lo, exec_lo, s17
	s_andn2_b32 s0, s7, exec_lo
	s_and_b32 s7, s16, exec_lo
	s_andn2_b32 s12, s13, exec_lo
	s_and_b32 s13, s15, exec_lo
	s_or_b32 s7, s0, s7
	s_and_b32 s0, s20, exec_lo
	s_and_b32 s16, s19, exec_lo
	;; [unrolled: 1-line block ×3, first 2 shown]
	s_or_b32 s13, s12, s13
	s_or_b32 exec_lo, exec_lo, s14
	s_mov_b32 s12, 0
	s_and_saveexec_b32 s14, s13
	s_cbranch_execz .LBB6_266
.LBB6_873:
	s_mov_b32 s12, exec_lo
	s_andn2_b32 s15, s15, exec_lo
	s_trap 2
	s_or_b32 exec_lo, exec_lo, s14
	s_and_saveexec_b32 s13, s15
	s_xor_b32 s13, exec_lo, s13
	s_cbranch_execnz .LBB6_267
.LBB6_874:
	s_or_b32 exec_lo, exec_lo, s13
	s_and_saveexec_b32 s13, s16
	s_cbranch_execz .LBB6_920
.LBB6_875:
	s_sext_i32_i16 s14, s5
	s_cmp_lt_i32 s14, 5
	s_cbranch_scc1 .LBB6_880
; %bb.876:
	s_cmp_lt_i32 s14, 8
	s_cbranch_scc1 .LBB6_881
; %bb.877:
	;; [unrolled: 3-line block ×3, first 2 shown]
	s_cmp_gt_i32 s14, 9
	s_cbranch_scc0 .LBB6_883
; %bb.879:
	global_load_dwordx2 v[2:3], v[0:1], off
	s_mov_b32 s14, 0
	s_branch .LBB6_884
.LBB6_880:
                                        ; implicit-def: $vgpr2_vgpr3
	s_branch .LBB6_901
.LBB6_881:
                                        ; implicit-def: $vgpr2_vgpr3
	s_branch .LBB6_890
.LBB6_882:
	s_mov_b32 s14, -1
                                        ; implicit-def: $vgpr2_vgpr3
	s_branch .LBB6_887
.LBB6_883:
	s_mov_b32 s14, -1
                                        ; implicit-def: $vgpr2_vgpr3
.LBB6_884:
	s_andn2_b32 vcc_lo, exec_lo, s14
	s_cbranch_vccnz .LBB6_886
; %bb.885:
	global_load_dword v2, v[0:1], off
	s_waitcnt vmcnt(0)
	v_cvt_f64_f32_e32 v[2:3], v2
.LBB6_886:
	s_mov_b32 s14, 0
.LBB6_887:
	s_andn2_b32 vcc_lo, exec_lo, s14
	s_cbranch_vccnz .LBB6_889
; %bb.888:
	global_load_dword v2, v[0:1], off
	s_waitcnt vmcnt(0)
	v_cvt_f32_f16_e32 v2, v2
	v_cvt_f64_f32_e32 v[2:3], v2
.LBB6_889:
	s_cbranch_execnz .LBB6_900
.LBB6_890:
	s_sext_i32_i16 s14, s5
	s_cmp_lt_i32 s14, 6
	s_cbranch_scc1 .LBB6_893
; %bb.891:
	s_cmp_gt_i32 s14, 6
	s_cbranch_scc0 .LBB6_894
; %bb.892:
	global_load_dwordx2 v[2:3], v[0:1], off
	s_mov_b32 s14, 0
	s_branch .LBB6_895
.LBB6_893:
	s_mov_b32 s14, -1
                                        ; implicit-def: $vgpr2_vgpr3
	s_branch .LBB6_898
.LBB6_894:
	s_mov_b32 s14, -1
                                        ; implicit-def: $vgpr2_vgpr3
.LBB6_895:
	s_andn2_b32 vcc_lo, exec_lo, s14
	s_cbranch_vccnz .LBB6_897
; %bb.896:
	global_load_dword v2, v[0:1], off
	s_waitcnt vmcnt(0)
	v_cvt_f64_f32_e32 v[2:3], v2
.LBB6_897:
	s_mov_b32 s14, 0
.LBB6_898:
	s_andn2_b32 vcc_lo, exec_lo, s14
	s_cbranch_vccnz .LBB6_900
; %bb.899:
	global_load_ushort v2, v[0:1], off
	s_waitcnt vmcnt(0)
	v_cvt_f32_f16_e32 v2, v2
	v_cvt_f64_f32_e32 v[2:3], v2
.LBB6_900:
	s_cbranch_execnz .LBB6_919
.LBB6_901:
	s_sext_i32_i16 s14, s5
	s_cmp_lt_i32 s14, 2
	s_cbranch_scc1 .LBB6_905
; %bb.902:
	s_cmp_lt_i32 s14, 3
	s_cbranch_scc1 .LBB6_906
; %bb.903:
	s_cmp_gt_i32 s14, 3
	s_cbranch_scc0 .LBB6_907
; %bb.904:
	global_load_dwordx2 v[2:3], v[0:1], off
	s_mov_b32 s14, 0
	s_waitcnt vmcnt(0)
	v_cvt_f64_i32_e32 v[3:4], v3
	v_cvt_f64_u32_e32 v[5:6], v2
	v_ldexp_f64 v[3:4], v[3:4], 32
	v_add_f64 v[2:3], v[3:4], v[5:6]
	s_branch .LBB6_908
.LBB6_905:
                                        ; implicit-def: $vgpr2_vgpr3
	s_branch .LBB6_914
.LBB6_906:
	s_mov_b32 s14, -1
                                        ; implicit-def: $vgpr2_vgpr3
	s_branch .LBB6_911
.LBB6_907:
	s_mov_b32 s14, -1
                                        ; implicit-def: $vgpr2_vgpr3
.LBB6_908:
	s_andn2_b32 vcc_lo, exec_lo, s14
	s_cbranch_vccnz .LBB6_910
; %bb.909:
	global_load_dword v2, v[0:1], off
	s_waitcnt vmcnt(0)
	v_cvt_f64_i32_e32 v[2:3], v2
.LBB6_910:
	s_mov_b32 s14, 0
.LBB6_911:
	s_andn2_b32 vcc_lo, exec_lo, s14
	s_cbranch_vccnz .LBB6_913
; %bb.912:
	global_load_sshort v2, v[0:1], off
	s_waitcnt vmcnt(0)
	v_cvt_f64_i32_e32 v[2:3], v2
.LBB6_913:
	s_cbranch_execnz .LBB6_919
.LBB6_914:
	s_sext_i32_i16 s14, s5
	s_cmp_gt_i32 s14, 0
	s_mov_b32 s14, 0
	s_cbranch_scc0 .LBB6_916
; %bb.915:
	global_load_sbyte v2, v[0:1], off
	s_waitcnt vmcnt(0)
	v_cvt_f64_i32_e32 v[2:3], v2
	s_branch .LBB6_917
.LBB6_916:
	s_mov_b32 s14, -1
                                        ; implicit-def: $vgpr2_vgpr3
.LBB6_917:
	s_andn2_b32 vcc_lo, exec_lo, s14
	s_cbranch_vccnz .LBB6_919
; %bb.918:
	global_load_ubyte v0, v[0:1], off
	s_waitcnt vmcnt(0)
	v_cvt_f64_u32_e32 v[2:3], v0
.LBB6_919:
	s_or_b32 s0, s0, exec_lo
.LBB6_920:
	s_or_b32 exec_lo, exec_lo, s13
	s_mov_b32 s16, 0
	s_mov_b32 s15, 0
                                        ; implicit-def: $sgpr13
                                        ; implicit-def: $vgpr4_vgpr5
                                        ; implicit-def: $vgpr0_vgpr1
	s_and_saveexec_b32 s14, s0
	s_cbranch_execz .LBB6_999
; %bb.921:
	s_waitcnt vmcnt(0)
	v_cmp_ngt_f64_e64 s0, 0x41d00000, |v[2:3]|
                                        ; implicit-def: $vgpr6
                                        ; implicit-def: $vgpr0_vgpr1
                                        ; implicit-def: $vgpr4_vgpr5
	s_and_saveexec_b32 s13, s0
	s_xor_b32 s0, exec_lo, s13
	s_cbranch_execz .LBB6_923
; %bb.922:
	v_ldexp_f64 v[0:1], |v[2:3]|, 0xffffff80
	v_cmp_le_f64_e64 vcc_lo, 0x7b000000, |v[2:3]|
	v_trig_preop_f64 v[4:5], |v[2:3]|, 0
	v_and_b32_e32 v6, 0x7fffffff, v3
	v_trig_preop_f64 v[16:17], |v[2:3]|, 2
	v_mov_b32_e32 v25, 0
	s_mov_b32 s16, 0x54442d18
	s_mov_b32 s17, 0x3ff921fb
	;; [unrolled: 1-line block ×4, first 2 shown]
	v_cndmask_b32_e32 v1, v6, v1, vcc_lo
	v_cndmask_b32_e32 v0, v2, v0, vcc_lo
	v_trig_preop_f64 v[6:7], |v[2:3]|, 1
	v_mul_f64 v[8:9], v[4:5], v[0:1]
	v_mul_f64 v[22:23], v[16:17], v[0:1]
	;; [unrolled: 1-line block ×3, first 2 shown]
	v_fma_f64 v[4:5], v[4:5], v[0:1], -v[8:9]
	v_fma_f64 v[6:7], v[6:7], v[0:1], -v[10:11]
	;; [unrolled: 1-line block ×3, first 2 shown]
	v_add_f64 v[12:13], v[10:11], v[4:5]
	v_add_f64 v[14:15], v[12:13], -v[10:11]
	v_add_f64 v[20:21], v[8:9], v[12:13]
	v_add_f64 v[18:19], v[12:13], -v[14:15]
	v_add_f64 v[4:5], v[4:5], -v[14:15]
	v_ldexp_f64 v[14:15], v[20:21], -2
	v_add_f64 v[8:9], v[20:21], -v[8:9]
	v_add_f64 v[10:11], v[10:11], -v[18:19]
	v_add_f64 v[18:19], v[22:23], v[6:7]
	v_cmp_neq_f64_e64 vcc_lo, 0x7ff00000, |v[14:15]|
	v_add_f64 v[8:9], v[12:13], -v[8:9]
	v_add_f64 v[4:5], v[4:5], v[10:11]
	v_fract_f64_e32 v[10:11], v[14:15]
	v_add_f64 v[12:13], v[18:19], v[4:5]
	v_ldexp_f64 v[10:11], v[10:11], 2
	v_add_f64 v[14:15], v[8:9], v[12:13]
	v_cndmask_b32_e32 v11, 0, v11, vcc_lo
	v_cndmask_b32_e32 v10, 0, v10, vcc_lo
	v_add_f64 v[20:21], v[14:15], v[10:11]
	v_add_f64 v[8:9], v[14:15], -v[8:9]
	v_cmp_gt_f64_e32 vcc_lo, 0, v[20:21]
	v_add_f64 v[20:21], v[18:19], -v[22:23]
	v_cndmask_b32_e64 v26, 0, 0x40100000, vcc_lo
	v_add_f64 v[30:31], v[18:19], -v[20:21]
	v_add_f64 v[6:7], v[6:7], -v[20:21]
	v_add_f64 v[10:11], v[10:11], v[25:26]
	v_add_f64 v[26:27], v[12:13], -v[18:19]
	v_add_f64 v[20:21], v[22:23], -v[30:31]
	v_add_f64 v[28:29], v[14:15], v[10:11]
	;; [unrolled: 3-line block ×3, first 2 shown]
	v_cvt_i32_f64_e32 v28, v[28:29]
	v_add_f64 v[18:19], v[18:19], -v[32:33]
	v_cvt_f64_i32_e32 v[26:27], v28
	v_add_f64 v[4:5], v[4:5], v[18:19]
	v_add_f64 v[10:11], v[10:11], -v[26:27]
	v_add_f64 v[4:5], v[6:7], v[4:5]
	v_add_f64 v[6:7], v[12:13], -v[8:9]
	v_add_f64 v[16:17], v[14:15], v[10:11]
	v_add_f64 v[0:1], v[0:1], v[4:5]
	v_add_f64 v[4:5], v[16:17], -v[10:11]
	v_cmp_le_f64_e32 vcc_lo, 0.5, v[16:17]
	v_add_f64 v[0:1], v[6:7], v[0:1]
	v_add_f64 v[4:5], v[14:15], -v[4:5]
	v_cndmask_b32_e64 v26, 0, 0x3ff00000, vcc_lo
	v_add_co_ci_u32_e64 v6, null, 0, v28, vcc_lo
	v_add_f64 v[0:1], v[0:1], v[4:5]
	v_add_f64 v[4:5], v[16:17], -v[25:26]
	v_add_f64 v[7:8], v[4:5], v[0:1]
	v_mul_f64 v[9:10], v[7:8], s[16:17]
	v_add_f64 v[4:5], v[7:8], -v[4:5]
	v_fma_f64 v[11:12], v[7:8], s[16:17], -v[9:10]
	v_add_f64 v[0:1], v[0:1], -v[4:5]
	v_fma_f64 v[4:5], v[7:8], s[18:19], v[11:12]
	v_fma_f64 v[4:5], v[0:1], s[16:17], v[4:5]
	v_add_f64 v[0:1], v[9:10], v[4:5]
	v_add_f64 v[7:8], v[0:1], -v[9:10]
	v_add_f64 v[4:5], v[4:5], -v[7:8]
.LBB6_923:
	s_andn2_saveexec_b32 s0, s0
	s_cbranch_execz .LBB6_925
; %bb.924:
	s_mov_b32 s16, 0x6dc9c883
	s_mov_b32 s17, 0x3fe45f30
	;; [unrolled: 1-line block ×3, first 2 shown]
	v_mul_f64 v[0:1], |v[2:3]|, s[16:17]
	s_mov_b32 s16, 0x54442d18
	s_mov_b32 s17, 0xbff921fb
	;; [unrolled: 1-line block ×3, first 2 shown]
	v_rndne_f64_e32 v[6:7], v[0:1]
	v_fma_f64 v[0:1], v[6:7], s[16:17], |v[2:3]|
	v_mul_f64 v[4:5], v[6:7], s[18:19]
	s_mov_b32 s16, 0x252049c0
	s_mov_b32 s17, 0xb97b839a
	v_fma_f64 v[10:11], v[6:7], s[18:19], v[0:1]
	v_add_f64 v[8:9], v[0:1], v[4:5]
	s_mov_b32 s19, 0x3c91a626
	v_add_f64 v[0:1], v[0:1], -v[8:9]
	v_add_f64 v[8:9], v[8:9], -v[10:11]
	v_add_f64 v[0:1], v[0:1], v[4:5]
	v_fma_f64 v[4:5], v[6:7], s[18:19], v[4:5]
	v_add_f64 v[0:1], v[8:9], v[0:1]
	v_add_f64 v[0:1], v[0:1], -v[4:5]
	v_fma_f64 v[4:5], v[6:7], s[16:17], v[0:1]
	v_cvt_i32_f64_e32 v6, v[6:7]
	v_add_f64 v[0:1], v[10:11], v[4:5]
	v_add_f64 v[8:9], v[0:1], -v[10:11]
	v_add_f64 v[4:5], v[4:5], -v[8:9]
.LBB6_925:
	s_or_b32 exec_lo, exec_lo, s0
	v_mul_f64 v[7:8], v[0:1], v[0:1]
	s_mov_b32 s16, 0xb42fdfa7
	s_mov_b32 s18, 0xf9a43bb8
	;; [unrolled: 1-line block ×6, first 2 shown]
	v_mul_f64 v[17:18], v[4:5], 0.5
	v_cmp_class_f64_e64 s0, v[2:3], 0x1f8
	v_lshlrev_b32_e32 v2, 30, v6
	s_and_b32 s13, s1, 0xff
	s_cmp_lt_i32 s13, 11
	v_xor_b32_e32 v2, v2, v3
	v_mul_lo_u32 v3, v24, s2
	v_and_b32_e32 v2, 0x80000000, v2
	v_fma_f64 v[9:10], v[7:8], s[18:19], s[16:17]
	s_mov_b32 s16, 0x9037ab78
	s_mov_b32 s18, 0x46cc5e42
	;; [unrolled: 1-line block ×4, first 2 shown]
	v_mul_f64 v[13:14], v[7:8], 0.5
	v_fma_f64 v[11:12], v[7:8], s[18:19], s[16:17]
	s_mov_b32 s16, 0xa17f65f6
	s_mov_b32 s18, 0x19e83e5c
	;; [unrolled: 1-line block ×4, first 2 shown]
	v_mul_f64 v[19:20], v[0:1], -v[7:8]
	v_fma_f64 v[9:10], v[7:8], v[9:10], s[20:21]
	v_add_f64 v[15:16], -v[13:14], 1.0
	v_fma_f64 v[11:12], v[7:8], v[11:12], s[16:17]
	s_mov_b32 s16, 0x19f4ec90
	s_mov_b32 s17, 0x3efa01a0
	v_fma_f64 v[9:10], v[7:8], v[9:10], s[18:19]
	s_mov_b32 s18, 0x11110bb3
	s_mov_b32 s19, 0x3f811111
	v_add_f64 v[21:22], -v[15:16], 1.0
	v_fma_f64 v[11:12], v[7:8], v[11:12], s[16:17]
	s_mov_b32 s16, 0x16c16967
	s_mov_b32 s17, 0xbf56c16c
	v_fma_f64 v[9:10], v[7:8], v[9:10], s[18:19]
	v_add_f64 v[13:14], v[21:22], -v[13:14]
	v_fma_f64 v[11:12], v[7:8], v[11:12], s[16:17]
	s_mov_b32 s17, 0x3fa55555
	s_mov_b32 s16, 0x55555555
	v_fma_f64 v[9:10], v[19:20], v[9:10], v[17:18]
	v_mul_f64 v[17:18], v[7:8], v[7:8]
	v_fma_f64 v[13:14], v[0:1], -v[4:5], v[13:14]
	v_fma_f64 v[11:12], v[7:8], v[11:12], s[16:17]
	s_mov_b32 s17, 0xbfc55555
	v_fma_f64 v[4:5], v[7:8], v[9:10], -v[4:5]
	v_fma_f64 v[7:8], v[17:18], v[11:12], v[13:14]
	v_fma_f64 v[4:5], v[19:20], s[16:17], v[4:5]
	s_mov_b32 s17, 0
	s_mov_b32 s16, -1
	v_add_f64 v[7:8], v[15:16], v[7:8]
	v_add_f64 v[0:1], v[0:1], -v[4:5]
	v_and_b32_e32 v4, 1, v6
	v_ashrrev_i32_e32 v5, 31, v3
	v_cmp_eq_u32_e32 vcc_lo, 0, v4
	v_cndmask_b32_e32 v1, v8, v1, vcc_lo
	v_cndmask_b32_e32 v0, v7, v0, vcc_lo
	v_add_co_u32 v4, vcc_lo, s8, v3
	v_add_co_ci_u32_e64 v5, null, s9, v5, vcc_lo
	v_xor_b32_e32 v1, v1, v2
	v_cndmask_b32_e64 v0, 0, v0, s0
	v_cndmask_b32_e64 v1, 0x7ff80000, v1, s0
	s_mov_b32 s0, s7
	s_cbranch_scc1 .LBB6_1003
; %bb.926:
	s_and_b32 s15, 0xffff, s13
	s_mov_b32 s0, s7
	s_cmp_gt_i32 s15, 25
	s_cbranch_scc0 .LBB6_959
; %bb.927:
	s_cmp_gt_i32 s15, 28
	s_mov_b32 s0, s7
	s_cbranch_scc0 .LBB6_943
; %bb.928:
	s_cmp_gt_i32 s15, 43
	s_mov_b32 s0, s7
	;; [unrolled: 4-line block ×3, first 2 shown]
	s_cbranch_scc0 .LBB6_933
; %bb.930:
	s_cmp_eq_u32 s15, 46
	s_mov_b32 s0, -1
	s_cbranch_scc0 .LBB6_932
; %bb.931:
	v_cvt_f32_f64_e32 v2, v[0:1]
	s_mov_b32 s0, 0
	v_bfe_u32 v3, v2, 16, 1
	v_cmp_o_f32_e32 vcc_lo, v2, v2
	v_add3_u32 v2, v2, v3, 0x7fff
	v_mov_b32_e32 v3, 0x7fc0
	v_cndmask_b32_sdwa v2, v3, v2, vcc_lo dst_sel:DWORD dst_unused:UNUSED_PAD src0_sel:DWORD src1_sel:WORD_1
	global_store_dword v[4:5], v2, off
.LBB6_932:
	s_mov_b32 s16, 0
.LBB6_933:
	s_and_b32 vcc_lo, exec_lo, s16
	s_cbranch_vccz .LBB6_938
; %bb.934:
	s_cmp_eq_u32 s15, 44
	s_mov_b32 s0, -1
	s_cbranch_scc0 .LBB6_938
; %bb.935:
	v_cvt_f32_f64_e32 v2, v[0:1]
	v_mov_b32_e32 v3, 0xff
	s_mov_b32 s16, exec_lo
	v_bfe_u32 v6, v2, 23, 8
	v_cmpx_ne_u32_e32 0xff, v6
	s_cbranch_execz .LBB6_937
; %bb.936:
	v_and_b32_e32 v3, 0x400000, v2
	v_and_or_b32 v6, 0x3fffff, v2, v6
	v_lshrrev_b32_e32 v2, 23, v2
	v_cmp_ne_u32_e32 vcc_lo, 0, v3
	v_cmp_ne_u32_e64 s0, 0, v6
	s_and_b32 s0, vcc_lo, s0
	v_cndmask_b32_e64 v3, 0, 1, s0
	v_add_nc_u32_e32 v3, v2, v3
.LBB6_937:
	s_or_b32 exec_lo, exec_lo, s16
	s_mov_b32 s0, 0
	global_store_byte v[4:5], v3, off
.LBB6_938:
	s_mov_b32 s16, 0
.LBB6_939:
	s_and_b32 vcc_lo, exec_lo, s16
	s_cbranch_vccz .LBB6_942
; %bb.940:
	s_cmp_eq_u32 s15, 29
	s_mov_b32 s0, -1
	s_cbranch_scc0 .LBB6_942
; %bb.941:
	v_trunc_f64_e32 v[2:3], v[0:1]
	s_mov_b32 s0, 0
	v_ldexp_f64 v[6:7], v[2:3], 0xffffffe0
	v_floor_f64_e32 v[6:7], v[6:7]
	v_fma_f64 v[2:3], 0xc1f00000, v[6:7], v[2:3]
	v_cvt_u32_f64_e32 v7, v[6:7]
	v_cvt_u32_f64_e32 v6, v[2:3]
	global_store_dwordx2 v[4:5], v[6:7], off
.LBB6_942:
	s_mov_b32 s16, 0
.LBB6_943:
	s_and_b32 vcc_lo, exec_lo, s16
	s_cbranch_vccz .LBB6_958
; %bb.944:
	s_cmp_lt_i32 s15, 27
	s_mov_b32 s16, -1
	s_cbranch_scc1 .LBB6_950
; %bb.945:
	v_cvt_u32_f64_e32 v2, v[0:1]
	s_cmp_gt_i32 s15, 27
	s_cbranch_scc0 .LBB6_947
; %bb.946:
	s_mov_b32 s16, 0
	global_store_dword v[4:5], v2, off
.LBB6_947:
	s_andn2_b32 vcc_lo, exec_lo, s16
	s_cbranch_vccnz .LBB6_949
; %bb.948:
	global_store_short v[4:5], v2, off
.LBB6_949:
	s_mov_b32 s16, 0
.LBB6_950:
	s_andn2_b32 vcc_lo, exec_lo, s16
	s_cbranch_vccnz .LBB6_958
; %bb.951:
	v_cvt_f32_f64_e32 v2, v[0:1]
	v_mov_b32_e32 v6, 0x80
	s_mov_b32 s16, exec_lo
	v_and_b32_e32 v3, 0x7fffffff, v2
	v_cmpx_gt_u32_e32 0x43800000, v3
	s_cbranch_execz .LBB6_957
; %bb.952:
	v_cmp_lt_u32_e32 vcc_lo, 0x3bffffff, v3
                                        ; implicit-def: $vgpr3
	s_and_saveexec_b32 s18, vcc_lo
	s_xor_b32 s18, exec_lo, s18
	s_cbranch_execz .LBB6_1058
; %bb.953:
	v_bfe_u32 v3, v2, 20, 1
	s_mov_b32 s17, exec_lo
	v_add3_u32 v3, v2, v3, 0x487ffff
	v_lshrrev_b32_e32 v3, 20, v3
	s_andn2_saveexec_b32 s18, s18
	s_cbranch_execnz .LBB6_1059
.LBB6_954:
	s_or_b32 exec_lo, exec_lo, s18
	v_mov_b32_e32 v6, 0
	s_and_saveexec_b32 s18, s17
.LBB6_955:
	v_lshrrev_b32_e32 v2, 24, v2
	v_and_or_b32 v6, 0x80, v2, v3
.LBB6_956:
	s_or_b32 exec_lo, exec_lo, s18
.LBB6_957:
	s_or_b32 exec_lo, exec_lo, s16
	global_store_byte v[4:5], v6, off
.LBB6_958:
	s_mov_b32 s16, 0
.LBB6_959:
	s_and_b32 vcc_lo, exec_lo, s16
	s_mov_b32 s16, 0
	s_cbranch_vccz .LBB6_1002
; %bb.960:
	s_cmp_gt_i32 s15, 22
	s_mov_b32 s17, -1
	s_cbranch_scc0 .LBB6_992
; %bb.961:
	s_cmp_lt_i32 s15, 24
	s_cbranch_scc1 .LBB6_981
; %bb.962:
	s_cmp_gt_i32 s15, 24
	s_cbranch_scc0 .LBB6_970
; %bb.963:
	v_cvt_f32_f64_e32 v2, v[0:1]
	v_mov_b32_e32 v6, 0x80
	s_mov_b32 s17, exec_lo
	v_and_b32_e32 v3, 0x7fffffff, v2
	v_cmpx_gt_u32_e32 0x47800000, v3
	s_cbranch_execz .LBB6_969
; %bb.964:
	v_cmp_lt_u32_e32 vcc_lo, 0x37ffffff, v3
	s_mov_b32 s18, 0
                                        ; implicit-def: $vgpr3
	s_and_saveexec_b32 s19, vcc_lo
	s_xor_b32 s19, exec_lo, s19
	s_cbranch_execz .LBB6_1188
; %bb.965:
	v_bfe_u32 v3, v2, 21, 1
	s_mov_b32 s18, exec_lo
	v_add3_u32 v3, v2, v3, 0x88fffff
	v_lshrrev_b32_e32 v3, 21, v3
	s_andn2_saveexec_b32 s19, s19
	s_cbranch_execnz .LBB6_1189
.LBB6_966:
	s_or_b32 exec_lo, exec_lo, s19
	v_mov_b32_e32 v6, 0
	s_and_saveexec_b32 s19, s18
.LBB6_967:
	v_lshrrev_b32_e32 v2, 24, v2
	v_and_or_b32 v6, 0x80, v2, v3
.LBB6_968:
	s_or_b32 exec_lo, exec_lo, s19
.LBB6_969:
	s_or_b32 exec_lo, exec_lo, s17
	s_mov_b32 s17, 0
	global_store_byte v[4:5], v6, off
.LBB6_970:
	s_and_b32 vcc_lo, exec_lo, s17
	s_cbranch_vccz .LBB6_980
; %bb.971:
	v_cvt_f32_f64_e32 v2, v[0:1]
	s_mov_b32 s17, exec_lo
                                        ; implicit-def: $vgpr3
	v_and_b32_e32 v6, 0x7fffffff, v2
	v_cmpx_gt_u32_e32 0x43f00000, v6
	s_xor_b32 s17, exec_lo, s17
	s_cbranch_execz .LBB6_977
; %bb.972:
	s_mov_b32 s18, exec_lo
                                        ; implicit-def: $vgpr3
	v_cmpx_lt_u32_e32 0x3c7fffff, v6
	s_xor_b32 s18, exec_lo, s18
; %bb.973:
	v_bfe_u32 v3, v2, 20, 1
	v_add3_u32 v3, v2, v3, 0x407ffff
	v_and_b32_e32 v6, 0xff00000, v3
	v_lshrrev_b32_e32 v3, 20, v3
	v_cmp_ne_u32_e32 vcc_lo, 0x7f00000, v6
	v_cndmask_b32_e32 v3, 0x7e, v3, vcc_lo
; %bb.974:
	s_andn2_saveexec_b32 s18, s18
; %bb.975:
	v_add_f32_e64 v3, 0x46800000, |v2|
; %bb.976:
	s_or_b32 exec_lo, exec_lo, s18
                                        ; implicit-def: $vgpr6
.LBB6_977:
	s_andn2_saveexec_b32 s17, s17
; %bb.978:
	v_mov_b32_e32 v3, 0x7f
	v_cmp_lt_u32_e32 vcc_lo, 0x7f800000, v6
	v_cndmask_b32_e32 v3, 0x7e, v3, vcc_lo
; %bb.979:
	s_or_b32 exec_lo, exec_lo, s17
	v_lshrrev_b32_e32 v2, 24, v2
	v_and_or_b32 v2, 0x80, v2, v3
	global_store_byte v[4:5], v2, off
.LBB6_980:
	s_mov_b32 s17, 0
.LBB6_981:
	s_andn2_b32 vcc_lo, exec_lo, s17
	s_cbranch_vccnz .LBB6_991
; %bb.982:
	v_cvt_f32_f64_e32 v2, v[0:1]
	s_mov_b32 s17, exec_lo
                                        ; implicit-def: $vgpr3
	v_and_b32_e32 v6, 0x7fffffff, v2
	v_cmpx_gt_u32_e32 0x47800000, v6
	s_xor_b32 s17, exec_lo, s17
	s_cbranch_execz .LBB6_988
; %bb.983:
	s_mov_b32 s18, exec_lo
                                        ; implicit-def: $vgpr3
	v_cmpx_lt_u32_e32 0x387fffff, v6
	s_xor_b32 s18, exec_lo, s18
; %bb.984:
	v_bfe_u32 v3, v2, 21, 1
	v_add3_u32 v3, v2, v3, 0x80fffff
	v_lshrrev_b32_e32 v3, 21, v3
; %bb.985:
	s_andn2_saveexec_b32 s18, s18
; %bb.986:
	v_add_f32_e64 v3, 0x43000000, |v2|
; %bb.987:
	s_or_b32 exec_lo, exec_lo, s18
                                        ; implicit-def: $vgpr6
.LBB6_988:
	s_andn2_saveexec_b32 s17, s17
; %bb.989:
	v_mov_b32_e32 v3, 0x7f
	v_cmp_lt_u32_e32 vcc_lo, 0x7f800000, v6
	v_cndmask_b32_e32 v3, 0x7c, v3, vcc_lo
; %bb.990:
	s_or_b32 exec_lo, exec_lo, s17
	v_lshrrev_b32_e32 v2, 24, v2
	v_and_or_b32 v2, 0x80, v2, v3
	global_store_byte v[4:5], v2, off
.LBB6_991:
	s_mov_b32 s17, 0
.LBB6_992:
	s_andn2_b32 vcc_lo, exec_lo, s17
	s_mov_b32 s17, 0
	s_cbranch_vccnz .LBB6_1003
; %bb.993:
	s_cmp_gt_i32 s15, 14
	s_mov_b32 s17, -1
	s_cbranch_scc0 .LBB6_997
; %bb.994:
	s_cmp_eq_u32 s15, 15
	s_mov_b32 s0, -1
	s_cbranch_scc0 .LBB6_996
; %bb.995:
	v_cvt_f32_f64_e32 v2, v[0:1]
	s_mov_b32 s0, 0
	v_bfe_u32 v3, v2, 16, 1
	v_cmp_o_f32_e32 vcc_lo, v2, v2
	v_add3_u32 v2, v2, v3, 0x7fff
	v_mov_b32_e32 v3, 0x7fc0
	v_cndmask_b32_sdwa v2, v3, v2, vcc_lo dst_sel:DWORD dst_unused:UNUSED_PAD src0_sel:DWORD src1_sel:WORD_1
	global_store_short v[4:5], v2, off
.LBB6_996:
	s_mov_b32 s17, 0
.LBB6_997:
	s_and_b32 vcc_lo, exec_lo, s17
	s_mov_b32 s17, 0
	s_cbranch_vccz .LBB6_1003
; %bb.998:
	s_cmp_lg_u32 s15, 11
	s_mov_b32 s17, -1
	s_cselect_b32 s15, -1, 0
	s_andn2_b32 s0, s0, exec_lo
	s_and_b32 s15, s15, exec_lo
	s_or_b32 s0, s0, s15
	s_branch .LBB6_1003
.LBB6_999:
	s_or_b32 exec_lo, exec_lo, s14
	s_and_saveexec_b32 s0, s7
	s_cbranch_execnz .LBB6_1004
.LBB6_1000:
	s_or_b32 exec_lo, exec_lo, s0
	s_and_saveexec_b32 s0, s16
	s_xor_b32 s0, exec_lo, s0
	s_cbranch_execz .LBB6_1005
.LBB6_1001:
	v_cmp_neq_f64_e32 vcc_lo, 0, v[0:1]
	s_waitcnt vmcnt(0)
	v_cndmask_b32_e64 v2, 0, 1, vcc_lo
	global_store_byte v[4:5], v2, off
	s_or_b32 exec_lo, exec_lo, s0
	s_and_saveexec_b32 s0, s15
	s_xor_b32 s0, exec_lo, s0
	s_cbranch_execz .LBB6_1043
	s_branch .LBB6_1006
.LBB6_1002:
	s_mov_b32 s17, 0
.LBB6_1003:
	s_andn2_b32 s7, s7, exec_lo
	s_and_b32 s0, s0, exec_lo
	s_and_b32 s15, s16, exec_lo
	;; [unrolled: 1-line block ×3, first 2 shown]
	s_or_b32 s7, s7, s0
	s_or_b32 exec_lo, exec_lo, s14
	s_and_saveexec_b32 s0, s7
	s_cbranch_execz .LBB6_1000
.LBB6_1004:
	s_or_b32 s12, s12, exec_lo
	s_andn2_b32 s16, s16, exec_lo
	s_trap 2
	s_or_b32 exec_lo, exec_lo, s0
	s_and_saveexec_b32 s0, s16
	s_xor_b32 s0, exec_lo, s0
	s_cbranch_execnz .LBB6_1001
.LBB6_1005:
	s_or_b32 exec_lo, exec_lo, s0
	s_and_saveexec_b32 s0, s15
	s_xor_b32 s0, exec_lo, s0
	s_cbranch_execz .LBB6_1043
.LBB6_1006:
	s_sext_i32_i16 s14, s13
	s_mov_b32 s7, -1
	s_cmp_lt_i32 s14, 5
	s_cbranch_scc1 .LBB6_1027
; %bb.1007:
	s_cmp_lt_i32 s14, 8
	s_cbranch_scc1 .LBB6_1017
; %bb.1008:
	;; [unrolled: 3-line block ×3, first 2 shown]
	s_cmp_gt_i32 s14, 9
	s_cbranch_scc0 .LBB6_1011
; %bb.1010:
	s_waitcnt vmcnt(0)
	v_mov_b32_e32 v2, 0
	s_mov_b32 s7, 0
	v_mov_b32_e32 v3, v2
	global_store_dwordx4 v[4:5], v[0:3], off
.LBB6_1011:
	s_andn2_b32 vcc_lo, exec_lo, s7
	s_cbranch_vccnz .LBB6_1013
; %bb.1012:
	s_waitcnt vmcnt(0)
	v_cvt_f32_f64_e32 v2, v[0:1]
	v_mov_b32_e32 v3, 0
	global_store_dwordx2 v[4:5], v[2:3], off
.LBB6_1013:
	s_mov_b32 s7, 0
.LBB6_1014:
	s_andn2_b32 vcc_lo, exec_lo, s7
	s_cbranch_vccnz .LBB6_1016
; %bb.1015:
	s_waitcnt vmcnt(0)
	v_and_or_b32 v2, 0x1ff, v1, v0
	v_lshrrev_b32_e32 v3, 8, v1
	v_bfe_u32 v6, v1, 20, 11
	v_cmp_ne_u32_e32 vcc_lo, 0, v2
	v_sub_nc_u32_e32 v7, 0x3f1, v6
	v_add_nc_u32_e32 v6, 0xfffffc10, v6
	v_cndmask_b32_e64 v2, 0, 1, vcc_lo
	v_and_or_b32 v2, 0xffe, v3, v2
	v_med3_i32 v3, v7, 0, 13
	v_or_b32_e32 v7, 0x1000, v2
	v_lshrrev_b32_e32 v8, v3, v7
	v_lshlrev_b32_e32 v3, v3, v8
	v_cmp_ne_u32_e32 vcc_lo, v3, v7
	v_lshl_or_b32 v7, v6, 12, v2
	v_cndmask_b32_e64 v3, 0, 1, vcc_lo
	v_cmp_gt_i32_e32 vcc_lo, 1, v6
	v_or_b32_e32 v3, v8, v3
	v_cndmask_b32_e32 v3, v7, v3, vcc_lo
	v_and_b32_e32 v7, 7, v3
	v_lshrrev_b32_e32 v3, 2, v3
	v_cmp_lt_i32_e32 vcc_lo, 5, v7
	v_cndmask_b32_e64 v8, 0, 1, vcc_lo
	v_cmp_eq_u32_e32 vcc_lo, 3, v7
	v_cndmask_b32_e64 v7, 0, 1, vcc_lo
	v_cmp_ne_u32_e32 vcc_lo, 0, v2
	v_or_b32_e32 v7, v7, v8
	v_mov_b32_e32 v8, 0x7e00
	v_add_nc_u32_e32 v3, v3, v7
	v_cndmask_b32_e32 v2, 0x7c00, v8, vcc_lo
	v_cmp_gt_i32_e32 vcc_lo, 31, v6
	v_cndmask_b32_e32 v3, 0x7c00, v3, vcc_lo
	v_cmp_eq_u32_e32 vcc_lo, 0x40f, v6
	v_cndmask_b32_e32 v2, v3, v2, vcc_lo
	v_lshrrev_b32_e32 v3, 16, v1
	v_and_or_b32 v2, 0x8000, v3, v2
	v_and_b32_e32 v2, 0xffff, v2
	global_store_dword v[4:5], v2, off
.LBB6_1016:
	s_mov_b32 s7, 0
.LBB6_1017:
	s_andn2_b32 vcc_lo, exec_lo, s7
	s_cbranch_vccnz .LBB6_1026
; %bb.1018:
	s_sext_i32_i16 s14, s13
	s_mov_b32 s7, -1
	s_cmp_lt_i32 s14, 6
	s_cbranch_scc1 .LBB6_1024
; %bb.1019:
	s_cmp_gt_i32 s14, 6
	s_cbranch_scc0 .LBB6_1021
; %bb.1020:
	s_mov_b32 s7, 0
	global_store_dwordx2 v[4:5], v[0:1], off
.LBB6_1021:
	s_andn2_b32 vcc_lo, exec_lo, s7
	s_cbranch_vccnz .LBB6_1023
; %bb.1022:
	s_waitcnt vmcnt(0)
	v_cvt_f32_f64_e32 v2, v[0:1]
	global_store_dword v[4:5], v2, off
.LBB6_1023:
	s_mov_b32 s7, 0
.LBB6_1024:
	s_andn2_b32 vcc_lo, exec_lo, s7
	s_cbranch_vccnz .LBB6_1026
; %bb.1025:
	s_waitcnt vmcnt(0)
	v_and_or_b32 v2, 0x1ff, v1, v0
	v_lshrrev_b32_e32 v3, 8, v1
	v_bfe_u32 v6, v1, 20, 11
	v_cmp_ne_u32_e32 vcc_lo, 0, v2
	v_sub_nc_u32_e32 v7, 0x3f1, v6
	v_add_nc_u32_e32 v6, 0xfffffc10, v6
	v_cndmask_b32_e64 v2, 0, 1, vcc_lo
	v_and_or_b32 v2, 0xffe, v3, v2
	v_med3_i32 v3, v7, 0, 13
	v_or_b32_e32 v7, 0x1000, v2
	v_lshrrev_b32_e32 v8, v3, v7
	v_lshlrev_b32_e32 v3, v3, v8
	v_cmp_ne_u32_e32 vcc_lo, v3, v7
	v_lshl_or_b32 v7, v6, 12, v2
	v_cndmask_b32_e64 v3, 0, 1, vcc_lo
	v_cmp_gt_i32_e32 vcc_lo, 1, v6
	v_or_b32_e32 v3, v8, v3
	v_cndmask_b32_e32 v3, v7, v3, vcc_lo
	v_and_b32_e32 v7, 7, v3
	v_lshrrev_b32_e32 v3, 2, v3
	v_cmp_lt_i32_e32 vcc_lo, 5, v7
	v_cndmask_b32_e64 v8, 0, 1, vcc_lo
	v_cmp_eq_u32_e32 vcc_lo, 3, v7
	v_cndmask_b32_e64 v7, 0, 1, vcc_lo
	v_cmp_ne_u32_e32 vcc_lo, 0, v2
	v_or_b32_e32 v7, v7, v8
	v_mov_b32_e32 v8, 0x7e00
	v_add_nc_u32_e32 v3, v3, v7
	v_cndmask_b32_e32 v2, 0x7c00, v8, vcc_lo
	v_cmp_gt_i32_e32 vcc_lo, 31, v6
	v_cndmask_b32_e32 v3, 0x7c00, v3, vcc_lo
	v_cmp_eq_u32_e32 vcc_lo, 0x40f, v6
	v_cndmask_b32_e32 v2, v3, v2, vcc_lo
	v_lshrrev_b32_e32 v3, 16, v1
	v_and_or_b32 v2, 0x8000, v3, v2
	global_store_short v[4:5], v2, off
.LBB6_1026:
	s_mov_b32 s7, 0
.LBB6_1027:
	s_andn2_b32 vcc_lo, exec_lo, s7
	s_cbranch_vccnz .LBB6_1043
; %bb.1028:
	s_sext_i32_i16 s14, s13
	s_mov_b32 s7, -1
	s_cmp_lt_i32 s14, 2
	s_cbranch_scc1 .LBB6_1038
; %bb.1029:
	s_cmp_lt_i32 s14, 3
	s_cbranch_scc1 .LBB6_1035
; %bb.1030:
	s_cmp_gt_i32 s14, 3
	s_cbranch_scc0 .LBB6_1032
; %bb.1031:
	s_waitcnt vmcnt(0)
	v_trunc_f64_e32 v[2:3], v[0:1]
	s_mov_b32 s7, 0
	v_ldexp_f64 v[6:7], v[2:3], 0xffffffe0
	v_floor_f64_e32 v[6:7], v[6:7]
	v_fma_f64 v[2:3], 0xc1f00000, v[6:7], v[2:3]
	v_cvt_i32_f64_e32 v7, v[6:7]
	v_cvt_u32_f64_e32 v6, v[2:3]
	global_store_dwordx2 v[4:5], v[6:7], off
.LBB6_1032:
	s_andn2_b32 vcc_lo, exec_lo, s7
	s_cbranch_vccnz .LBB6_1034
; %bb.1033:
	s_waitcnt vmcnt(0)
	v_cvt_i32_f64_e32 v2, v[0:1]
	global_store_dword v[4:5], v2, off
.LBB6_1034:
	s_mov_b32 s7, 0
.LBB6_1035:
	s_andn2_b32 vcc_lo, exec_lo, s7
	s_cbranch_vccnz .LBB6_1037
; %bb.1036:
	s_waitcnt vmcnt(0)
	v_cvt_i32_f64_e32 v2, v[0:1]
	global_store_short v[4:5], v2, off
.LBB6_1037:
	s_mov_b32 s7, 0
.LBB6_1038:
	s_andn2_b32 vcc_lo, exec_lo, s7
	s_cbranch_vccnz .LBB6_1043
; %bb.1039:
	s_sext_i32_i16 s7, s13
	s_cmp_gt_i32 s7, 0
	s_mov_b32 s7, -1
	s_cbranch_scc0 .LBB6_1041
; %bb.1040:
	s_waitcnt vmcnt(0)
	v_cvt_i32_f64_e32 v2, v[0:1]
	s_mov_b32 s7, 0
	global_store_byte v[4:5], v2, off
.LBB6_1041:
	s_andn2_b32 vcc_lo, exec_lo, s7
	s_cbranch_vccnz .LBB6_1043
; %bb.1042:
	v_trunc_f64_e32 v[0:1], v[0:1]
	s_waitcnt vmcnt(0)
	v_ldexp_f64 v[2:3], v[0:1], 0xffffffe0
	v_floor_f64_e32 v[2:3], v[2:3]
	v_fma_f64 v[0:1], 0xc1f00000, v[2:3], v[0:1]
	v_cvt_u32_f64_e32 v0, v[0:1]
	global_store_byte v[4:5], v0, off
.LBB6_1043:
	s_or_b32 exec_lo, exec_lo, s0
	s_and_b32 s7, s12, exec_lo
                                        ; implicit-def: $vgpr24
.LBB6_1044:
	s_or_saveexec_b32 s6, s6
	s_mov_b32 s0, 0
                                        ; implicit-def: $sgpr12
                                        ; implicit-def: $vgpr4_vgpr5
                                        ; implicit-def: $vgpr0_vgpr1
	s_xor_b32 exec_lo, exec_lo, s6
	s_cbranch_execz .LBB6_2009
; %bb.1045:
	v_mul_lo_u32 v4, s3, v24
	s_and_b32 s0, 0xffff, s5
	s_cmp_lt_i32 s0, 11
	v_ashrrev_i32_e32 v0, 31, v4
	s_waitcnt vmcnt(0)
	v_add_co_u32 v2, vcc_lo, s10, v4
	v_add_co_ci_u32_e64 v3, null, s11, v0, vcc_lo
	s_cbranch_scc1 .LBB6_1052
; %bb.1046:
	s_cmp_gt_i32 s0, 25
	s_mov_b32 s5, 0
	s_cbranch_scc0 .LBB6_1054
; %bb.1047:
	s_cmp_gt_i32 s0, 28
	s_cbranch_scc0 .LBB6_1055
; %bb.1048:
	s_cmp_gt_i32 s0, 43
	;; [unrolled: 3-line block ×3, first 2 shown]
	s_cbranch_scc0 .LBB6_1057
; %bb.1050:
	s_cmp_eq_u32 s0, 46
	s_mov_b32 s13, 0
	s_cbranch_scc0 .LBB6_1060
; %bb.1051:
	global_load_dword v0, v[2:3], off
	s_mov_b32 s12, -1
	s_waitcnt vmcnt(0)
	v_lshlrev_b32_e32 v0, 16, v0
	v_cvt_f64_f32_e32 v[0:1], v0
	s_branch .LBB6_1062
.LBB6_1052:
	s_mov_b32 s12, 0
	s_mov_b32 s4, s7
                                        ; implicit-def: $vgpr0_vgpr1
	s_cbranch_execnz .LBB6_1125
.LBB6_1053:
	s_andn2_b32 vcc_lo, exec_lo, s12
                                        ; implicit-def: $vgpr2_vgpr3
	s_cbranch_vccz .LBB6_1170
	s_branch .LBB6_2007
.LBB6_1054:
	s_mov_b32 s12, 0
                                        ; implicit-def: $vgpr0_vgpr1
	s_cbranch_execnz .LBB6_1092
	s_branch .LBB6_1121
.LBB6_1055:
	s_mov_b32 s13, -1
	s_mov_b32 s12, 0
                                        ; implicit-def: $vgpr0_vgpr1
	s_branch .LBB6_1071
.LBB6_1056:
	s_mov_b32 s12, 0
                                        ; implicit-def: $vgpr0_vgpr1
	s_cbranch_execnz .LBB6_1067
	s_branch .LBB6_1070
.LBB6_1057:
	s_mov_b32 s13, -1
	s_branch .LBB6_1061
.LBB6_1058:
	s_andn2_saveexec_b32 s18, s18
	s_cbranch_execz .LBB6_954
.LBB6_1059:
	v_add_f32_e64 v3, 0x46000000, |v2|
	s_andn2_b32 s17, s17, exec_lo
	v_and_b32_e32 v3, 0xff, v3
	v_cmp_ne_u32_e32 vcc_lo, 0, v3
	s_and_b32 s19, vcc_lo, exec_lo
	s_or_b32 s17, s17, s19
	s_or_b32 exec_lo, exec_lo, s18
	v_mov_b32_e32 v6, 0
	s_and_saveexec_b32 s18, s17
	s_cbranch_execnz .LBB6_955
	s_branch .LBB6_956
.LBB6_1060:
	s_mov_b32 s4, -1
.LBB6_1061:
	s_mov_b32 s12, 0
                                        ; implicit-def: $vgpr0_vgpr1
.LBB6_1062:
	s_and_b32 vcc_lo, exec_lo, s13
	s_cbranch_vccz .LBB6_1065
; %bb.1063:
	s_cmp_eq_u32 s0, 44
	s_cbranch_scc0 .LBB6_1066
; %bb.1064:
	global_load_ubyte v5, v[2:3], off
	s_mov_b32 s4, 0
	s_mov_b32 s12, -1
	s_waitcnt vmcnt(0)
	v_lshlrev_b32_e32 v0, 23, v5
	v_cmp_ne_u32_e32 vcc_lo, 0xff, v5
	v_cvt_f64_f32_e32 v[0:1], v0
	v_cndmask_b32_e32 v0, 0x20000000, v0, vcc_lo
	v_cndmask_b32_e32 v1, 0x7ff80000, v1, vcc_lo
	v_cmp_ne_u32_e32 vcc_lo, 0, v5
	v_cndmask_b32_e32 v1, 0x38000000, v1, vcc_lo
	v_cndmask_b32_e32 v0, 0, v0, vcc_lo
.LBB6_1065:
	s_branch .LBB6_1070
.LBB6_1066:
	s_mov_b32 s4, -1
                                        ; implicit-def: $vgpr0_vgpr1
	s_branch .LBB6_1070
.LBB6_1067:
	s_cmp_eq_u32 s0, 29
	s_cbranch_scc0 .LBB6_1069
; %bb.1068:
	global_load_dwordx2 v[0:1], v[2:3], off
	s_mov_b32 s4, 0
	s_mov_b32 s12, -1
	s_mov_b32 s13, 0
	s_waitcnt vmcnt(0)
	v_cvt_f64_u32_e32 v[5:6], v1
	v_cvt_f64_u32_e32 v[0:1], v0
	v_ldexp_f64 v[5:6], v[5:6], 32
	v_add_f64 v[0:1], v[5:6], v[0:1]
	s_branch .LBB6_1071
.LBB6_1069:
	s_mov_b32 s4, -1
                                        ; implicit-def: $vgpr0_vgpr1
.LBB6_1070:
	s_mov_b32 s13, 0
.LBB6_1071:
	s_and_b32 vcc_lo, exec_lo, s13
	s_cbranch_vccz .LBB6_1091
; %bb.1072:
	s_cmp_lt_i32 s0, 27
	s_cbranch_scc1 .LBB6_1075
; %bb.1073:
	s_cmp_gt_i32 s0, 27
	s_cbranch_scc0 .LBB6_1076
; %bb.1074:
	global_load_dword v0, v[2:3], off
	s_mov_b32 s12, 0
	s_waitcnt vmcnt(0)
	v_cvt_f64_u32_e32 v[0:1], v0
	s_branch .LBB6_1077
.LBB6_1075:
	s_mov_b32 s12, -1
                                        ; implicit-def: $vgpr0_vgpr1
	s_branch .LBB6_1080
.LBB6_1076:
	s_mov_b32 s12, -1
                                        ; implicit-def: $vgpr0_vgpr1
.LBB6_1077:
	s_andn2_b32 vcc_lo, exec_lo, s12
	s_cbranch_vccnz .LBB6_1079
; %bb.1078:
	global_load_ushort v0, v[2:3], off
	s_waitcnt vmcnt(0)
	v_cvt_f64_u32_e32 v[0:1], v0
.LBB6_1079:
	s_mov_b32 s12, 0
.LBB6_1080:
	s_andn2_b32 vcc_lo, exec_lo, s12
	s_cbranch_vccnz .LBB6_1090
; %bb.1081:
	global_load_ubyte v5, v[2:3], off
	s_mov_b32 s12, 0
	s_mov_b32 s13, exec_lo
	s_waitcnt vmcnt(0)
	v_cmpx_lt_i16_e32 0x7f, v5
	s_xor_b32 s13, exec_lo, s13
	s_cbranch_execz .LBB6_1085
; %bb.1082:
	s_mov_b32 s12, -1
	s_mov_b32 s14, exec_lo
	v_cmpx_eq_u16_e32 0x80, v5
; %bb.1083:
	s_xor_b32 s12, exec_lo, -1
; %bb.1084:
	s_or_b32 exec_lo, exec_lo, s14
	s_and_b32 s12, s12, exec_lo
.LBB6_1085:
	s_or_saveexec_b32 s13, s13
	v_bfrev_b32_e32 v0, 4
	v_mov_b32_e32 v1, 0x7ff80000
	s_xor_b32 exec_lo, exec_lo, s13
; %bb.1086:
	v_cmp_ne_u16_e32 vcc_lo, 0, v5
	v_mov_b32_e32 v0, 0
	v_mov_b32_e32 v1, 0
	s_andn2_b32 s12, s12, exec_lo
	s_and_b32 s14, vcc_lo, exec_lo
	s_or_b32 s12, s12, s14
; %bb.1087:
	s_or_b32 exec_lo, exec_lo, s13
	s_and_saveexec_b32 s13, s12
	s_cbranch_execz .LBB6_1089
; %bb.1088:
	v_and_b32_e32 v0, 0xffff, v5
	v_lshlrev_b32_e32 v5, 24, v5
	v_and_b32_e32 v1, 7, v0
	v_bfe_u32 v8, v0, 3, 4
	v_ffbh_u32_e32 v6, v1
	v_cmp_eq_u32_e32 vcc_lo, 0, v8
	v_min_u32_e32 v6, 32, v6
	v_subrev_nc_u32_e32 v7, 28, v6
	v_sub_nc_u32_e32 v6, 29, v6
	v_lshlrev_b32_e32 v0, v7, v0
	v_cndmask_b32_e32 v6, v8, v6, vcc_lo
	v_and_b32_e32 v0, 7, v0
	v_cndmask_b32_e32 v0, v1, v0, vcc_lo
	v_and_b32_e32 v1, 0x80000000, v5
	v_lshl_add_u32 v5, v6, 23, 0x3b800000
	v_lshlrev_b32_e32 v0, 20, v0
	v_or3_b32 v0, v1, v5, v0
	v_cvt_f64_f32_e32 v[0:1], v0
.LBB6_1089:
	s_or_b32 exec_lo, exec_lo, s13
.LBB6_1090:
	s_mov_b32 s12, -1
.LBB6_1091:
	s_branch .LBB6_1121
.LBB6_1092:
	s_cmp_gt_i32 s0, 22
	s_cbranch_scc0 .LBB6_1104
; %bb.1093:
	s_cmp_lt_i32 s0, 24
	s_cbranch_scc1 .LBB6_1105
; %bb.1094:
	s_cmp_gt_i32 s0, 24
	s_cbranch_scc0 .LBB6_1106
; %bb.1095:
	global_load_ubyte v5, v[2:3], off
	s_mov_b32 s12, exec_lo
	s_waitcnt vmcnt(0)
	v_cmpx_lt_i16_e32 0x7f, v5
	s_xor_b32 s12, exec_lo, s12
	s_cbranch_execz .LBB6_1099
; %bb.1096:
	s_mov_b32 s5, -1
	s_mov_b32 s13, exec_lo
	v_cmpx_eq_u16_e32 0x80, v5
; %bb.1097:
	s_xor_b32 s5, exec_lo, -1
; %bb.1098:
	s_or_b32 exec_lo, exec_lo, s13
	s_and_b32 s5, s5, exec_lo
.LBB6_1099:
	s_or_saveexec_b32 s12, s12
	v_bfrev_b32_e32 v0, 4
	v_mov_b32_e32 v1, 0x7ff80000
	s_xor_b32 exec_lo, exec_lo, s12
; %bb.1100:
	v_cmp_ne_u16_e32 vcc_lo, 0, v5
	v_mov_b32_e32 v0, 0
	v_mov_b32_e32 v1, 0
	s_andn2_b32 s5, s5, exec_lo
	s_and_b32 s13, vcc_lo, exec_lo
	s_or_b32 s5, s5, s13
; %bb.1101:
	s_or_b32 exec_lo, exec_lo, s12
	s_and_saveexec_b32 s12, s5
	s_cbranch_execz .LBB6_1103
; %bb.1102:
	v_and_b32_e32 v0, 0xffff, v5
	v_lshlrev_b32_e32 v5, 24, v5
	v_and_b32_e32 v1, 3, v0
	v_bfe_u32 v8, v0, 2, 5
	v_ffbh_u32_e32 v6, v1
	v_cmp_eq_u32_e32 vcc_lo, 0, v8
	v_min_u32_e32 v6, 32, v6
	v_subrev_nc_u32_e32 v7, 29, v6
	v_sub_nc_u32_e32 v6, 30, v6
	v_lshlrev_b32_e32 v0, v7, v0
	v_cndmask_b32_e32 v6, v8, v6, vcc_lo
	v_and_b32_e32 v0, 3, v0
	v_cndmask_b32_e32 v0, v1, v0, vcc_lo
	v_and_b32_e32 v1, 0x80000000, v5
	v_lshl_add_u32 v5, v6, 23, 0x37800000
	v_lshlrev_b32_e32 v0, 21, v0
	v_or3_b32 v0, v1, v5, v0
	v_cvt_f64_f32_e32 v[0:1], v0
.LBB6_1103:
	s_or_b32 exec_lo, exec_lo, s12
	s_mov_b32 s5, 0
	s_branch .LBB6_1107
.LBB6_1104:
                                        ; implicit-def: $vgpr0_vgpr1
	s_mov_b32 s5, 0
	s_branch .LBB6_1113
.LBB6_1105:
	s_mov_b32 s5, -1
                                        ; implicit-def: $vgpr0_vgpr1
	s_branch .LBB6_1110
.LBB6_1106:
	s_mov_b32 s5, -1
                                        ; implicit-def: $vgpr0_vgpr1
.LBB6_1107:
	s_and_b32 vcc_lo, exec_lo, s5
	s_cbranch_vccz .LBB6_1109
; %bb.1108:
	global_load_ubyte v0, v[2:3], off
	s_waitcnt vmcnt(0)
	v_lshlrev_b32_e32 v0, 24, v0
	v_and_b32_e32 v1, 0x7f000000, v0
	v_ffbh_u32_e32 v5, v1
	v_add_nc_u32_e32 v7, 0x1000000, v1
	v_cmp_ne_u32_e32 vcc_lo, 0, v1
	v_min_u32_e32 v5, 32, v5
	v_sub_nc_u32_e64 v5, v5, 4 clamp
	v_lshlrev_b32_e32 v6, v5, v1
	v_lshlrev_b32_e32 v5, 23, v5
	v_lshrrev_b32_e32 v6, 4, v6
	v_sub_nc_u32_e32 v5, v6, v5
	v_ashrrev_i32_e32 v6, 8, v7
	v_add_nc_u32_e32 v5, 0x3c000000, v5
	v_and_or_b32 v5, 0x7f800000, v6, v5
	v_cndmask_b32_e32 v1, 0, v5, vcc_lo
	v_and_or_b32 v0, 0x80000000, v0, v1
	v_cvt_f64_f32_e32 v[0:1], v0
.LBB6_1109:
	s_mov_b32 s5, 0
.LBB6_1110:
	s_andn2_b32 vcc_lo, exec_lo, s5
	s_cbranch_vccnz .LBB6_1112
; %bb.1111:
	global_load_ubyte v0, v[2:3], off
	s_waitcnt vmcnt(0)
	v_lshlrev_b32_e32 v1, 25, v0
	v_lshlrev_b16 v0, 8, v0
	v_lshrrev_b32_e32 v5, 4, v1
	v_and_or_b32 v6, 0x7f00, v0, 0.5
	v_cmp_gt_u32_e32 vcc_lo, 0x8000000, v1
	v_bfe_i32 v0, v0, 0, 16
	v_or_b32_e32 v5, 0x70000000, v5
	v_add_f32_e32 v6, -0.5, v6
	v_mul_f32_e32 v5, 0x7800000, v5
	v_cndmask_b32_e32 v1, v5, v6, vcc_lo
	v_and_or_b32 v0, 0x80000000, v0, v1
	v_cvt_f64_f32_e32 v[0:1], v0
.LBB6_1112:
	s_mov_b32 s12, -1
	s_mov_b32 s5, 0
	s_cbranch_execnz .LBB6_1121
.LBB6_1113:
	s_cmp_gt_i32 s0, 14
	s_cbranch_scc0 .LBB6_1116
; %bb.1114:
	s_cmp_eq_u32 s0, 15
	s_cbranch_scc0 .LBB6_1117
; %bb.1115:
	global_load_ushort v0, v[2:3], off
	s_mov_b32 s4, 0
	s_mov_b32 s12, -1
	s_waitcnt vmcnt(0)
	v_lshlrev_b32_e32 v0, 16, v0
	v_cvt_f64_f32_e32 v[0:1], v0
	s_branch .LBB6_1119
.LBB6_1116:
	s_mov_b32 s5, -1
	s_branch .LBB6_1118
.LBB6_1117:
	s_mov_b32 s4, -1
.LBB6_1118:
                                        ; implicit-def: $vgpr0_vgpr1
.LBB6_1119:
	s_and_b32 vcc_lo, exec_lo, s5
	s_mov_b32 s5, 0
	s_cbranch_vccz .LBB6_1121
; %bb.1120:
	s_cmp_lg_u32 s0, 11
	s_mov_b32 s5, -1
	s_cselect_b32 s4, -1, 0
.LBB6_1121:
	s_and_b32 vcc_lo, exec_lo, s4
	s_mov_b32 s4, s7
	s_cbranch_vccnz .LBB6_1186
; %bb.1122:
	s_andn2_b32 vcc_lo, exec_lo, s5
	s_cbranch_vccnz .LBB6_1124
.LBB6_1123:
	global_load_ubyte v0, v[2:3], off
	s_mov_b32 s12, -1
	s_waitcnt vmcnt(0)
	v_cmp_ne_u16_e32 vcc_lo, 0, v0
	v_mov_b32_e32 v0, 0
	v_cndmask_b32_e64 v1, 0, 0x3ff00000, vcc_lo
.LBB6_1124:
	s_branch .LBB6_1053
.LBB6_1125:
	s_cmp_lt_i32 s0, 5
	s_cbranch_scc1 .LBB6_1130
; %bb.1126:
	s_cmp_lt_i32 s0, 8
	s_cbranch_scc1 .LBB6_1131
; %bb.1127:
	;; [unrolled: 3-line block ×3, first 2 shown]
	s_cmp_gt_i32 s0, 9
	s_cbranch_scc0 .LBB6_1133
; %bb.1129:
	global_load_dwordx2 v[0:1], v[2:3], off
	s_mov_b32 s5, 0
	s_branch .LBB6_1134
.LBB6_1130:
                                        ; implicit-def: $vgpr0_vgpr1
	s_branch .LBB6_1151
.LBB6_1131:
                                        ; implicit-def: $vgpr0_vgpr1
	s_branch .LBB6_1140
.LBB6_1132:
	s_mov_b32 s5, -1
                                        ; implicit-def: $vgpr0_vgpr1
	s_branch .LBB6_1137
.LBB6_1133:
	s_mov_b32 s5, -1
                                        ; implicit-def: $vgpr0_vgpr1
.LBB6_1134:
	s_andn2_b32 vcc_lo, exec_lo, s5
	s_cbranch_vccnz .LBB6_1136
; %bb.1135:
	global_load_dword v0, v[2:3], off
	s_waitcnt vmcnt(0)
	v_cvt_f64_f32_e32 v[0:1], v0
.LBB6_1136:
	s_mov_b32 s5, 0
.LBB6_1137:
	s_andn2_b32 vcc_lo, exec_lo, s5
	s_cbranch_vccnz .LBB6_1139
; %bb.1138:
	global_load_dword v0, v[2:3], off
	s_waitcnt vmcnt(0)
	v_cvt_f32_f16_e32 v0, v0
	v_cvt_f64_f32_e32 v[0:1], v0
.LBB6_1139:
	s_cbranch_execnz .LBB6_1150
.LBB6_1140:
	s_cmp_lt_i32 s0, 6
	s_cbranch_scc1 .LBB6_1143
; %bb.1141:
	s_cmp_gt_i32 s0, 6
	s_cbranch_scc0 .LBB6_1144
; %bb.1142:
	global_load_dwordx2 v[0:1], v[2:3], off
	s_mov_b32 s5, 0
	s_branch .LBB6_1145
.LBB6_1143:
	s_mov_b32 s5, -1
                                        ; implicit-def: $vgpr0_vgpr1
	s_branch .LBB6_1148
.LBB6_1144:
	s_mov_b32 s5, -1
                                        ; implicit-def: $vgpr0_vgpr1
.LBB6_1145:
	s_andn2_b32 vcc_lo, exec_lo, s5
	s_cbranch_vccnz .LBB6_1147
; %bb.1146:
	global_load_dword v0, v[2:3], off
	s_waitcnt vmcnt(0)
	v_cvt_f64_f32_e32 v[0:1], v0
.LBB6_1147:
	s_mov_b32 s5, 0
.LBB6_1148:
	s_andn2_b32 vcc_lo, exec_lo, s5
	s_cbranch_vccnz .LBB6_1150
; %bb.1149:
	global_load_ushort v0, v[2:3], off
	s_waitcnt vmcnt(0)
	v_cvt_f32_f16_e32 v0, v0
	v_cvt_f64_f32_e32 v[0:1], v0
.LBB6_1150:
	s_cbranch_execnz .LBB6_1169
.LBB6_1151:
	s_cmp_lt_i32 s0, 2
	s_cbranch_scc1 .LBB6_1155
; %bb.1152:
	s_cmp_lt_i32 s0, 3
	s_cbranch_scc1 .LBB6_1156
; %bb.1153:
	s_cmp_gt_i32 s0, 3
	s_cbranch_scc0 .LBB6_1157
; %bb.1154:
	global_load_dwordx2 v[0:1], v[2:3], off
	s_mov_b32 s5, 0
	s_waitcnt vmcnt(0)
	v_cvt_f64_i32_e32 v[5:6], v1
	v_cvt_f64_u32_e32 v[0:1], v0
	v_ldexp_f64 v[5:6], v[5:6], 32
	v_add_f64 v[0:1], v[5:6], v[0:1]
	s_branch .LBB6_1158
.LBB6_1155:
                                        ; implicit-def: $vgpr0_vgpr1
	s_branch .LBB6_1164
.LBB6_1156:
	s_mov_b32 s5, -1
                                        ; implicit-def: $vgpr0_vgpr1
	s_branch .LBB6_1161
.LBB6_1157:
	s_mov_b32 s5, -1
                                        ; implicit-def: $vgpr0_vgpr1
.LBB6_1158:
	s_andn2_b32 vcc_lo, exec_lo, s5
	s_cbranch_vccnz .LBB6_1160
; %bb.1159:
	global_load_dword v0, v[2:3], off
	s_waitcnt vmcnt(0)
	v_cvt_f64_i32_e32 v[0:1], v0
.LBB6_1160:
	s_mov_b32 s5, 0
.LBB6_1161:
	s_andn2_b32 vcc_lo, exec_lo, s5
	s_cbranch_vccnz .LBB6_1163
; %bb.1162:
	global_load_sshort v0, v[2:3], off
	s_waitcnt vmcnt(0)
	v_cvt_f64_i32_e32 v[0:1], v0
.LBB6_1163:
	s_cbranch_execnz .LBB6_1169
.LBB6_1164:
	s_cmp_gt_i32 s0, 0
	s_mov_b32 s5, 0
	s_cbranch_scc0 .LBB6_1166
; %bb.1165:
	global_load_sbyte v0, v[2:3], off
	s_waitcnt vmcnt(0)
	v_cvt_f64_i32_e32 v[0:1], v0
	s_branch .LBB6_1167
.LBB6_1166:
	s_mov_b32 s5, -1
                                        ; implicit-def: $vgpr0_vgpr1
.LBB6_1167:
	s_andn2_b32 vcc_lo, exec_lo, s5
	s_cbranch_vccnz .LBB6_1169
; %bb.1168:
	global_load_ubyte v0, v[2:3], off
	s_waitcnt vmcnt(0)
	v_cvt_f64_u32_e32 v[0:1], v0
.LBB6_1169:
                                        ; implicit-def: $vgpr2_vgpr3
.LBB6_1170:
	s_waitcnt vmcnt(0)
	v_cmp_ngt_f64_e64 s5, 0x41d00000, |v[0:1]|
                                        ; implicit-def: $vgpr25
                                        ; implicit-def: $vgpr2_vgpr3
                                        ; implicit-def: $vgpr16_vgpr17
	s_and_saveexec_b32 s12, s5
	s_xor_b32 s5, exec_lo, s12
	s_cbranch_execz .LBB6_1172
; %bb.1171:
	v_ldexp_f64 v[2:3], |v[0:1]|, 0xffffff80
	v_cmp_le_f64_e64 vcc_lo, 0x7b000000, |v[0:1]|
	v_trig_preop_f64 v[5:6], |v[0:1]|, 0
	v_and_b32_e32 v7, 0x7fffffff, v1
	v_trig_preop_f64 v[17:18], |v[0:1]|, 2
	v_mov_b32_e32 v27, 0
	s_mov_b32 s12, 0x54442d18
	s_mov_b32 s13, 0x3ff921fb
	;; [unrolled: 1-line block ×4, first 2 shown]
	v_cndmask_b32_e32 v3, v7, v3, vcc_lo
	v_cndmask_b32_e32 v2, v0, v2, vcc_lo
	v_trig_preop_f64 v[7:8], |v[0:1]|, 1
	v_mul_f64 v[9:10], v[5:6], v[2:3]
	v_mul_f64 v[25:26], v[17:18], v[2:3]
	;; [unrolled: 1-line block ×3, first 2 shown]
	v_fma_f64 v[5:6], v[5:6], v[2:3], -v[9:10]
	v_fma_f64 v[7:8], v[7:8], v[2:3], -v[11:12]
	;; [unrolled: 1-line block ×3, first 2 shown]
	v_add_f64 v[13:14], v[11:12], v[5:6]
	v_add_f64 v[15:16], v[13:14], -v[11:12]
	v_add_f64 v[21:22], v[9:10], v[13:14]
	v_add_f64 v[19:20], v[13:14], -v[15:16]
	v_add_f64 v[5:6], v[5:6], -v[15:16]
	v_ldexp_f64 v[15:16], v[21:22], -2
	v_add_f64 v[9:10], v[21:22], -v[9:10]
	v_add_f64 v[11:12], v[11:12], -v[19:20]
	v_add_f64 v[19:20], v[25:26], v[7:8]
	v_cmp_neq_f64_e64 vcc_lo, 0x7ff00000, |v[15:16]|
	v_add_f64 v[9:10], v[13:14], -v[9:10]
	v_add_f64 v[5:6], v[5:6], v[11:12]
	v_fract_f64_e32 v[11:12], v[15:16]
	v_add_f64 v[13:14], v[19:20], v[5:6]
	v_ldexp_f64 v[11:12], v[11:12], 2
	v_add_f64 v[15:16], v[9:10], v[13:14]
	v_cndmask_b32_e32 v12, 0, v12, vcc_lo
	v_cndmask_b32_e32 v11, 0, v11, vcc_lo
	v_add_f64 v[21:22], v[15:16], v[11:12]
	v_add_f64 v[9:10], v[15:16], -v[9:10]
	v_cmp_gt_f64_e32 vcc_lo, 0, v[21:22]
	v_add_f64 v[21:22], v[19:20], -v[25:26]
	v_add_f64 v[9:10], v[13:14], -v[9:10]
	v_cndmask_b32_e64 v28, 0, 0x40100000, vcc_lo
	v_add_f64 v[32:33], v[19:20], -v[21:22]
	v_add_f64 v[7:8], v[7:8], -v[21:22]
	v_add_f64 v[11:12], v[11:12], v[27:28]
	v_add_f64 v[28:29], v[13:14], -v[19:20]
	v_add_f64 v[21:22], v[25:26], -v[32:33]
	v_add_f64 v[30:31], v[15:16], v[11:12]
	;; [unrolled: 3-line block ×3, first 2 shown]
	v_cvt_i32_f64_e32 v23, v[30:31]
	v_add_f64 v[19:20], v[19:20], -v[34:35]
	v_cvt_f64_i32_e32 v[28:29], v23
	v_add_f64 v[5:6], v[5:6], v[19:20]
	v_add_f64 v[11:12], v[11:12], -v[28:29]
	v_add_f64 v[5:6], v[7:8], v[5:6]
	v_add_f64 v[7:8], v[15:16], v[11:12]
	;; [unrolled: 1-line block ×3, first 2 shown]
	v_add_f64 v[5:6], v[7:8], -v[11:12]
	v_cmp_le_f64_e32 vcc_lo, 0.5, v[7:8]
	v_add_f64 v[2:3], v[9:10], v[2:3]
	v_add_f64 v[5:6], v[15:16], -v[5:6]
	v_cndmask_b32_e64 v28, 0, 0x3ff00000, vcc_lo
	v_add_co_ci_u32_e64 v25, null, 0, v23, vcc_lo
	v_add_f64 v[2:3], v[2:3], v[5:6]
	v_add_f64 v[5:6], v[7:8], -v[27:28]
	v_add_f64 v[7:8], v[5:6], v[2:3]
	v_mul_f64 v[9:10], v[7:8], s[12:13]
	v_add_f64 v[5:6], v[7:8], -v[5:6]
	v_fma_f64 v[11:12], v[7:8], s[12:13], -v[9:10]
	v_add_f64 v[2:3], v[2:3], -v[5:6]
	v_fma_f64 v[5:6], v[7:8], s[14:15], v[11:12]
	v_fma_f64 v[5:6], v[2:3], s[12:13], v[5:6]
	v_add_f64 v[2:3], v[9:10], v[5:6]
	v_add_f64 v[7:8], v[2:3], -v[9:10]
	v_add_f64 v[16:17], v[5:6], -v[7:8]
.LBB6_1172:
	s_andn2_saveexec_b32 s5, s5
	s_cbranch_execz .LBB6_1174
; %bb.1173:
	s_mov_b32 s12, 0x6dc9c883
	s_mov_b32 s13, 0x3fe45f30
	;; [unrolled: 1-line block ×3, first 2 shown]
	v_mul_f64 v[2:3], |v[0:1]|, s[12:13]
	s_mov_b32 s12, 0x54442d18
	s_mov_b32 s13, 0xbff921fb
	;; [unrolled: 1-line block ×3, first 2 shown]
	v_rndne_f64_e32 v[5:6], v[2:3]
	v_fma_f64 v[2:3], v[5:6], s[12:13], |v[0:1]|
	v_mul_f64 v[7:8], v[5:6], s[14:15]
	s_mov_b32 s12, 0x252049c0
	s_mov_b32 s13, 0xb97b839a
	v_cvt_i32_f64_e32 v25, v[5:6]
	v_fma_f64 v[11:12], v[5:6], s[14:15], v[2:3]
	v_add_f64 v[9:10], v[2:3], v[7:8]
	s_mov_b32 s15, 0x3c91a626
	v_add_f64 v[2:3], v[2:3], -v[9:10]
	v_add_f64 v[9:10], v[9:10], -v[11:12]
	v_add_f64 v[2:3], v[2:3], v[7:8]
	v_fma_f64 v[7:8], v[5:6], s[14:15], v[7:8]
	v_add_f64 v[2:3], v[9:10], v[2:3]
	v_add_f64 v[2:3], v[2:3], -v[7:8]
	v_fma_f64 v[7:8], v[5:6], s[12:13], v[2:3]
	v_add_f64 v[2:3], v[11:12], v[7:8]
	v_add_f64 v[9:10], v[2:3], -v[11:12]
	v_add_f64 v[16:17], v[7:8], -v[9:10]
.LBB6_1174:
	s_or_b32 exec_lo, exec_lo, s5
	s_lshl_b32 s3, s3, 7
	s_cmp_lt_i32 s0, 11
	v_add_nc_u32_e32 v8, s3, v4
	v_ashrrev_i32_e32 v4, 31, v8
	v_add_co_u32 v6, vcc_lo, s10, v8
	v_add_co_ci_u32_e64 v7, null, s11, v4, vcc_lo
	s_cbranch_scc1 .LBB6_1181
; %bb.1175:
	s_cmp_gt_i32 s0, 25
	s_mov_b32 s12, 0
	s_cbranch_scc0 .LBB6_1183
; %bb.1176:
	s_cmp_gt_i32 s0, 28
	s_cbranch_scc0 .LBB6_1184
; %bb.1177:
	s_cmp_gt_i32 s0, 43
	;; [unrolled: 3-line block ×3, first 2 shown]
	s_cbranch_scc0 .LBB6_1187
; %bb.1179:
	s_cmp_eq_u32 s0, 46
	s_mov_b32 s14, 0
	s_cbranch_scc0 .LBB6_1190
; %bb.1180:
	global_load_dword v4, v[6:7], off
	s_mov_b32 s5, 0
	s_mov_b32 s13, -1
	s_waitcnt vmcnt(0)
	v_lshlrev_b32_e32 v4, 16, v4
	v_cvt_f64_f32_e32 v[4:5], v4
	s_branch .LBB6_1192
.LBB6_1181:
	s_mov_b32 s13, 0
                                        ; implicit-def: $vgpr4_vgpr5
	s_cbranch_execnz .LBB6_1257
.LBB6_1182:
	s_andn2_b32 vcc_lo, exec_lo, s13
	s_cbranch_vccz .LBB6_1304
	s_branch .LBB6_2007
.LBB6_1183:
	s_mov_b32 s13, 0
	s_mov_b32 s5, 0
                                        ; implicit-def: $vgpr4_vgpr5
	s_cbranch_execnz .LBB6_1223
	s_branch .LBB6_1253
.LBB6_1184:
	s_mov_b32 s14, -1
	s_mov_b32 s13, 0
	s_mov_b32 s5, 0
                                        ; implicit-def: $vgpr4_vgpr5
	s_branch .LBB6_1202
.LBB6_1185:
	s_mov_b32 s14, -1
	s_mov_b32 s13, 0
	s_mov_b32 s5, 0
                                        ; implicit-def: $vgpr4_vgpr5
	s_branch .LBB6_1197
.LBB6_1186:
	s_or_b32 s4, s7, exec_lo
	s_trap 2
	s_cbranch_execz .LBB6_1123
	s_branch .LBB6_1124
.LBB6_1187:
	s_mov_b32 s14, -1
	s_mov_b32 s13, 0
	s_mov_b32 s5, 0
	s_branch .LBB6_1191
.LBB6_1188:
	s_andn2_saveexec_b32 s19, s19
	s_cbranch_execz .LBB6_966
.LBB6_1189:
	v_add_f32_e64 v3, 0x42800000, |v2|
	s_andn2_b32 s18, s18, exec_lo
	v_and_b32_e32 v3, 0xff, v3
	v_cmp_ne_u32_e32 vcc_lo, 0, v3
	s_and_b32 s20, vcc_lo, exec_lo
	s_or_b32 s18, s18, s20
	s_or_b32 exec_lo, exec_lo, s19
	v_mov_b32_e32 v6, 0
	s_and_saveexec_b32 s19, s18
	s_cbranch_execnz .LBB6_967
	s_branch .LBB6_968
.LBB6_1190:
	s_mov_b32 s5, -1
	s_mov_b32 s13, 0
.LBB6_1191:
                                        ; implicit-def: $vgpr4_vgpr5
.LBB6_1192:
	s_and_b32 vcc_lo, exec_lo, s14
	s_cbranch_vccz .LBB6_1196
; %bb.1193:
	s_cmp_eq_u32 s0, 44
	s_cbranch_scc0 .LBB6_1195
; %bb.1194:
	global_load_ubyte v9, v[6:7], off
	s_mov_b32 s5, 0
	s_mov_b32 s13, -1
	s_waitcnt vmcnt(0)
	v_lshlrev_b32_e32 v4, 23, v9
	v_cmp_ne_u32_e32 vcc_lo, 0xff, v9
	v_cvt_f64_f32_e32 v[4:5], v4
	v_cndmask_b32_e32 v4, 0x20000000, v4, vcc_lo
	v_cndmask_b32_e32 v5, 0x7ff80000, v5, vcc_lo
	v_cmp_ne_u32_e32 vcc_lo, 0, v9
	v_cndmask_b32_e32 v5, 0x38000000, v5, vcc_lo
	v_cndmask_b32_e32 v4, 0, v4, vcc_lo
	s_branch .LBB6_1196
.LBB6_1195:
	s_mov_b32 s5, -1
                                        ; implicit-def: $vgpr4_vgpr5
.LBB6_1196:
	s_mov_b32 s14, 0
.LBB6_1197:
	s_and_b32 vcc_lo, exec_lo, s14
	s_cbranch_vccz .LBB6_1201
; %bb.1198:
	s_cmp_eq_u32 s0, 29
	s_cbranch_scc0 .LBB6_1200
; %bb.1199:
	global_load_dwordx2 v[4:5], v[6:7], off
	s_mov_b32 s5, 0
	s_mov_b32 s13, -1
	s_mov_b32 s14, 0
	s_waitcnt vmcnt(0)
	v_cvt_f64_u32_e32 v[9:10], v5
	v_cvt_f64_u32_e32 v[4:5], v4
	v_ldexp_f64 v[9:10], v[9:10], 32
	v_add_f64 v[4:5], v[9:10], v[4:5]
	s_branch .LBB6_1202
.LBB6_1200:
	s_mov_b32 s5, -1
                                        ; implicit-def: $vgpr4_vgpr5
.LBB6_1201:
	s_mov_b32 s14, 0
.LBB6_1202:
	s_and_b32 vcc_lo, exec_lo, s14
	s_cbranch_vccz .LBB6_1222
; %bb.1203:
	s_cmp_lt_i32 s0, 27
	s_cbranch_scc1 .LBB6_1206
; %bb.1204:
	s_cmp_gt_i32 s0, 27
	s_cbranch_scc0 .LBB6_1207
; %bb.1205:
	global_load_dword v4, v[6:7], off
	s_mov_b32 s13, 0
	s_waitcnt vmcnt(0)
	v_cvt_f64_u32_e32 v[4:5], v4
	s_branch .LBB6_1208
.LBB6_1206:
	s_mov_b32 s13, -1
                                        ; implicit-def: $vgpr4_vgpr5
	s_branch .LBB6_1211
.LBB6_1207:
	s_mov_b32 s13, -1
                                        ; implicit-def: $vgpr4_vgpr5
.LBB6_1208:
	s_andn2_b32 vcc_lo, exec_lo, s13
	s_cbranch_vccnz .LBB6_1210
; %bb.1209:
	global_load_ushort v4, v[6:7], off
	s_waitcnt vmcnt(0)
	v_cvt_f64_u32_e32 v[4:5], v4
.LBB6_1210:
	s_mov_b32 s13, 0
.LBB6_1211:
	s_andn2_b32 vcc_lo, exec_lo, s13
	s_cbranch_vccnz .LBB6_1221
; %bb.1212:
	global_load_ubyte v9, v[6:7], off
	s_mov_b32 s13, 0
	s_mov_b32 s14, exec_lo
	s_waitcnt vmcnt(0)
	v_cmpx_lt_i16_e32 0x7f, v9
	s_xor_b32 s14, exec_lo, s14
	s_cbranch_execz .LBB6_1216
; %bb.1213:
	s_mov_b32 s13, -1
	s_mov_b32 s15, exec_lo
	v_cmpx_eq_u16_e32 0x80, v9
; %bb.1214:
	s_xor_b32 s13, exec_lo, -1
; %bb.1215:
	s_or_b32 exec_lo, exec_lo, s15
	s_and_b32 s13, s13, exec_lo
.LBB6_1216:
	s_or_saveexec_b32 s14, s14
	v_bfrev_b32_e32 v4, 4
	v_mov_b32_e32 v5, 0x7ff80000
	s_xor_b32 exec_lo, exec_lo, s14
; %bb.1217:
	v_cmp_ne_u16_e32 vcc_lo, 0, v9
	v_mov_b32_e32 v4, 0
	v_mov_b32_e32 v5, 0
	s_andn2_b32 s13, s13, exec_lo
	s_and_b32 s15, vcc_lo, exec_lo
	s_or_b32 s13, s13, s15
; %bb.1218:
	s_or_b32 exec_lo, exec_lo, s14
	s_and_saveexec_b32 s14, s13
	s_cbranch_execz .LBB6_1220
; %bb.1219:
	v_and_b32_e32 v4, 0xffff, v9
	v_lshlrev_b32_e32 v9, 24, v9
	v_and_b32_e32 v5, 7, v4
	v_bfe_u32 v12, v4, 3, 4
	v_ffbh_u32_e32 v10, v5
	v_cmp_eq_u32_e32 vcc_lo, 0, v12
	v_min_u32_e32 v10, 32, v10
	v_subrev_nc_u32_e32 v11, 28, v10
	v_sub_nc_u32_e32 v10, 29, v10
	v_lshlrev_b32_e32 v4, v11, v4
	v_cndmask_b32_e32 v10, v12, v10, vcc_lo
	v_and_b32_e32 v4, 7, v4
	v_cndmask_b32_e32 v4, v5, v4, vcc_lo
	v_and_b32_e32 v5, 0x80000000, v9
	v_lshl_add_u32 v9, v10, 23, 0x3b800000
	v_lshlrev_b32_e32 v4, 20, v4
	v_or3_b32 v4, v5, v9, v4
	v_cvt_f64_f32_e32 v[4:5], v4
.LBB6_1220:
	s_or_b32 exec_lo, exec_lo, s14
.LBB6_1221:
	s_mov_b32 s13, -1
.LBB6_1222:
	s_branch .LBB6_1253
.LBB6_1223:
	s_cmp_gt_i32 s0, 22
	s_cbranch_scc0 .LBB6_1235
; %bb.1224:
	s_cmp_lt_i32 s0, 24
	s_cbranch_scc1 .LBB6_1236
; %bb.1225:
	s_cmp_gt_i32 s0, 24
	s_cbranch_scc0 .LBB6_1237
; %bb.1226:
	global_load_ubyte v9, v[6:7], off
	s_mov_b32 s13, exec_lo
	s_waitcnt vmcnt(0)
	v_cmpx_lt_i16_e32 0x7f, v9
	s_xor_b32 s13, exec_lo, s13
	s_cbranch_execz .LBB6_1230
; %bb.1227:
	s_mov_b32 s12, -1
	s_mov_b32 s14, exec_lo
	v_cmpx_eq_u16_e32 0x80, v9
; %bb.1228:
	s_xor_b32 s12, exec_lo, -1
; %bb.1229:
	s_or_b32 exec_lo, exec_lo, s14
	s_and_b32 s12, s12, exec_lo
.LBB6_1230:
	s_or_saveexec_b32 s13, s13
	v_bfrev_b32_e32 v4, 4
	v_mov_b32_e32 v5, 0x7ff80000
	s_xor_b32 exec_lo, exec_lo, s13
; %bb.1231:
	v_cmp_ne_u16_e32 vcc_lo, 0, v9
	v_mov_b32_e32 v4, 0
	v_mov_b32_e32 v5, 0
	s_andn2_b32 s12, s12, exec_lo
	s_and_b32 s14, vcc_lo, exec_lo
	s_or_b32 s12, s12, s14
; %bb.1232:
	s_or_b32 exec_lo, exec_lo, s13
	s_and_saveexec_b32 s13, s12
	s_cbranch_execz .LBB6_1234
; %bb.1233:
	v_and_b32_e32 v4, 0xffff, v9
	v_lshlrev_b32_e32 v9, 24, v9
	v_and_b32_e32 v5, 3, v4
	v_bfe_u32 v12, v4, 2, 5
	v_ffbh_u32_e32 v10, v5
	v_cmp_eq_u32_e32 vcc_lo, 0, v12
	v_min_u32_e32 v10, 32, v10
	v_subrev_nc_u32_e32 v11, 29, v10
	v_sub_nc_u32_e32 v10, 30, v10
	v_lshlrev_b32_e32 v4, v11, v4
	v_cndmask_b32_e32 v10, v12, v10, vcc_lo
	v_and_b32_e32 v4, 3, v4
	v_cndmask_b32_e32 v4, v5, v4, vcc_lo
	v_and_b32_e32 v5, 0x80000000, v9
	v_lshl_add_u32 v9, v10, 23, 0x37800000
	v_lshlrev_b32_e32 v4, 21, v4
	v_or3_b32 v4, v5, v9, v4
	v_cvt_f64_f32_e32 v[4:5], v4
.LBB6_1234:
	s_or_b32 exec_lo, exec_lo, s13
	s_mov_b32 s12, 0
	s_branch .LBB6_1238
.LBB6_1235:
	s_mov_b32 s12, -1
                                        ; implicit-def: $vgpr4_vgpr5
	s_branch .LBB6_1244
.LBB6_1236:
	s_mov_b32 s12, -1
                                        ; implicit-def: $vgpr4_vgpr5
	s_branch .LBB6_1241
.LBB6_1237:
	s_mov_b32 s12, -1
                                        ; implicit-def: $vgpr4_vgpr5
.LBB6_1238:
	s_and_b32 vcc_lo, exec_lo, s12
	s_cbranch_vccz .LBB6_1240
; %bb.1239:
	global_load_ubyte v4, v[6:7], off
	s_waitcnt vmcnt(0)
	v_lshlrev_b32_e32 v4, 24, v4
	v_and_b32_e32 v5, 0x7f000000, v4
	v_ffbh_u32_e32 v9, v5
	v_add_nc_u32_e32 v11, 0x1000000, v5
	v_cmp_ne_u32_e32 vcc_lo, 0, v5
	v_min_u32_e32 v9, 32, v9
	v_sub_nc_u32_e64 v9, v9, 4 clamp
	v_lshlrev_b32_e32 v10, v9, v5
	v_lshlrev_b32_e32 v9, 23, v9
	v_lshrrev_b32_e32 v10, 4, v10
	v_sub_nc_u32_e32 v9, v10, v9
	v_ashrrev_i32_e32 v10, 8, v11
	v_add_nc_u32_e32 v9, 0x3c000000, v9
	v_and_or_b32 v9, 0x7f800000, v10, v9
	v_cndmask_b32_e32 v5, 0, v9, vcc_lo
	v_and_or_b32 v4, 0x80000000, v4, v5
	v_cvt_f64_f32_e32 v[4:5], v4
.LBB6_1240:
	s_mov_b32 s12, 0
.LBB6_1241:
	s_andn2_b32 vcc_lo, exec_lo, s12
	s_cbranch_vccnz .LBB6_1243
; %bb.1242:
	global_load_ubyte v4, v[6:7], off
	s_waitcnt vmcnt(0)
	v_lshlrev_b32_e32 v5, 25, v4
	v_lshlrev_b16 v4, 8, v4
	v_lshrrev_b32_e32 v9, 4, v5
	v_and_or_b32 v10, 0x7f00, v4, 0.5
	v_cmp_gt_u32_e32 vcc_lo, 0x8000000, v5
	v_bfe_i32 v4, v4, 0, 16
	v_or_b32_e32 v9, 0x70000000, v9
	v_add_f32_e32 v10, -0.5, v10
	v_mul_f32_e32 v9, 0x7800000, v9
	v_cndmask_b32_e32 v5, v9, v10, vcc_lo
	v_and_or_b32 v4, 0x80000000, v4, v5
	v_cvt_f64_f32_e32 v[4:5], v4
.LBB6_1243:
	s_mov_b32 s12, 0
	s_mov_b32 s13, -1
.LBB6_1244:
	s_andn2_b32 vcc_lo, exec_lo, s12
	s_mov_b32 s12, 0
	s_cbranch_vccnz .LBB6_1253
; %bb.1245:
	s_cmp_gt_i32 s0, 14
	s_cbranch_scc0 .LBB6_1248
; %bb.1246:
	s_cmp_eq_u32 s0, 15
	s_cbranch_scc0 .LBB6_1249
; %bb.1247:
	global_load_ushort v4, v[6:7], off
	s_mov_b32 s5, 0
	s_mov_b32 s13, -1
	s_waitcnt vmcnt(0)
	v_lshlrev_b32_e32 v4, 16, v4
	v_cvt_f64_f32_e32 v[4:5], v4
	s_branch .LBB6_1251
.LBB6_1248:
	s_mov_b32 s12, -1
	s_branch .LBB6_1250
.LBB6_1249:
	s_mov_b32 s5, -1
.LBB6_1250:
                                        ; implicit-def: $vgpr4_vgpr5
.LBB6_1251:
	s_and_b32 vcc_lo, exec_lo, s12
	s_mov_b32 s12, 0
	s_cbranch_vccz .LBB6_1253
; %bb.1252:
	s_cmp_lg_u32 s0, 11
	s_mov_b32 s12, -1
	s_cselect_b32 s5, -1, 0
.LBB6_1253:
	s_and_b32 vcc_lo, exec_lo, s5
	s_cbranch_vccnz .LBB6_1320
; %bb.1254:
	s_andn2_b32 vcc_lo, exec_lo, s12
	s_cbranch_vccnz .LBB6_1256
.LBB6_1255:
	global_load_ubyte v4, v[6:7], off
	s_mov_b32 s13, -1
	s_waitcnt vmcnt(0)
	v_cmp_ne_u16_e32 vcc_lo, 0, v4
	v_mov_b32_e32 v4, 0
	v_cndmask_b32_e64 v5, 0, 0x3ff00000, vcc_lo
.LBB6_1256:
	s_branch .LBB6_1182
.LBB6_1257:
	s_cmp_lt_i32 s0, 5
	s_cbranch_scc1 .LBB6_1262
; %bb.1258:
	s_cmp_lt_i32 s0, 8
	s_cbranch_scc1 .LBB6_1263
; %bb.1259:
	;; [unrolled: 3-line block ×3, first 2 shown]
	s_cmp_gt_i32 s0, 9
	s_cbranch_scc0 .LBB6_1265
; %bb.1261:
	global_load_dwordx2 v[4:5], v[6:7], off
	s_mov_b32 s5, 0
	s_branch .LBB6_1266
.LBB6_1262:
                                        ; implicit-def: $vgpr4_vgpr5
	s_branch .LBB6_1284
.LBB6_1263:
	s_mov_b32 s5, -1
                                        ; implicit-def: $vgpr4_vgpr5
	s_branch .LBB6_1272
.LBB6_1264:
	s_mov_b32 s5, -1
                                        ; implicit-def: $vgpr4_vgpr5
	s_branch .LBB6_1269
.LBB6_1265:
	s_mov_b32 s5, -1
                                        ; implicit-def: $vgpr4_vgpr5
.LBB6_1266:
	s_andn2_b32 vcc_lo, exec_lo, s5
	s_cbranch_vccnz .LBB6_1268
; %bb.1267:
	global_load_dword v4, v[6:7], off
	s_waitcnt vmcnt(0)
	v_cvt_f64_f32_e32 v[4:5], v4
.LBB6_1268:
	s_mov_b32 s5, 0
.LBB6_1269:
	s_andn2_b32 vcc_lo, exec_lo, s5
	s_cbranch_vccnz .LBB6_1271
; %bb.1270:
	global_load_dword v4, v[6:7], off
	s_waitcnt vmcnt(0)
	v_cvt_f32_f16_e32 v4, v4
	v_cvt_f64_f32_e32 v[4:5], v4
.LBB6_1271:
	s_mov_b32 s5, 0
.LBB6_1272:
	s_andn2_b32 vcc_lo, exec_lo, s5
	s_cbranch_vccnz .LBB6_1283
; %bb.1273:
	s_cmp_lt_i32 s0, 6
	s_cbranch_scc1 .LBB6_1276
; %bb.1274:
	s_cmp_gt_i32 s0, 6
	s_cbranch_scc0 .LBB6_1277
; %bb.1275:
	global_load_dwordx2 v[4:5], v[6:7], off
	s_mov_b32 s5, 0
	s_branch .LBB6_1278
.LBB6_1276:
	s_mov_b32 s5, -1
                                        ; implicit-def: $vgpr4_vgpr5
	s_branch .LBB6_1281
.LBB6_1277:
	s_mov_b32 s5, -1
                                        ; implicit-def: $vgpr4_vgpr5
.LBB6_1278:
	s_andn2_b32 vcc_lo, exec_lo, s5
	s_cbranch_vccnz .LBB6_1280
; %bb.1279:
	global_load_dword v4, v[6:7], off
	s_waitcnt vmcnt(0)
	v_cvt_f64_f32_e32 v[4:5], v4
.LBB6_1280:
	s_mov_b32 s5, 0
.LBB6_1281:
	s_andn2_b32 vcc_lo, exec_lo, s5
	s_cbranch_vccnz .LBB6_1283
; %bb.1282:
	global_load_ushort v4, v[6:7], off
	s_waitcnt vmcnt(0)
	v_cvt_f32_f16_e32 v4, v4
	v_cvt_f64_f32_e32 v[4:5], v4
.LBB6_1283:
	s_cbranch_execnz .LBB6_1303
.LBB6_1284:
	s_cmp_lt_i32 s0, 2
	s_cbranch_scc1 .LBB6_1288
; %bb.1285:
	s_cmp_lt_i32 s0, 3
	s_cbranch_scc1 .LBB6_1289
; %bb.1286:
	s_cmp_gt_i32 s0, 3
	s_cbranch_scc0 .LBB6_1290
; %bb.1287:
	global_load_dwordx2 v[4:5], v[6:7], off
	s_mov_b32 s5, 0
	s_waitcnt vmcnt(0)
	v_cvt_f64_i32_e32 v[9:10], v5
	v_cvt_f64_u32_e32 v[4:5], v4
	v_ldexp_f64 v[9:10], v[9:10], 32
	v_add_f64 v[4:5], v[9:10], v[4:5]
	s_branch .LBB6_1291
.LBB6_1288:
	s_mov_b32 s5, -1
                                        ; implicit-def: $vgpr4_vgpr5
	s_branch .LBB6_1297
.LBB6_1289:
	s_mov_b32 s5, -1
                                        ; implicit-def: $vgpr4_vgpr5
	s_branch .LBB6_1294
.LBB6_1290:
	s_mov_b32 s5, -1
                                        ; implicit-def: $vgpr4_vgpr5
.LBB6_1291:
	s_andn2_b32 vcc_lo, exec_lo, s5
	s_cbranch_vccnz .LBB6_1293
; %bb.1292:
	global_load_dword v4, v[6:7], off
	s_waitcnt vmcnt(0)
	v_cvt_f64_i32_e32 v[4:5], v4
.LBB6_1293:
	s_mov_b32 s5, 0
.LBB6_1294:
	s_andn2_b32 vcc_lo, exec_lo, s5
	s_cbranch_vccnz .LBB6_1296
; %bb.1295:
	global_load_sshort v4, v[6:7], off
	s_waitcnt vmcnt(0)
	v_cvt_f64_i32_e32 v[4:5], v4
.LBB6_1296:
	s_mov_b32 s5, 0
.LBB6_1297:
	s_andn2_b32 vcc_lo, exec_lo, s5
	s_cbranch_vccnz .LBB6_1303
; %bb.1298:
	s_cmp_gt_i32 s0, 0
	s_mov_b32 s5, 0
	s_cbranch_scc0 .LBB6_1300
; %bb.1299:
	global_load_sbyte v4, v[6:7], off
	s_waitcnt vmcnt(0)
	v_cvt_f64_i32_e32 v[4:5], v4
	s_branch .LBB6_1301
.LBB6_1300:
	s_mov_b32 s5, -1
                                        ; implicit-def: $vgpr4_vgpr5
.LBB6_1301:
	s_andn2_b32 vcc_lo, exec_lo, s5
	s_cbranch_vccnz .LBB6_1303
; %bb.1302:
	global_load_ubyte v4, v[6:7], off
	s_waitcnt vmcnt(0)
	v_cvt_f64_u32_e32 v[4:5], v4
.LBB6_1303:
.LBB6_1304:
	s_waitcnt vmcnt(0)
	v_cmp_ngt_f64_e64 s5, 0x41d00000, |v[4:5]|
                                        ; implicit-def: $vgpr26
                                        ; implicit-def: $vgpr10_vgpr11
                                        ; implicit-def: $vgpr18_vgpr19
	s_and_saveexec_b32 s12, s5
	s_xor_b32 s5, exec_lo, s12
	s_cbranch_execz .LBB6_1306
; %bb.1305:
	v_ldexp_f64 v[6:7], |v[4:5]|, 0xffffff80
	v_cmp_le_f64_e64 vcc_lo, 0x7b000000, |v[4:5]|
	v_trig_preop_f64 v[9:10], |v[4:5]|, 0
	v_and_b32_e32 v11, 0x7fffffff, v5
	v_trig_preop_f64 v[26:27], |v[4:5]|, 2
	v_mov_b32_e32 v34, 0
	s_mov_b32 s12, 0x54442d18
	s_mov_b32 s13, 0x3ff921fb
	s_mov_b32 s14, 0x33145c07
	s_mov_b32 s15, 0x3c91a626
	v_cndmask_b32_e32 v7, v11, v7, vcc_lo
	v_cndmask_b32_e32 v6, v4, v6, vcc_lo
	v_trig_preop_f64 v[11:12], |v[4:5]|, 1
	v_mul_f64 v[13:14], v[9:10], v[6:7]
	v_mul_f64 v[32:33], v[26:27], v[6:7]
	;; [unrolled: 1-line block ×3, first 2 shown]
	v_fma_f64 v[9:10], v[9:10], v[6:7], -v[13:14]
	v_fma_f64 v[11:12], v[11:12], v[6:7], -v[18:19]
	;; [unrolled: 1-line block ×3, first 2 shown]
	v_add_f64 v[20:21], v[18:19], v[9:10]
	v_add_f64 v[22:23], v[20:21], -v[18:19]
	v_add_f64 v[30:31], v[13:14], v[20:21]
	v_add_f64 v[28:29], v[20:21], -v[22:23]
	v_add_f64 v[9:10], v[9:10], -v[22:23]
	v_ldexp_f64 v[22:23], v[30:31], -2
	v_add_f64 v[13:14], v[30:31], -v[13:14]
	v_add_f64 v[18:19], v[18:19], -v[28:29]
	v_add_f64 v[28:29], v[32:33], v[11:12]
	v_cmp_neq_f64_e64 vcc_lo, 0x7ff00000, |v[22:23]|
	v_add_f64 v[13:14], v[20:21], -v[13:14]
	v_add_f64 v[9:10], v[9:10], v[18:19]
	v_fract_f64_e32 v[18:19], v[22:23]
	v_add_f64 v[20:21], v[28:29], v[9:10]
	v_ldexp_f64 v[18:19], v[18:19], 2
	v_add_f64 v[22:23], v[13:14], v[20:21]
	v_cndmask_b32_e32 v19, 0, v19, vcc_lo
	v_cndmask_b32_e32 v18, 0, v18, vcc_lo
	v_add_f64 v[30:31], v[22:23], v[18:19]
	v_add_f64 v[13:14], v[22:23], -v[13:14]
	v_cmp_gt_f64_e32 vcc_lo, 0, v[30:31]
	v_add_f64 v[30:31], v[28:29], -v[32:33]
	v_add_f64 v[13:14], v[20:21], -v[13:14]
	v_cndmask_b32_e64 v35, 0, 0x40100000, vcc_lo
	v_add_f64 v[39:40], v[28:29], -v[30:31]
	v_add_f64 v[11:12], v[11:12], -v[30:31]
	v_add_f64 v[18:19], v[18:19], v[34:35]
	v_add_f64 v[35:36], v[20:21], -v[28:29]
	v_add_f64 v[30:31], v[32:33], -v[39:40]
	v_add_f64 v[37:38], v[22:23], v[18:19]
	;; [unrolled: 3-line block ×3, first 2 shown]
	v_cvt_i32_f64_e32 v15, v[37:38]
	v_add_f64 v[28:29], v[28:29], -v[41:42]
	v_cvt_f64_i32_e32 v[35:36], v15
	v_add_f64 v[9:10], v[9:10], v[28:29]
	v_add_f64 v[18:19], v[18:19], -v[35:36]
	v_add_f64 v[9:10], v[11:12], v[9:10]
	v_add_f64 v[11:12], v[22:23], v[18:19]
	v_add_f64 v[6:7], v[6:7], v[9:10]
	v_add_f64 v[9:10], v[11:12], -v[18:19]
	v_cmp_le_f64_e32 vcc_lo, 0.5, v[11:12]
	v_add_f64 v[6:7], v[13:14], v[6:7]
	v_add_f64 v[9:10], v[22:23], -v[9:10]
	v_cndmask_b32_e64 v35, 0, 0x3ff00000, vcc_lo
	v_add_co_ci_u32_e64 v26, null, 0, v15, vcc_lo
	v_add_f64 v[6:7], v[6:7], v[9:10]
	v_add_f64 v[9:10], v[11:12], -v[34:35]
	v_add_f64 v[11:12], v[9:10], v[6:7]
	v_mul_f64 v[13:14], v[11:12], s[12:13]
	v_add_f64 v[9:10], v[11:12], -v[9:10]
	v_fma_f64 v[18:19], v[11:12], s[12:13], -v[13:14]
	v_add_f64 v[6:7], v[6:7], -v[9:10]
	v_fma_f64 v[9:10], v[11:12], s[14:15], v[18:19]
	v_fma_f64 v[6:7], v[6:7], s[12:13], v[9:10]
	v_add_f64 v[10:11], v[13:14], v[6:7]
	v_add_f64 v[12:13], v[10:11], -v[13:14]
	v_add_f64 v[18:19], v[6:7], -v[12:13]
.LBB6_1306:
	s_andn2_saveexec_b32 s5, s5
	s_cbranch_execz .LBB6_1308
; %bb.1307:
	s_mov_b32 s12, 0x6dc9c883
	s_mov_b32 s13, 0x3fe45f30
	;; [unrolled: 1-line block ×3, first 2 shown]
	v_mul_f64 v[6:7], |v[4:5]|, s[12:13]
	s_mov_b32 s12, 0x54442d18
	s_mov_b32 s13, 0xbff921fb
	;; [unrolled: 1-line block ×3, first 2 shown]
	v_rndne_f64_e32 v[6:7], v[6:7]
	v_fma_f64 v[9:10], v[6:7], s[12:13], |v[4:5]|
	v_mul_f64 v[11:12], v[6:7], s[14:15]
	s_mov_b32 s12, 0x252049c0
	s_mov_b32 s13, 0xb97b839a
	v_cvt_i32_f64_e32 v26, v[6:7]
	v_fma_f64 v[18:19], v[6:7], s[14:15], v[9:10]
	v_add_f64 v[13:14], v[9:10], v[11:12]
	s_mov_b32 s15, 0x3c91a626
	v_add_f64 v[9:10], v[9:10], -v[13:14]
	v_add_f64 v[13:14], v[13:14], -v[18:19]
	v_add_f64 v[9:10], v[9:10], v[11:12]
	v_fma_f64 v[11:12], v[6:7], s[14:15], v[11:12]
	v_add_f64 v[9:10], v[13:14], v[9:10]
	v_add_f64 v[9:10], v[9:10], -v[11:12]
	v_fma_f64 v[12:13], v[6:7], s[12:13], v[9:10]
	v_add_f64 v[10:11], v[18:19], v[12:13]
	v_add_f64 v[14:15], v[10:11], -v[18:19]
	v_add_f64 v[18:19], v[12:13], -v[14:15]
.LBB6_1308:
	s_or_b32 exec_lo, exec_lo, s5
	v_add_nc_u32_e32 v14, s3, v8
	s_cmp_lt_i32 s0, 11
	v_ashrrev_i32_e32 v6, 31, v14
	v_add_co_u32 v8, vcc_lo, s10, v14
	v_add_co_ci_u32_e64 v9, null, s11, v6, vcc_lo
	s_cbranch_scc1 .LBB6_1315
; %bb.1309:
	s_cmp_gt_i32 s0, 25
	s_mov_b32 s12, 0
	s_cbranch_scc0 .LBB6_1317
; %bb.1310:
	s_cmp_gt_i32 s0, 28
	s_cbranch_scc0 .LBB6_1318
; %bb.1311:
	s_cmp_gt_i32 s0, 43
	;; [unrolled: 3-line block ×3, first 2 shown]
	s_cbranch_scc0 .LBB6_1321
; %bb.1313:
	s_cmp_eq_u32 s0, 46
	s_mov_b32 s14, 0
	s_cbranch_scc0 .LBB6_1322
; %bb.1314:
	global_load_dword v6, v[8:9], off
	s_mov_b32 s5, 0
	s_mov_b32 s13, -1
	s_waitcnt vmcnt(0)
	v_lshlrev_b32_e32 v6, 16, v6
	v_cvt_f64_f32_e32 v[6:7], v6
	s_branch .LBB6_1324
.LBB6_1315:
	s_mov_b32 s13, 0
                                        ; implicit-def: $vgpr6_vgpr7
	s_cbranch_execnz .LBB6_1390
.LBB6_1316:
	s_andn2_b32 vcc_lo, exec_lo, s13
	s_cbranch_vccz .LBB6_1438
	s_branch .LBB6_2007
.LBB6_1317:
	s_mov_b32 s14, -1
	s_mov_b32 s13, 0
	s_mov_b32 s5, 0
                                        ; implicit-def: $vgpr6_vgpr7
	s_branch .LBB6_1355
.LBB6_1318:
	s_mov_b32 s14, -1
	s_mov_b32 s13, 0
	s_mov_b32 s5, 0
                                        ; implicit-def: $vgpr6_vgpr7
	s_branch .LBB6_1334
.LBB6_1319:
	s_mov_b32 s14, -1
	s_mov_b32 s13, 0
	s_mov_b32 s5, 0
                                        ; implicit-def: $vgpr6_vgpr7
	s_branch .LBB6_1329
.LBB6_1320:
	s_or_b32 s4, s4, exec_lo
	s_trap 2
	s_cbranch_execz .LBB6_1255
	s_branch .LBB6_1256
.LBB6_1321:
	s_mov_b32 s14, -1
	s_mov_b32 s13, 0
	s_mov_b32 s5, 0
	s_branch .LBB6_1323
.LBB6_1322:
	s_mov_b32 s5, -1
	s_mov_b32 s13, 0
.LBB6_1323:
                                        ; implicit-def: $vgpr6_vgpr7
.LBB6_1324:
	s_and_b32 vcc_lo, exec_lo, s14
	s_cbranch_vccz .LBB6_1328
; %bb.1325:
	s_cmp_eq_u32 s0, 44
	s_cbranch_scc0 .LBB6_1327
; %bb.1326:
	global_load_ubyte v12, v[8:9], off
	s_mov_b32 s5, 0
	s_mov_b32 s13, -1
	s_waitcnt vmcnt(0)
	v_lshlrev_b32_e32 v6, 23, v12
	v_cmp_ne_u32_e32 vcc_lo, 0xff, v12
	v_cvt_f64_f32_e32 v[6:7], v6
	v_cndmask_b32_e32 v6, 0x20000000, v6, vcc_lo
	v_cndmask_b32_e32 v7, 0x7ff80000, v7, vcc_lo
	v_cmp_ne_u32_e32 vcc_lo, 0, v12
	v_cndmask_b32_e32 v7, 0x38000000, v7, vcc_lo
	v_cndmask_b32_e32 v6, 0, v6, vcc_lo
	s_branch .LBB6_1328
.LBB6_1327:
	s_mov_b32 s5, -1
                                        ; implicit-def: $vgpr6_vgpr7
.LBB6_1328:
	s_mov_b32 s14, 0
.LBB6_1329:
	s_and_b32 vcc_lo, exec_lo, s14
	s_cbranch_vccz .LBB6_1333
; %bb.1330:
	s_cmp_eq_u32 s0, 29
	s_cbranch_scc0 .LBB6_1332
; %bb.1331:
	global_load_dwordx2 v[6:7], v[8:9], off
	s_mov_b32 s5, 0
	s_mov_b32 s13, -1
	s_mov_b32 s14, 0
	s_waitcnt vmcnt(0)
	v_cvt_f64_u32_e32 v[12:13], v7
	v_cvt_f64_u32_e32 v[6:7], v6
	v_ldexp_f64 v[12:13], v[12:13], 32
	v_add_f64 v[6:7], v[12:13], v[6:7]
	s_branch .LBB6_1334
.LBB6_1332:
	s_mov_b32 s5, -1
                                        ; implicit-def: $vgpr6_vgpr7
.LBB6_1333:
	s_mov_b32 s14, 0
.LBB6_1334:
	s_and_b32 vcc_lo, exec_lo, s14
	s_cbranch_vccz .LBB6_1354
; %bb.1335:
	s_cmp_lt_i32 s0, 27
	s_cbranch_scc1 .LBB6_1338
; %bb.1336:
	s_cmp_gt_i32 s0, 27
	s_cbranch_scc0 .LBB6_1339
; %bb.1337:
	global_load_dword v6, v[8:9], off
	s_mov_b32 s13, 0
	s_waitcnt vmcnt(0)
	v_cvt_f64_u32_e32 v[6:7], v6
	s_branch .LBB6_1340
.LBB6_1338:
	s_mov_b32 s13, -1
                                        ; implicit-def: $vgpr6_vgpr7
	s_branch .LBB6_1343
.LBB6_1339:
	s_mov_b32 s13, -1
                                        ; implicit-def: $vgpr6_vgpr7
.LBB6_1340:
	s_andn2_b32 vcc_lo, exec_lo, s13
	s_cbranch_vccnz .LBB6_1342
; %bb.1341:
	global_load_ushort v6, v[8:9], off
	s_waitcnt vmcnt(0)
	v_cvt_f64_u32_e32 v[6:7], v6
.LBB6_1342:
	s_mov_b32 s13, 0
.LBB6_1343:
	s_andn2_b32 vcc_lo, exec_lo, s13
	s_cbranch_vccnz .LBB6_1353
; %bb.1344:
	global_load_ubyte v12, v[8:9], off
	s_mov_b32 s13, 0
	s_mov_b32 s14, exec_lo
	s_waitcnt vmcnt(0)
	v_cmpx_lt_i16_e32 0x7f, v12
	s_xor_b32 s14, exec_lo, s14
	s_cbranch_execz .LBB6_1348
; %bb.1345:
	s_mov_b32 s13, -1
	s_mov_b32 s15, exec_lo
	v_cmpx_eq_u16_e32 0x80, v12
; %bb.1346:
	s_xor_b32 s13, exec_lo, -1
; %bb.1347:
	s_or_b32 exec_lo, exec_lo, s15
	s_and_b32 s13, s13, exec_lo
.LBB6_1348:
	s_or_saveexec_b32 s14, s14
	v_bfrev_b32_e32 v6, 4
	v_mov_b32_e32 v7, 0x7ff80000
	s_xor_b32 exec_lo, exec_lo, s14
; %bb.1349:
	v_cmp_ne_u16_e32 vcc_lo, 0, v12
	v_mov_b32_e32 v6, 0
	v_mov_b32_e32 v7, 0
	s_andn2_b32 s13, s13, exec_lo
	s_and_b32 s15, vcc_lo, exec_lo
	s_or_b32 s13, s13, s15
; %bb.1350:
	s_or_b32 exec_lo, exec_lo, s14
	s_and_saveexec_b32 s14, s13
	s_cbranch_execz .LBB6_1352
; %bb.1351:
	v_and_b32_e32 v6, 0xffff, v12
	v_lshlrev_b32_e32 v12, 24, v12
	v_and_b32_e32 v7, 7, v6
	v_bfe_u32 v20, v6, 3, 4
	v_ffbh_u32_e32 v13, v7
	v_cmp_eq_u32_e32 vcc_lo, 0, v20
	v_min_u32_e32 v13, 32, v13
	v_subrev_nc_u32_e32 v15, 28, v13
	v_sub_nc_u32_e32 v13, 29, v13
	v_lshlrev_b32_e32 v6, v15, v6
	v_cndmask_b32_e32 v13, v20, v13, vcc_lo
	v_and_b32_e32 v6, 7, v6
	v_cndmask_b32_e32 v6, v7, v6, vcc_lo
	v_and_b32_e32 v7, 0x80000000, v12
	v_lshl_add_u32 v12, v13, 23, 0x3b800000
	v_lshlrev_b32_e32 v6, 20, v6
	v_or3_b32 v6, v7, v12, v6
	v_cvt_f64_f32_e32 v[6:7], v6
.LBB6_1352:
	s_or_b32 exec_lo, exec_lo, s14
.LBB6_1353:
	s_mov_b32 s13, -1
.LBB6_1354:
	s_mov_b32 s14, 0
.LBB6_1355:
	s_and_b32 vcc_lo, exec_lo, s14
	s_cbranch_vccz .LBB6_1386
; %bb.1356:
	s_cmp_gt_i32 s0, 22
	s_cbranch_scc0 .LBB6_1368
; %bb.1357:
	s_cmp_lt_i32 s0, 24
	s_cbranch_scc1 .LBB6_1369
; %bb.1358:
	s_cmp_gt_i32 s0, 24
	s_cbranch_scc0 .LBB6_1370
; %bb.1359:
	global_load_ubyte v12, v[8:9], off
	s_mov_b32 s13, exec_lo
	s_waitcnt vmcnt(0)
	v_cmpx_lt_i16_e32 0x7f, v12
	s_xor_b32 s13, exec_lo, s13
	s_cbranch_execz .LBB6_1363
; %bb.1360:
	s_mov_b32 s12, -1
	s_mov_b32 s14, exec_lo
	v_cmpx_eq_u16_e32 0x80, v12
; %bb.1361:
	s_xor_b32 s12, exec_lo, -1
; %bb.1362:
	s_or_b32 exec_lo, exec_lo, s14
	s_and_b32 s12, s12, exec_lo
.LBB6_1363:
	s_or_saveexec_b32 s13, s13
	v_bfrev_b32_e32 v6, 4
	v_mov_b32_e32 v7, 0x7ff80000
	s_xor_b32 exec_lo, exec_lo, s13
; %bb.1364:
	v_cmp_ne_u16_e32 vcc_lo, 0, v12
	v_mov_b32_e32 v6, 0
	v_mov_b32_e32 v7, 0
	s_andn2_b32 s12, s12, exec_lo
	s_and_b32 s14, vcc_lo, exec_lo
	s_or_b32 s12, s12, s14
; %bb.1365:
	s_or_b32 exec_lo, exec_lo, s13
	s_and_saveexec_b32 s13, s12
	s_cbranch_execz .LBB6_1367
; %bb.1366:
	v_and_b32_e32 v6, 0xffff, v12
	v_lshlrev_b32_e32 v12, 24, v12
	v_and_b32_e32 v7, 3, v6
	v_bfe_u32 v20, v6, 2, 5
	v_ffbh_u32_e32 v13, v7
	v_cmp_eq_u32_e32 vcc_lo, 0, v20
	v_min_u32_e32 v13, 32, v13
	v_subrev_nc_u32_e32 v15, 29, v13
	v_sub_nc_u32_e32 v13, 30, v13
	v_lshlrev_b32_e32 v6, v15, v6
	v_cndmask_b32_e32 v13, v20, v13, vcc_lo
	v_and_b32_e32 v6, 3, v6
	v_cndmask_b32_e32 v6, v7, v6, vcc_lo
	v_and_b32_e32 v7, 0x80000000, v12
	v_lshl_add_u32 v12, v13, 23, 0x37800000
	v_lshlrev_b32_e32 v6, 21, v6
	v_or3_b32 v6, v7, v12, v6
	v_cvt_f64_f32_e32 v[6:7], v6
.LBB6_1367:
	s_or_b32 exec_lo, exec_lo, s13
	s_mov_b32 s12, 0
	s_branch .LBB6_1371
.LBB6_1368:
	s_mov_b32 s12, -1
                                        ; implicit-def: $vgpr6_vgpr7
	s_branch .LBB6_1377
.LBB6_1369:
	s_mov_b32 s12, -1
                                        ; implicit-def: $vgpr6_vgpr7
	s_branch .LBB6_1374
.LBB6_1370:
	s_mov_b32 s12, -1
                                        ; implicit-def: $vgpr6_vgpr7
.LBB6_1371:
	s_and_b32 vcc_lo, exec_lo, s12
	s_cbranch_vccz .LBB6_1373
; %bb.1372:
	global_load_ubyte v6, v[8:9], off
	s_waitcnt vmcnt(0)
	v_lshlrev_b32_e32 v6, 24, v6
	v_and_b32_e32 v7, 0x7f000000, v6
	v_ffbh_u32_e32 v12, v7
	v_add_nc_u32_e32 v15, 0x1000000, v7
	v_cmp_ne_u32_e32 vcc_lo, 0, v7
	v_min_u32_e32 v12, 32, v12
	v_sub_nc_u32_e64 v12, v12, 4 clamp
	v_lshlrev_b32_e32 v13, v12, v7
	v_lshlrev_b32_e32 v12, 23, v12
	v_lshrrev_b32_e32 v13, 4, v13
	v_sub_nc_u32_e32 v12, v13, v12
	v_ashrrev_i32_e32 v13, 8, v15
	v_add_nc_u32_e32 v12, 0x3c000000, v12
	v_and_or_b32 v12, 0x7f800000, v13, v12
	v_cndmask_b32_e32 v7, 0, v12, vcc_lo
	v_and_or_b32 v6, 0x80000000, v6, v7
	v_cvt_f64_f32_e32 v[6:7], v6
.LBB6_1373:
	s_mov_b32 s12, 0
.LBB6_1374:
	s_andn2_b32 vcc_lo, exec_lo, s12
	s_cbranch_vccnz .LBB6_1376
; %bb.1375:
	global_load_ubyte v6, v[8:9], off
	s_waitcnt vmcnt(0)
	v_lshlrev_b32_e32 v7, 25, v6
	v_lshlrev_b16 v6, 8, v6
	v_lshrrev_b32_e32 v12, 4, v7
	v_and_or_b32 v13, 0x7f00, v6, 0.5
	v_cmp_gt_u32_e32 vcc_lo, 0x8000000, v7
	v_bfe_i32 v6, v6, 0, 16
	v_or_b32_e32 v12, 0x70000000, v12
	v_add_f32_e32 v13, -0.5, v13
	v_mul_f32_e32 v12, 0x7800000, v12
	v_cndmask_b32_e32 v7, v12, v13, vcc_lo
	v_and_or_b32 v6, 0x80000000, v6, v7
	v_cvt_f64_f32_e32 v[6:7], v6
.LBB6_1376:
	s_mov_b32 s12, 0
	s_mov_b32 s13, -1
.LBB6_1377:
	s_andn2_b32 vcc_lo, exec_lo, s12
	s_mov_b32 s12, 0
	s_cbranch_vccnz .LBB6_1386
; %bb.1378:
	s_cmp_gt_i32 s0, 14
	s_cbranch_scc0 .LBB6_1381
; %bb.1379:
	s_cmp_eq_u32 s0, 15
	s_cbranch_scc0 .LBB6_1382
; %bb.1380:
	global_load_ushort v6, v[8:9], off
	s_mov_b32 s5, 0
	s_mov_b32 s13, -1
	s_waitcnt vmcnt(0)
	v_lshlrev_b32_e32 v6, 16, v6
	v_cvt_f64_f32_e32 v[6:7], v6
	s_branch .LBB6_1384
.LBB6_1381:
	s_mov_b32 s12, -1
	s_branch .LBB6_1383
.LBB6_1382:
	s_mov_b32 s5, -1
.LBB6_1383:
                                        ; implicit-def: $vgpr6_vgpr7
.LBB6_1384:
	s_and_b32 vcc_lo, exec_lo, s12
	s_mov_b32 s12, 0
	s_cbranch_vccz .LBB6_1386
; %bb.1385:
	s_cmp_lg_u32 s0, 11
	s_mov_b32 s12, -1
	s_cselect_b32 s5, -1, 0
.LBB6_1386:
	s_and_b32 vcc_lo, exec_lo, s5
	s_cbranch_vccnz .LBB6_1453
; %bb.1387:
	s_andn2_b32 vcc_lo, exec_lo, s12
	s_cbranch_vccnz .LBB6_1389
.LBB6_1388:
	global_load_ubyte v6, v[8:9], off
	s_mov_b32 s13, -1
	s_waitcnt vmcnt(0)
	v_cmp_ne_u16_e32 vcc_lo, 0, v6
	v_mov_b32_e32 v6, 0
	v_cndmask_b32_e64 v7, 0, 0x3ff00000, vcc_lo
.LBB6_1389:
	s_branch .LBB6_1316
.LBB6_1390:
	s_cmp_lt_i32 s0, 5
	s_cbranch_scc1 .LBB6_1395
; %bb.1391:
	s_cmp_lt_i32 s0, 8
	s_cbranch_scc1 .LBB6_1396
; %bb.1392:
	;; [unrolled: 3-line block ×3, first 2 shown]
	s_cmp_gt_i32 s0, 9
	s_cbranch_scc0 .LBB6_1398
; %bb.1394:
	global_load_dwordx2 v[6:7], v[8:9], off
	s_mov_b32 s5, 0
	s_branch .LBB6_1399
.LBB6_1395:
	s_mov_b32 s5, -1
                                        ; implicit-def: $vgpr6_vgpr7
	s_branch .LBB6_1417
.LBB6_1396:
	s_mov_b32 s5, -1
                                        ; implicit-def: $vgpr6_vgpr7
	s_branch .LBB6_1405
.LBB6_1397:
	s_mov_b32 s5, -1
                                        ; implicit-def: $vgpr6_vgpr7
	s_branch .LBB6_1402
.LBB6_1398:
	s_mov_b32 s5, -1
                                        ; implicit-def: $vgpr6_vgpr7
.LBB6_1399:
	s_andn2_b32 vcc_lo, exec_lo, s5
	s_cbranch_vccnz .LBB6_1401
; %bb.1400:
	global_load_dword v6, v[8:9], off
	s_waitcnt vmcnt(0)
	v_cvt_f64_f32_e32 v[6:7], v6
.LBB6_1401:
	s_mov_b32 s5, 0
.LBB6_1402:
	s_andn2_b32 vcc_lo, exec_lo, s5
	s_cbranch_vccnz .LBB6_1404
; %bb.1403:
	global_load_dword v6, v[8:9], off
	s_waitcnt vmcnt(0)
	v_cvt_f32_f16_e32 v6, v6
	v_cvt_f64_f32_e32 v[6:7], v6
.LBB6_1404:
	s_mov_b32 s5, 0
.LBB6_1405:
	s_andn2_b32 vcc_lo, exec_lo, s5
	s_cbranch_vccnz .LBB6_1416
; %bb.1406:
	s_cmp_lt_i32 s0, 6
	s_cbranch_scc1 .LBB6_1409
; %bb.1407:
	s_cmp_gt_i32 s0, 6
	s_cbranch_scc0 .LBB6_1410
; %bb.1408:
	global_load_dwordx2 v[6:7], v[8:9], off
	s_mov_b32 s5, 0
	s_branch .LBB6_1411
.LBB6_1409:
	s_mov_b32 s5, -1
                                        ; implicit-def: $vgpr6_vgpr7
	s_branch .LBB6_1414
.LBB6_1410:
	s_mov_b32 s5, -1
                                        ; implicit-def: $vgpr6_vgpr7
.LBB6_1411:
	s_andn2_b32 vcc_lo, exec_lo, s5
	s_cbranch_vccnz .LBB6_1413
; %bb.1412:
	global_load_dword v6, v[8:9], off
	s_waitcnt vmcnt(0)
	v_cvt_f64_f32_e32 v[6:7], v6
.LBB6_1413:
	s_mov_b32 s5, 0
.LBB6_1414:
	s_andn2_b32 vcc_lo, exec_lo, s5
	s_cbranch_vccnz .LBB6_1416
; %bb.1415:
	global_load_ushort v6, v[8:9], off
	s_waitcnt vmcnt(0)
	v_cvt_f32_f16_e32 v6, v6
	v_cvt_f64_f32_e32 v[6:7], v6
.LBB6_1416:
	s_mov_b32 s5, 0
.LBB6_1417:
	s_andn2_b32 vcc_lo, exec_lo, s5
	s_cbranch_vccnz .LBB6_1437
; %bb.1418:
	s_cmp_lt_i32 s0, 2
	s_cbranch_scc1 .LBB6_1422
; %bb.1419:
	s_cmp_lt_i32 s0, 3
	s_cbranch_scc1 .LBB6_1423
; %bb.1420:
	s_cmp_gt_i32 s0, 3
	s_cbranch_scc0 .LBB6_1424
; %bb.1421:
	global_load_dwordx2 v[6:7], v[8:9], off
	s_mov_b32 s5, 0
	s_waitcnt vmcnt(0)
	v_cvt_f64_i32_e32 v[12:13], v7
	v_cvt_f64_u32_e32 v[6:7], v6
	v_ldexp_f64 v[12:13], v[12:13], 32
	v_add_f64 v[6:7], v[12:13], v[6:7]
	s_branch .LBB6_1425
.LBB6_1422:
	s_mov_b32 s5, -1
                                        ; implicit-def: $vgpr6_vgpr7
	s_branch .LBB6_1431
.LBB6_1423:
	s_mov_b32 s5, -1
                                        ; implicit-def: $vgpr6_vgpr7
	s_branch .LBB6_1428
.LBB6_1424:
	s_mov_b32 s5, -1
                                        ; implicit-def: $vgpr6_vgpr7
.LBB6_1425:
	s_andn2_b32 vcc_lo, exec_lo, s5
	s_cbranch_vccnz .LBB6_1427
; %bb.1426:
	global_load_dword v6, v[8:9], off
	s_waitcnt vmcnt(0)
	v_cvt_f64_i32_e32 v[6:7], v6
.LBB6_1427:
	s_mov_b32 s5, 0
.LBB6_1428:
	s_andn2_b32 vcc_lo, exec_lo, s5
	s_cbranch_vccnz .LBB6_1430
; %bb.1429:
	global_load_sshort v6, v[8:9], off
	s_waitcnt vmcnt(0)
	v_cvt_f64_i32_e32 v[6:7], v6
.LBB6_1430:
	s_mov_b32 s5, 0
.LBB6_1431:
	s_andn2_b32 vcc_lo, exec_lo, s5
	s_cbranch_vccnz .LBB6_1437
; %bb.1432:
	s_cmp_gt_i32 s0, 0
	s_mov_b32 s5, 0
	s_cbranch_scc0 .LBB6_1434
; %bb.1433:
	global_load_sbyte v6, v[8:9], off
	s_waitcnt vmcnt(0)
	v_cvt_f64_i32_e32 v[6:7], v6
	s_branch .LBB6_1435
.LBB6_1434:
	s_mov_b32 s5, -1
                                        ; implicit-def: $vgpr6_vgpr7
.LBB6_1435:
	s_andn2_b32 vcc_lo, exec_lo, s5
	s_cbranch_vccnz .LBB6_1437
; %bb.1436:
	global_load_ubyte v6, v[8:9], off
	s_waitcnt vmcnt(0)
	v_cvt_f64_u32_e32 v[6:7], v6
.LBB6_1437:
.LBB6_1438:
	s_waitcnt vmcnt(0)
	v_cmp_ngt_f64_e64 s5, 0x41d00000, |v[6:7]|
                                        ; implicit-def: $vgpr27
                                        ; implicit-def: $vgpr12_vgpr13
                                        ; implicit-def: $vgpr20_vgpr21
	s_and_saveexec_b32 s12, s5
	s_xor_b32 s5, exec_lo, s12
	s_cbranch_execz .LBB6_1440
; %bb.1439:
	v_ldexp_f64 v[8:9], |v[6:7]|, 0xffffff80
	v_cmp_le_f64_e64 vcc_lo, 0x7b000000, |v[6:7]|
	v_trig_preop_f64 v[12:13], |v[6:7]|, 0
	v_and_b32_e32 v15, 0x7fffffff, v7
	v_trig_preop_f64 v[20:21], |v[6:7]|, 1
	v_trig_preop_f64 v[33:34], |v[6:7]|, 2
	v_mov_b32_e32 v41, 0
	s_mov_b32 s12, 0x54442d18
	s_mov_b32 s13, 0x3ff921fb
	;; [unrolled: 1-line block ×4, first 2 shown]
	v_cndmask_b32_e32 v9, v15, v9, vcc_lo
	v_cndmask_b32_e32 v8, v6, v8, vcc_lo
	v_mul_f64 v[22:23], v[12:13], v[8:9]
	v_mul_f64 v[27:28], v[20:21], v[8:9]
	;; [unrolled: 1-line block ×3, first 2 shown]
	v_fma_f64 v[12:13], v[12:13], v[8:9], -v[22:23]
	v_fma_f64 v[20:21], v[20:21], v[8:9], -v[27:28]
	;; [unrolled: 1-line block ×3, first 2 shown]
	v_add_f64 v[29:30], v[27:28], v[12:13]
	v_add_f64 v[31:32], v[29:30], -v[27:28]
	v_add_f64 v[37:38], v[22:23], v[29:30]
	v_add_f64 v[35:36], v[29:30], -v[31:32]
	v_add_f64 v[12:13], v[12:13], -v[31:32]
	v_ldexp_f64 v[31:32], v[37:38], -2
	v_add_f64 v[22:23], v[37:38], -v[22:23]
	v_add_f64 v[27:28], v[27:28], -v[35:36]
	v_add_f64 v[35:36], v[39:40], v[20:21]
	v_cmp_neq_f64_e64 vcc_lo, 0x7ff00000, |v[31:32]|
	v_add_f64 v[22:23], v[29:30], -v[22:23]
	v_add_f64 v[12:13], v[12:13], v[27:28]
	v_fract_f64_e32 v[27:28], v[31:32]
	v_add_f64 v[29:30], v[35:36], v[12:13]
	v_ldexp_f64 v[27:28], v[27:28], 2
	v_add_f64 v[31:32], v[22:23], v[29:30]
	v_cndmask_b32_e32 v28, 0, v28, vcc_lo
	v_cndmask_b32_e32 v27, 0, v27, vcc_lo
	v_add_f64 v[37:38], v[31:32], v[27:28]
	v_add_f64 v[22:23], v[31:32], -v[22:23]
	v_cmp_gt_f64_e32 vcc_lo, 0, v[37:38]
	v_add_f64 v[37:38], v[35:36], -v[39:40]
	v_add_f64 v[22:23], v[29:30], -v[22:23]
	v_cndmask_b32_e64 v42, 0, 0x40100000, vcc_lo
	v_add_f64 v[46:47], v[35:36], -v[37:38]
	v_add_f64 v[20:21], v[20:21], -v[37:38]
	v_add_f64 v[27:28], v[27:28], v[41:42]
	v_add_f64 v[42:43], v[29:30], -v[35:36]
	v_add_f64 v[37:38], v[39:40], -v[46:47]
	v_add_f64 v[44:45], v[31:32], v[27:28]
	;; [unrolled: 3-line block ×3, first 2 shown]
	v_cvt_i32_f64_e32 v15, v[44:45]
	v_add_f64 v[35:36], v[35:36], -v[48:49]
	v_cvt_f64_i32_e32 v[42:43], v15
	v_add_f64 v[12:13], v[12:13], v[35:36]
	v_add_f64 v[27:28], v[27:28], -v[42:43]
	v_add_f64 v[12:13], v[20:21], v[12:13]
	v_add_f64 v[20:21], v[31:32], v[27:28]
	;; [unrolled: 1-line block ×3, first 2 shown]
	v_add_f64 v[12:13], v[20:21], -v[27:28]
	v_cmp_le_f64_e32 vcc_lo, 0.5, v[20:21]
	v_add_f64 v[8:9], v[22:23], v[8:9]
	v_add_f64 v[12:13], v[31:32], -v[12:13]
	v_cndmask_b32_e64 v42, 0, 0x3ff00000, vcc_lo
	v_add_co_ci_u32_e64 v27, null, 0, v15, vcc_lo
	v_add_f64 v[8:9], v[8:9], v[12:13]
	v_add_f64 v[12:13], v[20:21], -v[41:42]
	v_add_f64 v[20:21], v[12:13], v[8:9]
	v_mul_f64 v[22:23], v[20:21], s[12:13]
	v_add_f64 v[12:13], v[20:21], -v[12:13]
	v_fma_f64 v[28:29], v[20:21], s[12:13], -v[22:23]
	v_add_f64 v[8:9], v[8:9], -v[12:13]
	v_fma_f64 v[12:13], v[20:21], s[14:15], v[28:29]
	v_fma_f64 v[8:9], v[8:9], s[12:13], v[12:13]
	v_add_f64 v[12:13], v[22:23], v[8:9]
	v_add_f64 v[20:21], v[12:13], -v[22:23]
	v_add_f64 v[20:21], v[8:9], -v[20:21]
.LBB6_1440:
	s_andn2_saveexec_b32 s5, s5
	s_cbranch_execz .LBB6_1442
; %bb.1441:
	s_mov_b32 s12, 0x6dc9c883
	s_mov_b32 s13, 0x3fe45f30
	;; [unrolled: 1-line block ×3, first 2 shown]
	v_mul_f64 v[8:9], |v[6:7]|, s[12:13]
	s_mov_b32 s12, 0x54442d18
	s_mov_b32 s13, 0xbff921fb
	;; [unrolled: 1-line block ×3, first 2 shown]
	v_rndne_f64_e32 v[8:9], v[8:9]
	v_fma_f64 v[12:13], v[8:9], s[12:13], |v[6:7]|
	v_mul_f64 v[20:21], v[8:9], s[14:15]
	s_mov_b32 s12, 0x252049c0
	s_mov_b32 s13, 0xb97b839a
	v_fma_f64 v[27:28], v[8:9], s[14:15], v[12:13]
	v_add_f64 v[22:23], v[12:13], v[20:21]
	s_mov_b32 s15, 0x3c91a626
	v_add_f64 v[12:13], v[12:13], -v[22:23]
	v_add_f64 v[22:23], v[22:23], -v[27:28]
	v_add_f64 v[12:13], v[12:13], v[20:21]
	v_fma_f64 v[20:21], v[8:9], s[14:15], v[20:21]
	v_add_f64 v[12:13], v[22:23], v[12:13]
	v_add_f64 v[12:13], v[12:13], -v[20:21]
	v_fma_f64 v[20:21], v[8:9], s[12:13], v[12:13]
	v_add_f64 v[12:13], v[27:28], v[20:21]
	v_add_f64 v[22:23], v[12:13], -v[27:28]
	v_cvt_i32_f64_e32 v27, v[8:9]
	v_add_f64 v[20:21], v[20:21], -v[22:23]
.LBB6_1442:
	s_or_b32 exec_lo, exec_lo, s5
	v_add_nc_u32_e32 v8, s3, v14
	s_cmp_lt_i32 s0, 11
	v_ashrrev_i32_e32 v9, 31, v8
	v_add_co_u32 v14, vcc_lo, s10, v8
	v_add_co_ci_u32_e64 v15, null, s11, v9, vcc_lo
	s_cbranch_scc1 .LBB6_1449
; %bb.1443:
	s_cmp_gt_i32 s0, 25
	s_mov_b32 s5, 0
	s_cbranch_scc0 .LBB6_1450
; %bb.1444:
	s_cmp_gt_i32 s0, 28
	s_cbranch_scc0 .LBB6_1451
; %bb.1445:
	s_cmp_gt_i32 s0, 43
	s_cbranch_scc0 .LBB6_1452
; %bb.1446:
	s_cmp_gt_i32 s0, 45
	s_cbranch_scc0 .LBB6_1454
; %bb.1447:
	s_cmp_eq_u32 s0, 46
	s_mov_b32 s11, 0
	s_cbranch_scc0 .LBB6_1455
; %bb.1448:
	global_load_dword v8, v[14:15], off
	s_mov_b32 s3, 0
	s_mov_b32 s10, -1
	s_waitcnt vmcnt(0)
	v_lshlrev_b32_e32 v8, 16, v8
	v_cvt_f64_f32_e32 v[8:9], v8
	s_branch .LBB6_1457
.LBB6_1449:
	s_mov_b32 s3, -1
	s_mov_b32 s10, 0
                                        ; implicit-def: $vgpr8_vgpr9
	s_branch .LBB6_1523
.LBB6_1450:
	s_mov_b32 s11, -1
	s_mov_b32 s10, 0
	s_mov_b32 s3, 0
                                        ; implicit-def: $vgpr8_vgpr9
	s_branch .LBB6_1488
.LBB6_1451:
	s_mov_b32 s11, -1
	s_mov_b32 s10, 0
	s_mov_b32 s3, 0
                                        ; implicit-def: $vgpr8_vgpr9
	s_branch .LBB6_1467
.LBB6_1452:
	s_mov_b32 s11, -1
	s_mov_b32 s10, 0
	s_mov_b32 s3, 0
                                        ; implicit-def: $vgpr8_vgpr9
	s_branch .LBB6_1462
.LBB6_1453:
	s_or_b32 s4, s4, exec_lo
	s_trap 2
	s_cbranch_execz .LBB6_1388
	s_branch .LBB6_1389
.LBB6_1454:
	s_mov_b32 s11, -1
	s_mov_b32 s10, 0
	s_mov_b32 s3, 0
	s_branch .LBB6_1456
.LBB6_1455:
	s_mov_b32 s3, -1
	s_mov_b32 s10, 0
.LBB6_1456:
                                        ; implicit-def: $vgpr8_vgpr9
.LBB6_1457:
	s_and_b32 vcc_lo, exec_lo, s11
	s_cbranch_vccz .LBB6_1461
; %bb.1458:
	s_cmp_eq_u32 s0, 44
	s_cbranch_scc0 .LBB6_1460
; %bb.1459:
	global_load_ubyte v22, v[14:15], off
	s_mov_b32 s3, 0
	s_mov_b32 s10, -1
	s_waitcnt vmcnt(0)
	v_lshlrev_b32_e32 v8, 23, v22
	v_cmp_ne_u32_e32 vcc_lo, 0xff, v22
	v_cvt_f64_f32_e32 v[8:9], v8
	v_cndmask_b32_e32 v8, 0x20000000, v8, vcc_lo
	v_cndmask_b32_e32 v9, 0x7ff80000, v9, vcc_lo
	v_cmp_ne_u32_e32 vcc_lo, 0, v22
	v_cndmask_b32_e32 v9, 0x38000000, v9, vcc_lo
	v_cndmask_b32_e32 v8, 0, v8, vcc_lo
	s_branch .LBB6_1461
.LBB6_1460:
	s_mov_b32 s3, -1
                                        ; implicit-def: $vgpr8_vgpr9
.LBB6_1461:
	s_mov_b32 s11, 0
.LBB6_1462:
	s_and_b32 vcc_lo, exec_lo, s11
	s_cbranch_vccz .LBB6_1466
; %bb.1463:
	s_cmp_eq_u32 s0, 29
	s_cbranch_scc0 .LBB6_1465
; %bb.1464:
	global_load_dwordx2 v[8:9], v[14:15], off
	s_mov_b32 s3, 0
	s_mov_b32 s10, -1
	s_mov_b32 s11, 0
	s_waitcnt vmcnt(0)
	v_cvt_f64_u32_e32 v[22:23], v9
	v_cvt_f64_u32_e32 v[8:9], v8
	v_ldexp_f64 v[22:23], v[22:23], 32
	v_add_f64 v[8:9], v[22:23], v[8:9]
	s_branch .LBB6_1467
.LBB6_1465:
	s_mov_b32 s3, -1
                                        ; implicit-def: $vgpr8_vgpr9
.LBB6_1466:
	s_mov_b32 s11, 0
.LBB6_1467:
	s_and_b32 vcc_lo, exec_lo, s11
	s_cbranch_vccz .LBB6_1487
; %bb.1468:
	s_cmp_lt_i32 s0, 27
	s_cbranch_scc1 .LBB6_1471
; %bb.1469:
	s_cmp_gt_i32 s0, 27
	s_cbranch_scc0 .LBB6_1472
; %bb.1470:
	global_load_dword v8, v[14:15], off
	s_mov_b32 s10, 0
	s_waitcnt vmcnt(0)
	v_cvt_f64_u32_e32 v[8:9], v8
	s_branch .LBB6_1473
.LBB6_1471:
	s_mov_b32 s10, -1
                                        ; implicit-def: $vgpr8_vgpr9
	s_branch .LBB6_1476
.LBB6_1472:
	s_mov_b32 s10, -1
                                        ; implicit-def: $vgpr8_vgpr9
.LBB6_1473:
	s_andn2_b32 vcc_lo, exec_lo, s10
	s_cbranch_vccnz .LBB6_1475
; %bb.1474:
	global_load_ushort v8, v[14:15], off
	s_waitcnt vmcnt(0)
	v_cvt_f64_u32_e32 v[8:9], v8
.LBB6_1475:
	s_mov_b32 s10, 0
.LBB6_1476:
	s_andn2_b32 vcc_lo, exec_lo, s10
	s_cbranch_vccnz .LBB6_1486
; %bb.1477:
	global_load_ubyte v22, v[14:15], off
	s_mov_b32 s10, 0
	s_mov_b32 s11, exec_lo
	s_waitcnt vmcnt(0)
	v_cmpx_lt_i16_e32 0x7f, v22
	s_xor_b32 s11, exec_lo, s11
	s_cbranch_execz .LBB6_1481
; %bb.1478:
	s_mov_b32 s10, -1
	s_mov_b32 s12, exec_lo
	v_cmpx_eq_u16_e32 0x80, v22
; %bb.1479:
	s_xor_b32 s10, exec_lo, -1
; %bb.1480:
	s_or_b32 exec_lo, exec_lo, s12
	s_and_b32 s10, s10, exec_lo
.LBB6_1481:
	s_or_saveexec_b32 s11, s11
	v_bfrev_b32_e32 v8, 4
	v_mov_b32_e32 v9, 0x7ff80000
	s_xor_b32 exec_lo, exec_lo, s11
; %bb.1482:
	v_cmp_ne_u16_e32 vcc_lo, 0, v22
	v_mov_b32_e32 v8, 0
	v_mov_b32_e32 v9, 0
	s_andn2_b32 s10, s10, exec_lo
	s_and_b32 s12, vcc_lo, exec_lo
	s_or_b32 s10, s10, s12
; %bb.1483:
	s_or_b32 exec_lo, exec_lo, s11
	s_and_saveexec_b32 s11, s10
	s_cbranch_execz .LBB6_1485
; %bb.1484:
	v_and_b32_e32 v8, 0xffff, v22
	v_lshlrev_b32_e32 v22, 24, v22
	v_and_b32_e32 v9, 7, v8
	v_bfe_u32 v29, v8, 3, 4
	v_ffbh_u32_e32 v23, v9
	v_cmp_eq_u32_e32 vcc_lo, 0, v29
	v_min_u32_e32 v23, 32, v23
	v_subrev_nc_u32_e32 v28, 28, v23
	v_sub_nc_u32_e32 v23, 29, v23
	v_lshlrev_b32_e32 v8, v28, v8
	v_cndmask_b32_e32 v23, v29, v23, vcc_lo
	v_and_b32_e32 v8, 7, v8
	v_cndmask_b32_e32 v8, v9, v8, vcc_lo
	v_and_b32_e32 v9, 0x80000000, v22
	v_lshl_add_u32 v22, v23, 23, 0x3b800000
	v_lshlrev_b32_e32 v8, 20, v8
	v_or3_b32 v8, v9, v22, v8
	v_cvt_f64_f32_e32 v[8:9], v8
.LBB6_1485:
	s_or_b32 exec_lo, exec_lo, s11
.LBB6_1486:
	s_mov_b32 s10, -1
.LBB6_1487:
	s_mov_b32 s11, 0
.LBB6_1488:
	s_and_b32 vcc_lo, exec_lo, s11
	s_cbranch_vccz .LBB6_1519
; %bb.1489:
	s_cmp_gt_i32 s0, 22
	s_cbranch_scc0 .LBB6_1501
; %bb.1490:
	s_cmp_lt_i32 s0, 24
	s_cbranch_scc1 .LBB6_1502
; %bb.1491:
	s_cmp_gt_i32 s0, 24
	s_cbranch_scc0 .LBB6_1503
; %bb.1492:
	global_load_ubyte v22, v[14:15], off
	s_mov_b32 s10, exec_lo
	s_waitcnt vmcnt(0)
	v_cmpx_lt_i16_e32 0x7f, v22
	s_xor_b32 s10, exec_lo, s10
	s_cbranch_execz .LBB6_1496
; %bb.1493:
	s_mov_b32 s5, -1
	s_mov_b32 s11, exec_lo
	v_cmpx_eq_u16_e32 0x80, v22
; %bb.1494:
	s_xor_b32 s5, exec_lo, -1
; %bb.1495:
	s_or_b32 exec_lo, exec_lo, s11
	s_and_b32 s5, s5, exec_lo
.LBB6_1496:
	s_or_saveexec_b32 s10, s10
	v_bfrev_b32_e32 v8, 4
	v_mov_b32_e32 v9, 0x7ff80000
	s_xor_b32 exec_lo, exec_lo, s10
; %bb.1497:
	v_cmp_ne_u16_e32 vcc_lo, 0, v22
	v_mov_b32_e32 v8, 0
	v_mov_b32_e32 v9, 0
	s_andn2_b32 s5, s5, exec_lo
	s_and_b32 s11, vcc_lo, exec_lo
	s_or_b32 s5, s5, s11
; %bb.1498:
	s_or_b32 exec_lo, exec_lo, s10
	s_and_saveexec_b32 s10, s5
	s_cbranch_execz .LBB6_1500
; %bb.1499:
	v_and_b32_e32 v8, 0xffff, v22
	v_lshlrev_b32_e32 v22, 24, v22
	v_and_b32_e32 v9, 3, v8
	v_bfe_u32 v29, v8, 2, 5
	v_ffbh_u32_e32 v23, v9
	v_cmp_eq_u32_e32 vcc_lo, 0, v29
	v_min_u32_e32 v23, 32, v23
	v_subrev_nc_u32_e32 v28, 29, v23
	v_sub_nc_u32_e32 v23, 30, v23
	v_lshlrev_b32_e32 v8, v28, v8
	v_cndmask_b32_e32 v23, v29, v23, vcc_lo
	v_and_b32_e32 v8, 3, v8
	v_cndmask_b32_e32 v8, v9, v8, vcc_lo
	v_and_b32_e32 v9, 0x80000000, v22
	v_lshl_add_u32 v22, v23, 23, 0x37800000
	v_lshlrev_b32_e32 v8, 21, v8
	v_or3_b32 v8, v9, v22, v8
	v_cvt_f64_f32_e32 v[8:9], v8
.LBB6_1500:
	s_or_b32 exec_lo, exec_lo, s10
	s_mov_b32 s5, 0
	s_branch .LBB6_1504
.LBB6_1501:
	s_mov_b32 s5, -1
                                        ; implicit-def: $vgpr8_vgpr9
	s_branch .LBB6_1510
.LBB6_1502:
	s_mov_b32 s5, -1
                                        ; implicit-def: $vgpr8_vgpr9
	s_branch .LBB6_1507
.LBB6_1503:
	s_mov_b32 s5, -1
                                        ; implicit-def: $vgpr8_vgpr9
.LBB6_1504:
	s_and_b32 vcc_lo, exec_lo, s5
	s_cbranch_vccz .LBB6_1506
; %bb.1505:
	global_load_ubyte v8, v[14:15], off
	s_waitcnt vmcnt(0)
	v_lshlrev_b32_e32 v8, 24, v8
	v_and_b32_e32 v9, 0x7f000000, v8
	v_ffbh_u32_e32 v22, v9
	v_add_nc_u32_e32 v28, 0x1000000, v9
	v_cmp_ne_u32_e32 vcc_lo, 0, v9
	v_min_u32_e32 v22, 32, v22
	v_sub_nc_u32_e64 v22, v22, 4 clamp
	v_lshlrev_b32_e32 v23, v22, v9
	v_lshlrev_b32_e32 v22, 23, v22
	v_lshrrev_b32_e32 v23, 4, v23
	v_sub_nc_u32_e32 v22, v23, v22
	v_ashrrev_i32_e32 v23, 8, v28
	v_add_nc_u32_e32 v22, 0x3c000000, v22
	v_and_or_b32 v22, 0x7f800000, v23, v22
	v_cndmask_b32_e32 v9, 0, v22, vcc_lo
	v_and_or_b32 v8, 0x80000000, v8, v9
	v_cvt_f64_f32_e32 v[8:9], v8
.LBB6_1506:
	s_mov_b32 s5, 0
.LBB6_1507:
	s_andn2_b32 vcc_lo, exec_lo, s5
	s_cbranch_vccnz .LBB6_1509
; %bb.1508:
	global_load_ubyte v8, v[14:15], off
	s_waitcnt vmcnt(0)
	v_lshlrev_b32_e32 v9, 25, v8
	v_lshlrev_b16 v8, 8, v8
	v_lshrrev_b32_e32 v22, 4, v9
	v_and_or_b32 v23, 0x7f00, v8, 0.5
	v_cmp_gt_u32_e32 vcc_lo, 0x8000000, v9
	v_bfe_i32 v8, v8, 0, 16
	v_or_b32_e32 v22, 0x70000000, v22
	v_add_f32_e32 v23, -0.5, v23
	v_mul_f32_e32 v22, 0x7800000, v22
	v_cndmask_b32_e32 v9, v22, v23, vcc_lo
	v_and_or_b32 v8, 0x80000000, v8, v9
	v_cvt_f64_f32_e32 v[8:9], v8
.LBB6_1509:
	s_mov_b32 s5, 0
	s_mov_b32 s10, -1
.LBB6_1510:
	s_andn2_b32 vcc_lo, exec_lo, s5
	s_mov_b32 s5, 0
	s_cbranch_vccnz .LBB6_1519
; %bb.1511:
	s_cmp_gt_i32 s0, 14
	s_cbranch_scc0 .LBB6_1514
; %bb.1512:
	s_cmp_eq_u32 s0, 15
	s_cbranch_scc0 .LBB6_1515
; %bb.1513:
	global_load_ushort v8, v[14:15], off
	s_mov_b32 s3, 0
	s_mov_b32 s10, -1
	s_waitcnt vmcnt(0)
	v_lshlrev_b32_e32 v8, 16, v8
	v_cvt_f64_f32_e32 v[8:9], v8
	s_branch .LBB6_1517
.LBB6_1514:
	s_mov_b32 s5, -1
	s_branch .LBB6_1516
.LBB6_1515:
	s_mov_b32 s3, -1
.LBB6_1516:
                                        ; implicit-def: $vgpr8_vgpr9
.LBB6_1517:
	s_and_b32 vcc_lo, exec_lo, s5
	s_mov_b32 s5, 0
	s_cbranch_vccz .LBB6_1519
; %bb.1518:
	s_cmp_lg_u32 s0, 11
	s_mov_b32 s5, -1
	s_cselect_b32 s3, -1, 0
.LBB6_1519:
	s_and_b32 vcc_lo, exec_lo, s3
	s_cbranch_vccnz .LBB6_2052
; %bb.1520:
	s_andn2_b32 vcc_lo, exec_lo, s5
	s_cbranch_vccnz .LBB6_1522
.LBB6_1521:
	global_load_ubyte v8, v[14:15], off
	s_mov_b32 s10, -1
	s_waitcnt vmcnt(0)
	v_cmp_ne_u16_e32 vcc_lo, 0, v8
	v_mov_b32_e32 v8, 0
	v_cndmask_b32_e64 v9, 0, 0x3ff00000, vcc_lo
.LBB6_1522:
	s_mov_b32 s3, 0
.LBB6_1523:
	s_and_b32 vcc_lo, exec_lo, s3
	s_cbranch_vccz .LBB6_1572
; %bb.1524:
	s_cmp_lt_i32 s0, 5
	s_cbranch_scc1 .LBB6_1529
; %bb.1525:
	s_cmp_lt_i32 s0, 8
	s_cbranch_scc1 .LBB6_1530
	;; [unrolled: 3-line block ×3, first 2 shown]
; %bb.1527:
	s_cmp_gt_i32 s0, 9
	s_cbranch_scc0 .LBB6_1532
; %bb.1528:
	global_load_dwordx2 v[8:9], v[14:15], off
	s_mov_b32 s3, 0
	s_branch .LBB6_1533
.LBB6_1529:
	s_mov_b32 s3, -1
                                        ; implicit-def: $vgpr8_vgpr9
	s_branch .LBB6_1551
.LBB6_1530:
	s_mov_b32 s3, -1
                                        ; implicit-def: $vgpr8_vgpr9
	s_branch .LBB6_1539
.LBB6_1531:
	s_mov_b32 s3, -1
                                        ; implicit-def: $vgpr8_vgpr9
	s_branch .LBB6_1536
.LBB6_1532:
	s_mov_b32 s3, -1
                                        ; implicit-def: $vgpr8_vgpr9
.LBB6_1533:
	s_andn2_b32 vcc_lo, exec_lo, s3
	s_cbranch_vccnz .LBB6_1535
; %bb.1534:
	global_load_dword v8, v[14:15], off
	s_waitcnt vmcnt(0)
	v_cvt_f64_f32_e32 v[8:9], v8
.LBB6_1535:
	s_mov_b32 s3, 0
.LBB6_1536:
	s_andn2_b32 vcc_lo, exec_lo, s3
	s_cbranch_vccnz .LBB6_1538
; %bb.1537:
	global_load_dword v8, v[14:15], off
	s_waitcnt vmcnt(0)
	v_cvt_f32_f16_e32 v8, v8
	v_cvt_f64_f32_e32 v[8:9], v8
.LBB6_1538:
	s_mov_b32 s3, 0
.LBB6_1539:
	s_andn2_b32 vcc_lo, exec_lo, s3
	s_cbranch_vccnz .LBB6_1550
; %bb.1540:
	s_cmp_lt_i32 s0, 6
	s_cbranch_scc1 .LBB6_1543
; %bb.1541:
	s_cmp_gt_i32 s0, 6
	s_cbranch_scc0 .LBB6_1544
; %bb.1542:
	global_load_dwordx2 v[8:9], v[14:15], off
	s_mov_b32 s3, 0
	s_branch .LBB6_1545
.LBB6_1543:
	s_mov_b32 s3, -1
                                        ; implicit-def: $vgpr8_vgpr9
	s_branch .LBB6_1548
.LBB6_1544:
	s_mov_b32 s3, -1
                                        ; implicit-def: $vgpr8_vgpr9
.LBB6_1545:
	s_andn2_b32 vcc_lo, exec_lo, s3
	s_cbranch_vccnz .LBB6_1547
; %bb.1546:
	global_load_dword v8, v[14:15], off
	s_waitcnt vmcnt(0)
	v_cvt_f64_f32_e32 v[8:9], v8
.LBB6_1547:
	s_mov_b32 s3, 0
.LBB6_1548:
	s_andn2_b32 vcc_lo, exec_lo, s3
	s_cbranch_vccnz .LBB6_1550
; %bb.1549:
	global_load_ushort v8, v[14:15], off
	s_waitcnt vmcnt(0)
	v_cvt_f32_f16_e32 v8, v8
	v_cvt_f64_f32_e32 v[8:9], v8
.LBB6_1550:
	s_mov_b32 s3, 0
.LBB6_1551:
	s_andn2_b32 vcc_lo, exec_lo, s3
	s_cbranch_vccnz .LBB6_1571
; %bb.1552:
	s_cmp_lt_i32 s0, 2
	s_cbranch_scc1 .LBB6_1556
; %bb.1553:
	s_cmp_lt_i32 s0, 3
	s_cbranch_scc1 .LBB6_1557
; %bb.1554:
	s_cmp_gt_i32 s0, 3
	s_cbranch_scc0 .LBB6_1558
; %bb.1555:
	global_load_dwordx2 v[8:9], v[14:15], off
	s_mov_b32 s3, 0
	s_waitcnt vmcnt(0)
	v_cvt_f64_i32_e32 v[22:23], v9
	v_cvt_f64_u32_e32 v[8:9], v8
	v_ldexp_f64 v[22:23], v[22:23], 32
	v_add_f64 v[8:9], v[22:23], v[8:9]
	s_branch .LBB6_1559
.LBB6_1556:
	s_mov_b32 s3, -1
                                        ; implicit-def: $vgpr8_vgpr9
	s_branch .LBB6_1565
.LBB6_1557:
	s_mov_b32 s3, -1
                                        ; implicit-def: $vgpr8_vgpr9
	s_branch .LBB6_1562
.LBB6_1558:
	s_mov_b32 s3, -1
                                        ; implicit-def: $vgpr8_vgpr9
.LBB6_1559:
	s_andn2_b32 vcc_lo, exec_lo, s3
	s_cbranch_vccnz .LBB6_1561
; %bb.1560:
	global_load_dword v8, v[14:15], off
	s_waitcnt vmcnt(0)
	v_cvt_f64_i32_e32 v[8:9], v8
.LBB6_1561:
	s_mov_b32 s3, 0
.LBB6_1562:
	s_andn2_b32 vcc_lo, exec_lo, s3
	s_cbranch_vccnz .LBB6_1564
; %bb.1563:
	global_load_sshort v8, v[14:15], off
	s_waitcnt vmcnt(0)
	v_cvt_f64_i32_e32 v[8:9], v8
.LBB6_1564:
	s_mov_b32 s3, 0
.LBB6_1565:
	s_andn2_b32 vcc_lo, exec_lo, s3
	s_cbranch_vccnz .LBB6_1571
; %bb.1566:
	s_cmp_gt_i32 s0, 0
	s_mov_b32 s0, 0
	s_cbranch_scc0 .LBB6_1568
; %bb.1567:
	global_load_sbyte v8, v[14:15], off
	s_waitcnt vmcnt(0)
	v_cvt_f64_i32_e32 v[8:9], v8
	s_branch .LBB6_1569
.LBB6_1568:
	s_mov_b32 s0, -1
                                        ; implicit-def: $vgpr8_vgpr9
.LBB6_1569:
	s_andn2_b32 vcc_lo, exec_lo, s0
	s_cbranch_vccnz .LBB6_1571
; %bb.1570:
	global_load_ubyte v8, v[14:15], off
	s_waitcnt vmcnt(0)
	v_cvt_f64_u32_e32 v[8:9], v8
.LBB6_1571:
	s_mov_b32 s10, -1
.LBB6_1572:
	s_andn2_b32 vcc_lo, exec_lo, s10
	s_cbranch_vccnz .LBB6_2007
; %bb.1573:
	s_waitcnt vmcnt(0)
	v_cmp_ngt_f64_e64 s0, 0x41d00000, |v[8:9]|
                                        ; implicit-def: $vgpr28
                                        ; implicit-def: $vgpr14_vgpr15
                                        ; implicit-def: $vgpr22_vgpr23
	s_and_saveexec_b32 s3, s0
	s_xor_b32 s0, exec_lo, s3
	s_cbranch_execz .LBB6_1575
; %bb.1574:
	v_ldexp_f64 v[14:15], |v[8:9]|, 0xffffff80
	v_cmp_le_f64_e64 vcc_lo, 0x7b000000, |v[8:9]|
	v_trig_preop_f64 v[22:23], |v[8:9]|, 0
	v_and_b32_e32 v28, 0x7fffffff, v9
	v_trig_preop_f64 v[38:39], |v[8:9]|, 2
	v_mov_b32_e32 v46, 0
	s_mov_b32 s10, 0x54442d18
	s_mov_b32 s11, 0x3ff921fb
	;; [unrolled: 1-line block ×4, first 2 shown]
	v_cndmask_b32_e32 v15, v28, v15, vcc_lo
	v_cndmask_b32_e32 v14, v8, v14, vcc_lo
	v_trig_preop_f64 v[28:29], |v[8:9]|, 1
	v_mul_f64 v[30:31], v[22:23], v[14:15]
	v_mul_f64 v[44:45], v[38:39], v[14:15]
	;; [unrolled: 1-line block ×3, first 2 shown]
	v_fma_f64 v[22:23], v[22:23], v[14:15], -v[30:31]
	v_fma_f64 v[28:29], v[28:29], v[14:15], -v[32:33]
	;; [unrolled: 1-line block ×3, first 2 shown]
	v_add_f64 v[34:35], v[32:33], v[22:23]
	v_add_f64 v[36:37], v[34:35], -v[32:33]
	v_add_f64 v[42:43], v[30:31], v[34:35]
	v_add_f64 v[40:41], v[34:35], -v[36:37]
	v_add_f64 v[22:23], v[22:23], -v[36:37]
	v_ldexp_f64 v[36:37], v[42:43], -2
	v_add_f64 v[30:31], v[42:43], -v[30:31]
	v_add_f64 v[32:33], v[32:33], -v[40:41]
	v_add_f64 v[40:41], v[44:45], v[28:29]
	v_cmp_neq_f64_e64 vcc_lo, 0x7ff00000, |v[36:37]|
	v_add_f64 v[30:31], v[34:35], -v[30:31]
	v_add_f64 v[22:23], v[22:23], v[32:33]
	v_fract_f64_e32 v[32:33], v[36:37]
	v_add_f64 v[34:35], v[40:41], v[22:23]
	v_ldexp_f64 v[32:33], v[32:33], 2
	v_add_f64 v[36:37], v[30:31], v[34:35]
	v_cndmask_b32_e32 v33, 0, v33, vcc_lo
	v_cndmask_b32_e32 v32, 0, v32, vcc_lo
	v_add_f64 v[42:43], v[36:37], v[32:33]
	v_add_f64 v[30:31], v[36:37], -v[30:31]
	v_cmp_gt_f64_e32 vcc_lo, 0, v[42:43]
	v_add_f64 v[42:43], v[40:41], -v[44:45]
	v_cndmask_b32_e64 v47, 0, 0x40100000, vcc_lo
	v_add_f64 v[51:52], v[40:41], -v[42:43]
	v_add_f64 v[28:29], v[28:29], -v[42:43]
	v_add_f64 v[32:33], v[32:33], v[46:47]
	v_add_f64 v[47:48], v[34:35], -v[40:41]
	v_add_f64 v[42:43], v[44:45], -v[51:52]
	v_add_f64 v[49:50], v[36:37], v[32:33]
	;; [unrolled: 3-line block ×3, first 2 shown]
	v_cvt_i32_f64_e32 v49, v[49:50]
	v_add_f64 v[40:41], v[40:41], -v[53:54]
	v_cvt_f64_i32_e32 v[47:48], v49
	v_add_f64 v[22:23], v[22:23], v[40:41]
	v_add_f64 v[32:33], v[32:33], -v[47:48]
	v_add_f64 v[22:23], v[28:29], v[22:23]
	v_add_f64 v[28:29], v[34:35], -v[30:31]
	v_add_f64 v[38:39], v[36:37], v[32:33]
	v_add_f64 v[14:15], v[14:15], v[22:23]
	v_add_f64 v[22:23], v[38:39], -v[32:33]
	v_cmp_le_f64_e32 vcc_lo, 0.5, v[38:39]
	v_add_f64 v[14:15], v[28:29], v[14:15]
	v_add_f64 v[22:23], v[36:37], -v[22:23]
	v_cndmask_b32_e64 v47, 0, 0x3ff00000, vcc_lo
	v_add_co_ci_u32_e64 v28, null, 0, v49, vcc_lo
	v_add_f64 v[14:15], v[14:15], v[22:23]
	v_add_f64 v[22:23], v[38:39], -v[46:47]
	v_add_f64 v[29:30], v[22:23], v[14:15]
	v_mul_f64 v[31:32], v[29:30], s[10:11]
	v_add_f64 v[22:23], v[29:30], -v[22:23]
	v_fma_f64 v[33:34], v[29:30], s[10:11], -v[31:32]
	v_add_f64 v[14:15], v[14:15], -v[22:23]
	v_fma_f64 v[22:23], v[29:30], s[12:13], v[33:34]
	v_fma_f64 v[22:23], v[14:15], s[10:11], v[22:23]
	v_add_f64 v[14:15], v[31:32], v[22:23]
	v_add_f64 v[29:30], v[14:15], -v[31:32]
	v_add_f64 v[22:23], v[22:23], -v[29:30]
.LBB6_1575:
	s_andn2_saveexec_b32 s0, s0
	s_cbranch_execz .LBB6_1577
; %bb.1576:
	s_mov_b32 s10, 0x6dc9c883
	s_mov_b32 s11, 0x3fe45f30
	;; [unrolled: 1-line block ×3, first 2 shown]
	v_mul_f64 v[14:15], |v[8:9]|, s[10:11]
	s_mov_b32 s10, 0x54442d18
	s_mov_b32 s11, 0xbff921fb
	s_mov_b32 s12, 0x33145c00
	v_rndne_f64_e32 v[28:29], v[14:15]
	v_fma_f64 v[14:15], v[28:29], s[10:11], |v[8:9]|
	v_mul_f64 v[22:23], v[28:29], s[12:13]
	s_mov_b32 s10, 0x252049c0
	s_mov_b32 s11, 0xb97b839a
	v_fma_f64 v[32:33], v[28:29], s[12:13], v[14:15]
	v_add_f64 v[30:31], v[14:15], v[22:23]
	s_mov_b32 s13, 0x3c91a626
	v_add_f64 v[14:15], v[14:15], -v[30:31]
	v_add_f64 v[30:31], v[30:31], -v[32:33]
	v_add_f64 v[14:15], v[14:15], v[22:23]
	v_fma_f64 v[22:23], v[28:29], s[12:13], v[22:23]
	v_add_f64 v[14:15], v[30:31], v[14:15]
	v_add_f64 v[14:15], v[14:15], -v[22:23]
	v_fma_f64 v[22:23], v[28:29], s[10:11], v[14:15]
	v_cvt_i32_f64_e32 v28, v[28:29]
	v_add_f64 v[14:15], v[32:33], v[22:23]
	v_add_f64 v[30:31], v[14:15], -v[32:33]
	v_add_f64 v[22:23], v[22:23], -v[30:31]
.LBB6_1577:
	s_or_b32 exec_lo, exec_lo, s0
	v_mul_f64 v[29:30], v[2:3], v[2:3]
	s_mov_b32 s10, 0xb42fdfa7
	s_mov_b32 s12, 0xf9a43bb8
	;; [unrolled: 1-line block ×6, first 2 shown]
	v_mul_f64 v[39:40], v[16:17], 0.5
	v_cmp_class_f64_e64 s0, v[0:1], 0x1f8
	v_lshlrev_b32_e32 v0, 30, v25
	v_mul_lo_u32 v24, s2, v24
	s_mov_b32 s5, 0
	v_xor_b32_e32 v0, v0, v1
	v_and_b32_e32 v0, 0x80000000, v0
	v_fma_f64 v[31:32], v[29:30], s[12:13], s[10:11]
	s_mov_b32 s10, 0x9037ab78
	s_mov_b32 s12, 0x46cc5e42
	;; [unrolled: 1-line block ×4, first 2 shown]
	v_mul_f64 v[35:36], v[29:30], 0.5
	v_fma_f64 v[33:34], v[29:30], s[12:13], s[10:11]
	s_mov_b32 s10, 0xa17f65f6
	s_mov_b32 s12, 0x19e83e5c
	;; [unrolled: 1-line block ×4, first 2 shown]
	v_mul_f64 v[41:42], v[2:3], -v[29:30]
	v_fma_f64 v[31:32], v[29:30], v[31:32], s[14:15]
	v_add_f64 v[37:38], -v[35:36], 1.0
	v_fma_f64 v[33:34], v[29:30], v[33:34], s[10:11]
	s_mov_b32 s10, 0x19f4ec90
	s_mov_b32 s11, 0x3efa01a0
	v_fma_f64 v[31:32], v[29:30], v[31:32], s[12:13]
	s_mov_b32 s12, 0x11110bb3
	s_mov_b32 s13, 0x3f811111
	v_add_f64 v[43:44], -v[37:38], 1.0
	v_fma_f64 v[33:34], v[29:30], v[33:34], s[10:11]
	s_mov_b32 s10, 0x16c16967
	s_mov_b32 s11, 0xbf56c16c
	v_fma_f64 v[31:32], v[29:30], v[31:32], s[12:13]
	s_and_b32 s12, s1, 0xff
	s_cmp_lt_i32 s12, 11
	v_add_f64 v[35:36], v[43:44], -v[35:36]
	v_fma_f64 v[33:34], v[29:30], v[33:34], s[10:11]
	s_mov_b32 s11, 0x3fa55555
	s_mov_b32 s10, 0x55555555
	v_fma_f64 v[31:32], v[41:42], v[31:32], v[39:40]
	v_mul_f64 v[39:40], v[29:30], v[29:30]
	v_fma_f64 v[35:36], v[2:3], -v[16:17], v[35:36]
	v_fma_f64 v[33:34], v[29:30], v[33:34], s[10:11]
	s_mov_b32 s11, 0xbfc55555
	v_fma_f64 v[16:17], v[29:30], v[31:32], -v[16:17]
	v_fma_f64 v[29:30], v[39:40], v[33:34], v[35:36]
	v_fma_f64 v[16:17], v[41:42], s[10:11], v[16:17]
	v_add_f64 v[29:30], v[37:38], v[29:30]
	v_add_f64 v[2:3], v[2:3], -v[16:17]
	v_and_b32_e32 v16, 1, v25
	v_cmp_eq_u32_e32 vcc_lo, 0, v16
	v_cndmask_b32_e32 v1, v30, v3, vcc_lo
	v_cndmask_b32_e32 v2, v29, v2, vcc_lo
	v_ashrrev_i32_e32 v3, 31, v24
	v_add_co_u32 v16, vcc_lo, s8, v24
	v_xor_b32_e32 v1, v1, v0
	v_cndmask_b32_e64 v0, 0, v2, s0
	v_add_co_ci_u32_e64 v17, null, s9, v3, vcc_lo
	v_cndmask_b32_e64 v1, 0x7ff80000, v1, s0
	s_mov_b32 s0, -1
	s_cbranch_scc1 .LBB6_1656
; %bb.1578:
	s_and_b32 s1, 0xffff, s12
	s_mov_b32 s10, -1
	s_mov_b32 s3, 0
	s_cmp_gt_i32 s1, 25
	s_mov_b32 s0, 0
	s_cbranch_scc0 .LBB6_1611
; %bb.1579:
	s_cmp_gt_i32 s1, 28
	s_cbranch_scc0 .LBB6_1594
; %bb.1580:
	s_cmp_gt_i32 s1, 43
	;; [unrolled: 3-line block ×3, first 2 shown]
	s_cbranch_scc0 .LBB6_1584
; %bb.1582:
	s_mov_b32 s0, -1
	s_mov_b32 s10, 0
	s_cmp_eq_u32 s1, 46
	s_cbranch_scc0 .LBB6_1584
; %bb.1583:
	v_cvt_f32_f64_e32 v2, v[0:1]
	s_mov_b32 s0, 0
	s_mov_b32 s5, -1
	v_bfe_u32 v3, v2, 16, 1
	v_cmp_o_f32_e32 vcc_lo, v2, v2
	v_add3_u32 v2, v2, v3, 0x7fff
	v_mov_b32_e32 v3, 0x7fc0
	v_cndmask_b32_sdwa v2, v3, v2, vcc_lo dst_sel:DWORD dst_unused:UNUSED_PAD src0_sel:DWORD src1_sel:WORD_1
	global_store_dword v[16:17], v2, off
.LBB6_1584:
	s_and_b32 vcc_lo, exec_lo, s10
	s_cbranch_vccz .LBB6_1589
; %bb.1585:
	s_cmp_eq_u32 s1, 44
	s_mov_b32 s0, -1
	s_cbranch_scc0 .LBB6_1589
; %bb.1586:
	v_cvt_f32_f64_e32 v2, v[0:1]
	v_mov_b32_e32 v3, 0xff
	s_mov_b32 s5, exec_lo
	v_bfe_u32 v25, v2, 23, 8
	v_cmpx_ne_u32_e32 0xff, v25
	s_cbranch_execz .LBB6_1588
; %bb.1587:
	v_and_b32_e32 v3, 0x400000, v2
	v_and_or_b32 v25, 0x3fffff, v2, v25
	v_lshrrev_b32_e32 v2, 23, v2
	v_cmp_ne_u32_e32 vcc_lo, 0, v3
	v_cmp_ne_u32_e64 s0, 0, v25
	s_and_b32 s0, vcc_lo, s0
	v_cndmask_b32_e64 v3, 0, 1, s0
	v_add_nc_u32_e32 v3, v2, v3
.LBB6_1588:
	s_or_b32 exec_lo, exec_lo, s5
	s_mov_b32 s0, 0
	s_mov_b32 s5, -1
	global_store_byte v[16:17], v3, off
.LBB6_1589:
	s_mov_b32 s10, 0
.LBB6_1590:
	s_and_b32 vcc_lo, exec_lo, s10
	s_cbranch_vccz .LBB6_1593
; %bb.1591:
	s_cmp_eq_u32 s1, 29
	s_mov_b32 s0, -1
	s_cbranch_scc0 .LBB6_1593
; %bb.1592:
	v_trunc_f64_e32 v[2:3], v[0:1]
	s_mov_b32 s0, 0
	s_mov_b32 s5, -1
	v_ldexp_f64 v[29:30], v[2:3], 0xffffffe0
	v_floor_f64_e32 v[29:30], v[29:30]
	v_fma_f64 v[2:3], 0xc1f00000, v[29:30], v[2:3]
	v_cvt_u32_f64_e32 v30, v[29:30]
	v_cvt_u32_f64_e32 v29, v[2:3]
	global_store_dwordx2 v[16:17], v[29:30], off
.LBB6_1593:
	s_mov_b32 s10, 0
.LBB6_1594:
	s_and_b32 vcc_lo, exec_lo, s10
	s_cbranch_vccz .LBB6_1610
; %bb.1595:
	s_cmp_lt_i32 s1, 27
	s_mov_b32 s5, -1
	s_cbranch_scc1 .LBB6_1601
; %bb.1596:
	v_cvt_u32_f64_e32 v2, v[0:1]
	s_cmp_gt_i32 s1, 27
	s_cbranch_scc0 .LBB6_1598
; %bb.1597:
	s_mov_b32 s5, 0
	global_store_dword v[16:17], v2, off
.LBB6_1598:
	s_andn2_b32 vcc_lo, exec_lo, s5
	s_cbranch_vccnz .LBB6_1600
; %bb.1599:
	global_store_short v[16:17], v2, off
.LBB6_1600:
	s_mov_b32 s5, 0
.LBB6_1601:
	s_andn2_b32 vcc_lo, exec_lo, s5
	s_cbranch_vccnz .LBB6_1609
; %bb.1602:
	v_cvt_f32_f64_e32 v2, v[0:1]
	v_mov_b32_e32 v25, 0x80
	s_mov_b32 s5, exec_lo
	v_and_b32_e32 v3, 0x7fffffff, v2
	v_cmpx_gt_u32_e32 0x43800000, v3
	s_cbranch_execz .LBB6_1608
; %bb.1603:
	v_cmp_lt_u32_e32 vcc_lo, 0x3bffffff, v3
	s_mov_b32 s10, 0
                                        ; implicit-def: $vgpr3
	s_and_saveexec_b32 s11, vcc_lo
	s_xor_b32 s11, exec_lo, s11
	s_cbranch_execz .LBB6_2053
; %bb.1604:
	v_bfe_u32 v3, v2, 20, 1
	s_mov_b32 s10, exec_lo
	v_add3_u32 v3, v2, v3, 0x487ffff
	v_lshrrev_b32_e32 v3, 20, v3
	s_andn2_saveexec_b32 s11, s11
	s_cbranch_execnz .LBB6_2054
.LBB6_1605:
	s_or_b32 exec_lo, exec_lo, s11
	v_mov_b32_e32 v25, 0
	s_and_saveexec_b32 s11, s10
.LBB6_1606:
	v_lshrrev_b32_e32 v2, 24, v2
	v_and_or_b32 v25, 0x80, v2, v3
.LBB6_1607:
	s_or_b32 exec_lo, exec_lo, s11
.LBB6_1608:
	s_or_b32 exec_lo, exec_lo, s5
	global_store_byte v[16:17], v25, off
.LBB6_1609:
	s_mov_b32 s5, -1
.LBB6_1610:
	s_mov_b32 s10, 0
.LBB6_1611:
	s_and_b32 vcc_lo, exec_lo, s10
	s_cbranch_vccz .LBB6_1651
; %bb.1612:
	s_cmp_gt_i32 s1, 22
	s_mov_b32 s3, -1
	s_cbranch_scc0 .LBB6_1644
; %bb.1613:
	s_cmp_lt_i32 s1, 24
	s_cbranch_scc1 .LBB6_1633
; %bb.1614:
	s_cmp_gt_i32 s1, 24
	s_cbranch_scc0 .LBB6_1622
; %bb.1615:
	v_cvt_f32_f64_e32 v2, v[0:1]
	v_mov_b32_e32 v25, 0x80
	s_mov_b32 s3, exec_lo
	v_and_b32_e32 v3, 0x7fffffff, v2
	v_cmpx_gt_u32_e32 0x47800000, v3
	s_cbranch_execz .LBB6_1621
; %bb.1616:
	v_cmp_lt_u32_e32 vcc_lo, 0x37ffffff, v3
	s_mov_b32 s5, 0
                                        ; implicit-def: $vgpr3
	s_and_saveexec_b32 s10, vcc_lo
	s_xor_b32 s10, exec_lo, s10
	s_cbranch_execz .LBB6_2056
; %bb.1617:
	v_bfe_u32 v3, v2, 21, 1
	s_mov_b32 s5, exec_lo
	v_add3_u32 v3, v2, v3, 0x88fffff
	v_lshrrev_b32_e32 v3, 21, v3
	s_andn2_saveexec_b32 s10, s10
	s_cbranch_execnz .LBB6_2057
.LBB6_1618:
	s_or_b32 exec_lo, exec_lo, s10
	v_mov_b32_e32 v25, 0
	s_and_saveexec_b32 s10, s5
.LBB6_1619:
	v_lshrrev_b32_e32 v2, 24, v2
	v_and_or_b32 v25, 0x80, v2, v3
.LBB6_1620:
	s_or_b32 exec_lo, exec_lo, s10
.LBB6_1621:
	s_or_b32 exec_lo, exec_lo, s3
	s_mov_b32 s3, 0
	global_store_byte v[16:17], v25, off
.LBB6_1622:
	s_and_b32 vcc_lo, exec_lo, s3
	s_cbranch_vccz .LBB6_1632
; %bb.1623:
	v_cvt_f32_f64_e32 v2, v[0:1]
	s_mov_b32 s3, exec_lo
                                        ; implicit-def: $vgpr3
	v_and_b32_e32 v25, 0x7fffffff, v2
	v_cmpx_gt_u32_e32 0x43f00000, v25
	s_xor_b32 s3, exec_lo, s3
	s_cbranch_execz .LBB6_1629
; %bb.1624:
	s_mov_b32 s5, exec_lo
                                        ; implicit-def: $vgpr3
	v_cmpx_lt_u32_e32 0x3c7fffff, v25
	s_xor_b32 s5, exec_lo, s5
; %bb.1625:
	v_bfe_u32 v3, v2, 20, 1
	v_add3_u32 v3, v2, v3, 0x407ffff
	v_and_b32_e32 v25, 0xff00000, v3
	v_lshrrev_b32_e32 v3, 20, v3
	v_cmp_ne_u32_e32 vcc_lo, 0x7f00000, v25
	v_cndmask_b32_e32 v3, 0x7e, v3, vcc_lo
; %bb.1626:
	s_andn2_saveexec_b32 s5, s5
; %bb.1627:
	v_add_f32_e64 v3, 0x46800000, |v2|
; %bb.1628:
	s_or_b32 exec_lo, exec_lo, s5
                                        ; implicit-def: $vgpr25
.LBB6_1629:
	s_andn2_saveexec_b32 s3, s3
; %bb.1630:
	v_mov_b32_e32 v3, 0x7f
	v_cmp_lt_u32_e32 vcc_lo, 0x7f800000, v25
	v_cndmask_b32_e32 v3, 0x7e, v3, vcc_lo
; %bb.1631:
	s_or_b32 exec_lo, exec_lo, s3
	v_lshrrev_b32_e32 v2, 24, v2
	v_and_or_b32 v2, 0x80, v2, v3
	global_store_byte v[16:17], v2, off
.LBB6_1632:
	s_mov_b32 s3, 0
.LBB6_1633:
	s_andn2_b32 vcc_lo, exec_lo, s3
	s_cbranch_vccnz .LBB6_1643
; %bb.1634:
	v_cvt_f32_f64_e32 v2, v[0:1]
	s_mov_b32 s3, exec_lo
                                        ; implicit-def: $vgpr3
	v_and_b32_e32 v25, 0x7fffffff, v2
	v_cmpx_gt_u32_e32 0x47800000, v25
	s_xor_b32 s3, exec_lo, s3
	s_cbranch_execz .LBB6_1640
; %bb.1635:
	s_mov_b32 s5, exec_lo
                                        ; implicit-def: $vgpr3
	v_cmpx_lt_u32_e32 0x387fffff, v25
	s_xor_b32 s5, exec_lo, s5
; %bb.1636:
	v_bfe_u32 v3, v2, 21, 1
	v_add3_u32 v3, v2, v3, 0x80fffff
	v_lshrrev_b32_e32 v3, 21, v3
; %bb.1637:
	s_andn2_saveexec_b32 s5, s5
; %bb.1638:
	v_add_f32_e64 v3, 0x43000000, |v2|
; %bb.1639:
	s_or_b32 exec_lo, exec_lo, s5
                                        ; implicit-def: $vgpr25
.LBB6_1640:
	s_andn2_saveexec_b32 s3, s3
; %bb.1641:
	v_mov_b32_e32 v3, 0x7f
	v_cmp_lt_u32_e32 vcc_lo, 0x7f800000, v25
	v_cndmask_b32_e32 v3, 0x7c, v3, vcc_lo
; %bb.1642:
	s_or_b32 exec_lo, exec_lo, s3
	v_lshrrev_b32_e32 v2, 24, v2
	v_and_or_b32 v2, 0x80, v2, v3
	global_store_byte v[16:17], v2, off
.LBB6_1643:
	s_mov_b32 s3, 0
	s_mov_b32 s5, -1
.LBB6_1644:
	s_andn2_b32 vcc_lo, exec_lo, s3
	s_mov_b32 s3, 0
	s_cbranch_vccnz .LBB6_1651
; %bb.1645:
	s_cmp_gt_i32 s1, 14
	s_mov_b32 s3, -1
	s_cbranch_scc0 .LBB6_1649
; %bb.1646:
	s_cmp_eq_u32 s1, 15
	s_mov_b32 s0, -1
	s_cbranch_scc0 .LBB6_1648
; %bb.1647:
	v_cvt_f32_f64_e32 v2, v[0:1]
	s_mov_b32 s0, 0
	s_mov_b32 s5, -1
	v_bfe_u32 v3, v2, 16, 1
	v_cmp_o_f32_e32 vcc_lo, v2, v2
	v_add3_u32 v2, v2, v3, 0x7fff
	v_mov_b32_e32 v3, 0x7fc0
	v_cndmask_b32_sdwa v2, v3, v2, vcc_lo dst_sel:DWORD dst_unused:UNUSED_PAD src0_sel:DWORD src1_sel:WORD_1
	global_store_short v[16:17], v2, off
.LBB6_1648:
	s_mov_b32 s3, 0
.LBB6_1649:
	s_and_b32 vcc_lo, exec_lo, s3
	s_mov_b32 s3, 0
	s_cbranch_vccz .LBB6_1651
; %bb.1650:
	s_cmp_lg_u32 s1, 11
	s_mov_b32 s3, -1
	s_cselect_b32 s0, -1, 0
.LBB6_1651:
	s_and_b32 vcc_lo, exec_lo, s0
	s_cbranch_vccnz .LBB6_2055
; %bb.1652:
	s_andn2_b32 vcc_lo, exec_lo, s3
	s_cbranch_vccnz .LBB6_1654
.LBB6_1653:
	v_cmp_neq_f64_e32 vcc_lo, 0, v[0:1]
	s_mov_b32 s5, -1
	v_cndmask_b32_e64 v2, 0, 1, vcc_lo
	global_store_byte v[16:17], v2, off
.LBB6_1654:
.LBB6_1655:
	s_andn2_b32 vcc_lo, exec_lo, s5
	s_cbranch_vccz .LBB6_1695
	s_branch .LBB6_2007
.LBB6_1656:
	s_and_b32 vcc_lo, exec_lo, s0
	s_cbranch_vccz .LBB6_1655
; %bb.1657:
	s_and_b32 s0, 0xffff, s12
	s_mov_b32 s1, -1
	s_cmp_lt_i32 s0, 5
	s_cbranch_scc1 .LBB6_1678
; %bb.1658:
	s_cmp_lt_i32 s0, 8
	s_cbranch_scc1 .LBB6_1668
; %bb.1659:
	;; [unrolled: 3-line block ×3, first 2 shown]
	s_cmp_gt_i32 s0, 9
	s_cbranch_scc0 .LBB6_1662
; %bb.1661:
	v_mov_b32_e32 v2, 0
	s_mov_b32 s1, 0
	v_mov_b32_e32 v3, v2
	global_store_dwordx4 v[16:17], v[0:3], off
.LBB6_1662:
	s_andn2_b32 vcc_lo, exec_lo, s1
	s_cbranch_vccnz .LBB6_1664
; %bb.1663:
	v_cvt_f32_f64_e32 v2, v[0:1]
	v_mov_b32_e32 v3, 0
	global_store_dwordx2 v[16:17], v[2:3], off
.LBB6_1664:
	s_mov_b32 s1, 0
.LBB6_1665:
	s_andn2_b32 vcc_lo, exec_lo, s1
	s_cbranch_vccnz .LBB6_1667
; %bb.1666:
	v_and_or_b32 v2, 0x1ff, v1, v0
	v_lshrrev_b32_e32 v3, 8, v1
	v_bfe_u32 v25, v1, 20, 11
	v_cmp_ne_u32_e32 vcc_lo, 0, v2
	v_sub_nc_u32_e32 v29, 0x3f1, v25
	v_add_nc_u32_e32 v25, 0xfffffc10, v25
	v_cndmask_b32_e64 v2, 0, 1, vcc_lo
	v_and_or_b32 v2, 0xffe, v3, v2
	v_med3_i32 v3, v29, 0, 13
	v_or_b32_e32 v29, 0x1000, v2
	v_lshrrev_b32_e32 v30, v3, v29
	v_lshlrev_b32_e32 v3, v3, v30
	v_cmp_ne_u32_e32 vcc_lo, v3, v29
	v_lshl_or_b32 v29, v25, 12, v2
	v_cndmask_b32_e64 v3, 0, 1, vcc_lo
	v_cmp_gt_i32_e32 vcc_lo, 1, v25
	v_or_b32_e32 v3, v30, v3
	v_cndmask_b32_e32 v3, v29, v3, vcc_lo
	v_and_b32_e32 v29, 7, v3
	v_lshrrev_b32_e32 v3, 2, v3
	v_cmp_lt_i32_e32 vcc_lo, 5, v29
	v_cndmask_b32_e64 v30, 0, 1, vcc_lo
	v_cmp_eq_u32_e32 vcc_lo, 3, v29
	v_cndmask_b32_e64 v29, 0, 1, vcc_lo
	v_cmp_ne_u32_e32 vcc_lo, 0, v2
	v_or_b32_e32 v29, v29, v30
	v_mov_b32_e32 v30, 0x7e00
	v_add_nc_u32_e32 v3, v3, v29
	v_cndmask_b32_e32 v2, 0x7c00, v30, vcc_lo
	v_cmp_gt_i32_e32 vcc_lo, 31, v25
	v_cndmask_b32_e32 v3, 0x7c00, v3, vcc_lo
	v_cmp_eq_u32_e32 vcc_lo, 0x40f, v25
	v_cndmask_b32_e32 v2, v3, v2, vcc_lo
	v_lshrrev_b32_e32 v3, 16, v1
	v_and_or_b32 v2, 0x8000, v3, v2
	v_and_b32_e32 v2, 0xffff, v2
	global_store_dword v[16:17], v2, off
.LBB6_1667:
	s_mov_b32 s1, 0
.LBB6_1668:
	s_andn2_b32 vcc_lo, exec_lo, s1
	s_cbranch_vccnz .LBB6_1677
; %bb.1669:
	s_cmp_lt_i32 s0, 6
	s_mov_b32 s1, -1
	s_cbranch_scc1 .LBB6_1675
; %bb.1670:
	s_cmp_gt_i32 s0, 6
	s_cbranch_scc0 .LBB6_1672
; %bb.1671:
	s_mov_b32 s1, 0
	global_store_dwordx2 v[16:17], v[0:1], off
.LBB6_1672:
	s_andn2_b32 vcc_lo, exec_lo, s1
	s_cbranch_vccnz .LBB6_1674
; %bb.1673:
	v_cvt_f32_f64_e32 v2, v[0:1]
	global_store_dword v[16:17], v2, off
.LBB6_1674:
	s_mov_b32 s1, 0
.LBB6_1675:
	s_andn2_b32 vcc_lo, exec_lo, s1
	s_cbranch_vccnz .LBB6_1677
; %bb.1676:
	v_and_or_b32 v2, 0x1ff, v1, v0
	v_lshrrev_b32_e32 v3, 8, v1
	v_bfe_u32 v25, v1, 20, 11
	v_cmp_ne_u32_e32 vcc_lo, 0, v2
	v_sub_nc_u32_e32 v29, 0x3f1, v25
	v_add_nc_u32_e32 v25, 0xfffffc10, v25
	v_cndmask_b32_e64 v2, 0, 1, vcc_lo
	v_and_or_b32 v2, 0xffe, v3, v2
	v_med3_i32 v3, v29, 0, 13
	v_or_b32_e32 v29, 0x1000, v2
	v_lshrrev_b32_e32 v30, v3, v29
	v_lshlrev_b32_e32 v3, v3, v30
	v_cmp_ne_u32_e32 vcc_lo, v3, v29
	v_lshl_or_b32 v29, v25, 12, v2
	v_cndmask_b32_e64 v3, 0, 1, vcc_lo
	v_cmp_gt_i32_e32 vcc_lo, 1, v25
	v_or_b32_e32 v3, v30, v3
	v_cndmask_b32_e32 v3, v29, v3, vcc_lo
	v_and_b32_e32 v29, 7, v3
	v_lshrrev_b32_e32 v3, 2, v3
	v_cmp_lt_i32_e32 vcc_lo, 5, v29
	v_cndmask_b32_e64 v30, 0, 1, vcc_lo
	v_cmp_eq_u32_e32 vcc_lo, 3, v29
	v_cndmask_b32_e64 v29, 0, 1, vcc_lo
	v_cmp_ne_u32_e32 vcc_lo, 0, v2
	v_or_b32_e32 v29, v29, v30
	v_mov_b32_e32 v30, 0x7e00
	v_add_nc_u32_e32 v3, v3, v29
	v_cndmask_b32_e32 v2, 0x7c00, v30, vcc_lo
	v_cmp_gt_i32_e32 vcc_lo, 31, v25
	v_cndmask_b32_e32 v3, 0x7c00, v3, vcc_lo
	v_cmp_eq_u32_e32 vcc_lo, 0x40f, v25
	v_cndmask_b32_e32 v2, v3, v2, vcc_lo
	v_lshrrev_b32_e32 v3, 16, v1
	v_and_or_b32 v2, 0x8000, v3, v2
	global_store_short v[16:17], v2, off
.LBB6_1677:
	s_mov_b32 s1, 0
.LBB6_1678:
	s_andn2_b32 vcc_lo, exec_lo, s1
	s_cbranch_vccnz .LBB6_1694
; %bb.1679:
	s_cmp_lt_i32 s0, 2
	s_mov_b32 s1, -1
	s_cbranch_scc1 .LBB6_1689
; %bb.1680:
	s_cmp_lt_i32 s0, 3
	s_cbranch_scc1 .LBB6_1686
; %bb.1681:
	s_cmp_gt_i32 s0, 3
	s_cbranch_scc0 .LBB6_1683
; %bb.1682:
	v_trunc_f64_e32 v[2:3], v[0:1]
	s_mov_b32 s1, 0
	v_ldexp_f64 v[29:30], v[2:3], 0xffffffe0
	v_floor_f64_e32 v[29:30], v[29:30]
	v_fma_f64 v[2:3], 0xc1f00000, v[29:30], v[2:3]
	v_cvt_i32_f64_e32 v30, v[29:30]
	v_cvt_u32_f64_e32 v29, v[2:3]
	global_store_dwordx2 v[16:17], v[29:30], off
.LBB6_1683:
	s_andn2_b32 vcc_lo, exec_lo, s1
	s_cbranch_vccnz .LBB6_1685
; %bb.1684:
	v_cvt_i32_f64_e32 v2, v[0:1]
	global_store_dword v[16:17], v2, off
.LBB6_1685:
	s_mov_b32 s1, 0
.LBB6_1686:
	s_andn2_b32 vcc_lo, exec_lo, s1
	s_cbranch_vccnz .LBB6_1688
; %bb.1687:
	v_cvt_i32_f64_e32 v2, v[0:1]
	global_store_short v[16:17], v2, off
.LBB6_1688:
	s_mov_b32 s1, 0
.LBB6_1689:
	s_andn2_b32 vcc_lo, exec_lo, s1
	s_cbranch_vccnz .LBB6_1694
; %bb.1690:
	s_cmp_gt_i32 s0, 0
	s_mov_b32 s0, -1
	s_cbranch_scc0 .LBB6_1692
; %bb.1691:
	v_cvt_i32_f64_e32 v2, v[0:1]
	s_mov_b32 s0, 0
	global_store_byte v[16:17], v2, off
.LBB6_1692:
	s_andn2_b32 vcc_lo, exec_lo, s0
	s_cbranch_vccnz .LBB6_1694
; %bb.1693:
	v_trunc_f64_e32 v[0:1], v[0:1]
	v_ldexp_f64 v[2:3], v[0:1], 0xffffffe0
	v_floor_f64_e32 v[2:3], v[2:3]
	v_fma_f64 v[0:1], 0xc1f00000, v[2:3], v[0:1]
	v_cvt_u32_f64_e32 v0, v[0:1]
	global_store_byte v[16:17], v0, off
.LBB6_1694:
.LBB6_1695:
	v_mul_f64 v[0:1], v[10:11], v[10:11]
	s_mov_b32 s0, 0xb42fdfa7
	s_mov_b32 s10, 0xf9a43bb8
	;; [unrolled: 1-line block ×4, first 2 shown]
	v_mul_f64 v[33:34], v[18:19], 0.5
	s_mov_b32 s5, 0
	v_fma_f64 v[2:3], v[0:1], s[10:11], s[0:1]
	s_mov_b32 s0, 0x9037ab78
	s_mov_b32 s10, 0x46cc5e42
	;; [unrolled: 1-line block ×4, first 2 shown]
	v_mul_f64 v[29:30], v[0:1], 0.5
	v_fma_f64 v[16:17], v[0:1], s[10:11], s[0:1]
	s_mov_b32 s0, 0xa17f65f6
	s_mov_b32 s10, 0x19e83e5c
	;; [unrolled: 1-line block ×4, first 2 shown]
	v_mul_f64 v[35:36], v[10:11], -v[0:1]
	v_fma_f64 v[2:3], v[0:1], v[2:3], s[14:15]
	v_add_f64 v[31:32], -v[29:30], 1.0
	v_fma_f64 v[16:17], v[0:1], v[16:17], s[0:1]
	s_mov_b32 s0, 0x19f4ec90
	s_mov_b32 s1, 0x3efa01a0
	v_fma_f64 v[2:3], v[0:1], v[2:3], s[10:11]
	s_mov_b32 s10, 0x11110bb3
	s_mov_b32 s11, 0x3f811111
	v_add_f64 v[37:38], -v[31:32], 1.0
	v_fma_f64 v[16:17], v[0:1], v[16:17], s[0:1]
	s_mov_b32 s0, 0x16c16967
	s_mov_b32 s1, 0xbf56c16c
	v_fma_f64 v[2:3], v[0:1], v[2:3], s[10:11]
	v_add_f64 v[29:30], v[37:38], -v[29:30]
	v_fma_f64 v[16:17], v[0:1], v[16:17], s[0:1]
	s_mov_b32 s1, 0x3fa55555
	s_mov_b32 s0, 0x55555555
	v_fma_f64 v[2:3], v[35:36], v[2:3], v[33:34]
	v_mul_f64 v[33:34], v[0:1], v[0:1]
	v_fma_f64 v[29:30], v[10:11], -v[18:19], v[29:30]
	v_fma_f64 v[16:17], v[0:1], v[16:17], s[0:1]
	s_mov_b32 s1, 0xbfc55555
	v_fma_f64 v[0:1], v[0:1], v[2:3], -v[18:19]
	v_fma_f64 v[2:3], v[33:34], v[16:17], v[29:30]
	v_fma_f64 v[0:1], v[35:36], s[0:1], v[0:1]
	v_cmp_class_f64_e64 s0, v[4:5], 0x1f8
	s_lshl_b32 s1, s2, 7
	s_cmp_lt_i32 s12, 11
	v_add_f64 v[2:3], v[31:32], v[2:3]
	v_add_f64 v[0:1], v[10:11], -v[0:1]
	v_and_b32_e32 v10, 1, v26
	v_cmp_eq_u32_e32 vcc_lo, 0, v10
	v_add_nc_u32_e32 v10, s1, v24
	v_cndmask_b32_e32 v0, v2, v0, vcc_lo
	v_lshlrev_b32_e32 v2, 30, v26
	v_cndmask_b32_e32 v1, v3, v1, vcc_lo
	v_add_co_u32 v4, vcc_lo, s8, v10
	v_cndmask_b32_e64 v0, 0, v0, s0
	v_xor_b32_e32 v2, v2, v5
	v_and_b32_e32 v2, 0x80000000, v2
	v_xor_b32_e32 v1, v1, v2
	v_ashrrev_i32_e32 v2, 31, v10
	v_cndmask_b32_e64 v1, 0x7ff80000, v1, s0
	v_add_co_ci_u32_e64 v5, null, s9, v2, vcc_lo
	s_mov_b32 s0, -1
	s_cbranch_scc1 .LBB6_1774
; %bb.1696:
	s_and_b32 s2, 0xffff, s12
	s_mov_b32 s10, -1
	s_mov_b32 s3, 0
	s_cmp_gt_i32 s2, 25
	s_mov_b32 s0, 0
	s_cbranch_scc0 .LBB6_1729
; %bb.1697:
	s_cmp_gt_i32 s2, 28
	s_cbranch_scc0 .LBB6_1712
; %bb.1698:
	s_cmp_gt_i32 s2, 43
	;; [unrolled: 3-line block ×3, first 2 shown]
	s_cbranch_scc0 .LBB6_1702
; %bb.1700:
	s_mov_b32 s0, -1
	s_mov_b32 s10, 0
	s_cmp_eq_u32 s2, 46
	s_cbranch_scc0 .LBB6_1702
; %bb.1701:
	v_cvt_f32_f64_e32 v2, v[0:1]
	s_mov_b32 s0, 0
	s_mov_b32 s5, -1
	v_bfe_u32 v3, v2, 16, 1
	v_cmp_o_f32_e32 vcc_lo, v2, v2
	v_add3_u32 v2, v2, v3, 0x7fff
	v_mov_b32_e32 v3, 0x7fc0
	v_cndmask_b32_sdwa v2, v3, v2, vcc_lo dst_sel:DWORD dst_unused:UNUSED_PAD src0_sel:DWORD src1_sel:WORD_1
	global_store_dword v[4:5], v2, off
.LBB6_1702:
	s_and_b32 vcc_lo, exec_lo, s10
	s_cbranch_vccz .LBB6_1707
; %bb.1703:
	s_cmp_eq_u32 s2, 44
	s_mov_b32 s0, -1
	s_cbranch_scc0 .LBB6_1707
; %bb.1704:
	v_cvt_f32_f64_e32 v2, v[0:1]
	v_mov_b32_e32 v3, 0xff
	s_mov_b32 s5, exec_lo
	v_bfe_u32 v11, v2, 23, 8
	v_cmpx_ne_u32_e32 0xff, v11
	s_cbranch_execz .LBB6_1706
; %bb.1705:
	v_and_b32_e32 v3, 0x400000, v2
	v_and_or_b32 v11, 0x3fffff, v2, v11
	v_lshrrev_b32_e32 v2, 23, v2
	v_cmp_ne_u32_e32 vcc_lo, 0, v3
	v_cmp_ne_u32_e64 s0, 0, v11
	s_and_b32 s0, vcc_lo, s0
	v_cndmask_b32_e64 v3, 0, 1, s0
	v_add_nc_u32_e32 v3, v2, v3
.LBB6_1706:
	s_or_b32 exec_lo, exec_lo, s5
	s_mov_b32 s0, 0
	s_mov_b32 s5, -1
	global_store_byte v[4:5], v3, off
.LBB6_1707:
	s_mov_b32 s10, 0
.LBB6_1708:
	s_and_b32 vcc_lo, exec_lo, s10
	s_cbranch_vccz .LBB6_1711
; %bb.1709:
	s_cmp_eq_u32 s2, 29
	s_mov_b32 s0, -1
	s_cbranch_scc0 .LBB6_1711
; %bb.1710:
	v_trunc_f64_e32 v[2:3], v[0:1]
	s_mov_b32 s0, 0
	s_mov_b32 s5, -1
	v_ldexp_f64 v[16:17], v[2:3], 0xffffffe0
	v_floor_f64_e32 v[16:17], v[16:17]
	v_fma_f64 v[2:3], 0xc1f00000, v[16:17], v[2:3]
	v_cvt_u32_f64_e32 v17, v[16:17]
	v_cvt_u32_f64_e32 v16, v[2:3]
	global_store_dwordx2 v[4:5], v[16:17], off
.LBB6_1711:
	s_mov_b32 s10, 0
.LBB6_1712:
	s_and_b32 vcc_lo, exec_lo, s10
	s_cbranch_vccz .LBB6_1728
; %bb.1713:
	s_cmp_lt_i32 s2, 27
	s_mov_b32 s5, -1
	s_cbranch_scc1 .LBB6_1719
; %bb.1714:
	v_cvt_u32_f64_e32 v2, v[0:1]
	s_cmp_gt_i32 s2, 27
	s_cbranch_scc0 .LBB6_1716
; %bb.1715:
	s_mov_b32 s5, 0
	global_store_dword v[4:5], v2, off
.LBB6_1716:
	s_andn2_b32 vcc_lo, exec_lo, s5
	s_cbranch_vccnz .LBB6_1718
; %bb.1717:
	global_store_short v[4:5], v2, off
.LBB6_1718:
	s_mov_b32 s5, 0
.LBB6_1719:
	s_andn2_b32 vcc_lo, exec_lo, s5
	s_cbranch_vccnz .LBB6_1727
; %bb.1720:
	v_cvt_f32_f64_e32 v2, v[0:1]
	v_mov_b32_e32 v11, 0x80
	s_mov_b32 s5, exec_lo
	v_and_b32_e32 v3, 0x7fffffff, v2
	v_cmpx_gt_u32_e32 0x43800000, v3
	s_cbranch_execz .LBB6_1726
; %bb.1721:
	v_cmp_lt_u32_e32 vcc_lo, 0x3bffffff, v3
	s_mov_b32 s10, 0
                                        ; implicit-def: $vgpr3
	s_and_saveexec_b32 s11, vcc_lo
	s_xor_b32 s11, exec_lo, s11
	s_cbranch_execz .LBB6_2058
; %bb.1722:
	v_bfe_u32 v3, v2, 20, 1
	s_mov_b32 s10, exec_lo
	v_add3_u32 v3, v2, v3, 0x487ffff
	v_lshrrev_b32_e32 v3, 20, v3
	s_andn2_saveexec_b32 s11, s11
	s_cbranch_execnz .LBB6_2059
.LBB6_1723:
	s_or_b32 exec_lo, exec_lo, s11
	v_mov_b32_e32 v11, 0
	s_and_saveexec_b32 s11, s10
.LBB6_1724:
	v_lshrrev_b32_e32 v2, 24, v2
	v_and_or_b32 v11, 0x80, v2, v3
.LBB6_1725:
	s_or_b32 exec_lo, exec_lo, s11
.LBB6_1726:
	s_or_b32 exec_lo, exec_lo, s5
	global_store_byte v[4:5], v11, off
.LBB6_1727:
	s_mov_b32 s5, -1
.LBB6_1728:
	s_mov_b32 s10, 0
.LBB6_1729:
	s_and_b32 vcc_lo, exec_lo, s10
	s_cbranch_vccz .LBB6_1769
; %bb.1730:
	s_cmp_gt_i32 s2, 22
	s_mov_b32 s3, -1
	s_cbranch_scc0 .LBB6_1762
; %bb.1731:
	s_cmp_lt_i32 s2, 24
	s_cbranch_scc1 .LBB6_1751
; %bb.1732:
	s_cmp_gt_i32 s2, 24
	s_cbranch_scc0 .LBB6_1740
; %bb.1733:
	v_cvt_f32_f64_e32 v2, v[0:1]
	v_mov_b32_e32 v11, 0x80
	s_mov_b32 s3, exec_lo
	v_and_b32_e32 v3, 0x7fffffff, v2
	v_cmpx_gt_u32_e32 0x47800000, v3
	s_cbranch_execz .LBB6_1739
; %bb.1734:
	v_cmp_lt_u32_e32 vcc_lo, 0x37ffffff, v3
	s_mov_b32 s5, 0
                                        ; implicit-def: $vgpr3
	s_and_saveexec_b32 s10, vcc_lo
	s_xor_b32 s10, exec_lo, s10
	s_cbranch_execz .LBB6_2061
; %bb.1735:
	v_bfe_u32 v3, v2, 21, 1
	s_mov_b32 s5, exec_lo
	v_add3_u32 v3, v2, v3, 0x88fffff
	v_lshrrev_b32_e32 v3, 21, v3
	s_andn2_saveexec_b32 s10, s10
	s_cbranch_execnz .LBB6_2062
.LBB6_1736:
	s_or_b32 exec_lo, exec_lo, s10
	v_mov_b32_e32 v11, 0
	s_and_saveexec_b32 s10, s5
.LBB6_1737:
	v_lshrrev_b32_e32 v2, 24, v2
	v_and_or_b32 v11, 0x80, v2, v3
.LBB6_1738:
	s_or_b32 exec_lo, exec_lo, s10
.LBB6_1739:
	s_or_b32 exec_lo, exec_lo, s3
	s_mov_b32 s3, 0
	global_store_byte v[4:5], v11, off
.LBB6_1740:
	s_and_b32 vcc_lo, exec_lo, s3
	s_cbranch_vccz .LBB6_1750
; %bb.1741:
	v_cvt_f32_f64_e32 v2, v[0:1]
	s_mov_b32 s3, exec_lo
                                        ; implicit-def: $vgpr3
	v_and_b32_e32 v11, 0x7fffffff, v2
	v_cmpx_gt_u32_e32 0x43f00000, v11
	s_xor_b32 s3, exec_lo, s3
	s_cbranch_execz .LBB6_1747
; %bb.1742:
	s_mov_b32 s5, exec_lo
                                        ; implicit-def: $vgpr3
	v_cmpx_lt_u32_e32 0x3c7fffff, v11
	s_xor_b32 s5, exec_lo, s5
; %bb.1743:
	v_bfe_u32 v3, v2, 20, 1
	v_add3_u32 v3, v2, v3, 0x407ffff
	v_and_b32_e32 v11, 0xff00000, v3
	v_lshrrev_b32_e32 v3, 20, v3
	v_cmp_ne_u32_e32 vcc_lo, 0x7f00000, v11
	v_cndmask_b32_e32 v3, 0x7e, v3, vcc_lo
; %bb.1744:
	s_andn2_saveexec_b32 s5, s5
; %bb.1745:
	v_add_f32_e64 v3, 0x46800000, |v2|
; %bb.1746:
	s_or_b32 exec_lo, exec_lo, s5
                                        ; implicit-def: $vgpr11
.LBB6_1747:
	s_andn2_saveexec_b32 s3, s3
; %bb.1748:
	v_mov_b32_e32 v3, 0x7f
	v_cmp_lt_u32_e32 vcc_lo, 0x7f800000, v11
	v_cndmask_b32_e32 v3, 0x7e, v3, vcc_lo
; %bb.1749:
	s_or_b32 exec_lo, exec_lo, s3
	v_lshrrev_b32_e32 v2, 24, v2
	v_and_or_b32 v2, 0x80, v2, v3
	global_store_byte v[4:5], v2, off
.LBB6_1750:
	s_mov_b32 s3, 0
.LBB6_1751:
	s_andn2_b32 vcc_lo, exec_lo, s3
	s_cbranch_vccnz .LBB6_1761
; %bb.1752:
	v_cvt_f32_f64_e32 v2, v[0:1]
	s_mov_b32 s3, exec_lo
                                        ; implicit-def: $vgpr3
	v_and_b32_e32 v11, 0x7fffffff, v2
	v_cmpx_gt_u32_e32 0x47800000, v11
	s_xor_b32 s3, exec_lo, s3
	s_cbranch_execz .LBB6_1758
; %bb.1753:
	s_mov_b32 s5, exec_lo
                                        ; implicit-def: $vgpr3
	v_cmpx_lt_u32_e32 0x387fffff, v11
	s_xor_b32 s5, exec_lo, s5
; %bb.1754:
	v_bfe_u32 v3, v2, 21, 1
	v_add3_u32 v3, v2, v3, 0x80fffff
	v_lshrrev_b32_e32 v3, 21, v3
; %bb.1755:
	s_andn2_saveexec_b32 s5, s5
; %bb.1756:
	v_add_f32_e64 v3, 0x43000000, |v2|
; %bb.1757:
	s_or_b32 exec_lo, exec_lo, s5
                                        ; implicit-def: $vgpr11
.LBB6_1758:
	s_andn2_saveexec_b32 s3, s3
; %bb.1759:
	v_mov_b32_e32 v3, 0x7f
	v_cmp_lt_u32_e32 vcc_lo, 0x7f800000, v11
	v_cndmask_b32_e32 v3, 0x7c, v3, vcc_lo
; %bb.1760:
	s_or_b32 exec_lo, exec_lo, s3
	v_lshrrev_b32_e32 v2, 24, v2
	v_and_or_b32 v2, 0x80, v2, v3
	global_store_byte v[4:5], v2, off
.LBB6_1761:
	s_mov_b32 s3, 0
	s_mov_b32 s5, -1
.LBB6_1762:
	s_andn2_b32 vcc_lo, exec_lo, s3
	s_mov_b32 s3, 0
	s_cbranch_vccnz .LBB6_1769
; %bb.1763:
	s_cmp_gt_i32 s2, 14
	s_mov_b32 s3, -1
	s_cbranch_scc0 .LBB6_1767
; %bb.1764:
	s_cmp_eq_u32 s2, 15
	s_mov_b32 s0, -1
	s_cbranch_scc0 .LBB6_1766
; %bb.1765:
	v_cvt_f32_f64_e32 v2, v[0:1]
	s_mov_b32 s0, 0
	s_mov_b32 s5, -1
	v_bfe_u32 v3, v2, 16, 1
	v_cmp_o_f32_e32 vcc_lo, v2, v2
	v_add3_u32 v2, v2, v3, 0x7fff
	v_mov_b32_e32 v3, 0x7fc0
	v_cndmask_b32_sdwa v2, v3, v2, vcc_lo dst_sel:DWORD dst_unused:UNUSED_PAD src0_sel:DWORD src1_sel:WORD_1
	global_store_short v[4:5], v2, off
.LBB6_1766:
	s_mov_b32 s3, 0
.LBB6_1767:
	s_and_b32 vcc_lo, exec_lo, s3
	s_mov_b32 s3, 0
	s_cbranch_vccz .LBB6_1769
; %bb.1768:
	s_cmp_lg_u32 s2, 11
	s_mov_b32 s3, -1
	s_cselect_b32 s0, -1, 0
.LBB6_1769:
	s_and_b32 vcc_lo, exec_lo, s0
	s_cbranch_vccnz .LBB6_2060
; %bb.1770:
	s_andn2_b32 vcc_lo, exec_lo, s3
	s_cbranch_vccnz .LBB6_1772
.LBB6_1771:
	v_cmp_neq_f64_e32 vcc_lo, 0, v[0:1]
	s_mov_b32 s5, -1
	v_cndmask_b32_e64 v2, 0, 1, vcc_lo
	global_store_byte v[4:5], v2, off
.LBB6_1772:
.LBB6_1773:
	s_andn2_b32 vcc_lo, exec_lo, s5
	s_cbranch_vccz .LBB6_1813
	s_branch .LBB6_2007
.LBB6_1774:
	s_and_b32 vcc_lo, exec_lo, s0
	s_cbranch_vccz .LBB6_1773
; %bb.1775:
	s_and_b32 s0, 0xffff, s12
	s_mov_b32 s2, -1
	s_cmp_lt_i32 s0, 5
	s_cbranch_scc1 .LBB6_1796
; %bb.1776:
	s_cmp_lt_i32 s0, 8
	s_cbranch_scc1 .LBB6_1786
; %bb.1777:
	;; [unrolled: 3-line block ×3, first 2 shown]
	s_cmp_gt_i32 s0, 9
	s_cbranch_scc0 .LBB6_1780
; %bb.1779:
	v_mov_b32_e32 v2, 0
	s_mov_b32 s2, 0
	v_mov_b32_e32 v3, v2
	global_store_dwordx4 v[4:5], v[0:3], off
.LBB6_1780:
	s_andn2_b32 vcc_lo, exec_lo, s2
	s_cbranch_vccnz .LBB6_1782
; %bb.1781:
	v_cvt_f32_f64_e32 v2, v[0:1]
	v_mov_b32_e32 v3, 0
	global_store_dwordx2 v[4:5], v[2:3], off
.LBB6_1782:
	s_mov_b32 s2, 0
.LBB6_1783:
	s_andn2_b32 vcc_lo, exec_lo, s2
	s_cbranch_vccnz .LBB6_1785
; %bb.1784:
	v_and_or_b32 v2, 0x1ff, v1, v0
	v_lshrrev_b32_e32 v3, 8, v1
	v_bfe_u32 v11, v1, 20, 11
	v_cmp_ne_u32_e32 vcc_lo, 0, v2
	v_sub_nc_u32_e32 v16, 0x3f1, v11
	v_add_nc_u32_e32 v11, 0xfffffc10, v11
	v_cndmask_b32_e64 v2, 0, 1, vcc_lo
	v_and_or_b32 v2, 0xffe, v3, v2
	v_med3_i32 v3, v16, 0, 13
	v_or_b32_e32 v16, 0x1000, v2
	v_lshrrev_b32_e32 v17, v3, v16
	v_lshlrev_b32_e32 v3, v3, v17
	v_cmp_ne_u32_e32 vcc_lo, v3, v16
	v_lshl_or_b32 v16, v11, 12, v2
	v_cndmask_b32_e64 v3, 0, 1, vcc_lo
	v_cmp_gt_i32_e32 vcc_lo, 1, v11
	v_or_b32_e32 v3, v17, v3
	v_cndmask_b32_e32 v3, v16, v3, vcc_lo
	v_and_b32_e32 v16, 7, v3
	v_lshrrev_b32_e32 v3, 2, v3
	v_cmp_lt_i32_e32 vcc_lo, 5, v16
	v_cndmask_b32_e64 v17, 0, 1, vcc_lo
	v_cmp_eq_u32_e32 vcc_lo, 3, v16
	v_cndmask_b32_e64 v16, 0, 1, vcc_lo
	v_cmp_ne_u32_e32 vcc_lo, 0, v2
	v_or_b32_e32 v16, v16, v17
	v_mov_b32_e32 v17, 0x7e00
	v_add_nc_u32_e32 v3, v3, v16
	v_cndmask_b32_e32 v2, 0x7c00, v17, vcc_lo
	v_cmp_gt_i32_e32 vcc_lo, 31, v11
	v_cndmask_b32_e32 v3, 0x7c00, v3, vcc_lo
	v_cmp_eq_u32_e32 vcc_lo, 0x40f, v11
	v_cndmask_b32_e32 v2, v3, v2, vcc_lo
	v_lshrrev_b32_e32 v3, 16, v1
	v_and_or_b32 v2, 0x8000, v3, v2
	v_and_b32_e32 v2, 0xffff, v2
	global_store_dword v[4:5], v2, off
.LBB6_1785:
	s_mov_b32 s2, 0
.LBB6_1786:
	s_andn2_b32 vcc_lo, exec_lo, s2
	s_cbranch_vccnz .LBB6_1795
; %bb.1787:
	s_cmp_lt_i32 s0, 6
	s_mov_b32 s2, -1
	s_cbranch_scc1 .LBB6_1793
; %bb.1788:
	s_cmp_gt_i32 s0, 6
	s_cbranch_scc0 .LBB6_1790
; %bb.1789:
	s_mov_b32 s2, 0
	global_store_dwordx2 v[4:5], v[0:1], off
.LBB6_1790:
	s_andn2_b32 vcc_lo, exec_lo, s2
	s_cbranch_vccnz .LBB6_1792
; %bb.1791:
	v_cvt_f32_f64_e32 v2, v[0:1]
	global_store_dword v[4:5], v2, off
.LBB6_1792:
	s_mov_b32 s2, 0
.LBB6_1793:
	s_andn2_b32 vcc_lo, exec_lo, s2
	s_cbranch_vccnz .LBB6_1795
; %bb.1794:
	v_and_or_b32 v2, 0x1ff, v1, v0
	v_lshrrev_b32_e32 v3, 8, v1
	v_bfe_u32 v11, v1, 20, 11
	v_cmp_ne_u32_e32 vcc_lo, 0, v2
	v_sub_nc_u32_e32 v16, 0x3f1, v11
	v_add_nc_u32_e32 v11, 0xfffffc10, v11
	v_cndmask_b32_e64 v2, 0, 1, vcc_lo
	v_and_or_b32 v2, 0xffe, v3, v2
	v_med3_i32 v3, v16, 0, 13
	v_or_b32_e32 v16, 0x1000, v2
	v_lshrrev_b32_e32 v17, v3, v16
	v_lshlrev_b32_e32 v3, v3, v17
	v_cmp_ne_u32_e32 vcc_lo, v3, v16
	v_lshl_or_b32 v16, v11, 12, v2
	v_cndmask_b32_e64 v3, 0, 1, vcc_lo
	v_cmp_gt_i32_e32 vcc_lo, 1, v11
	v_or_b32_e32 v3, v17, v3
	v_cndmask_b32_e32 v3, v16, v3, vcc_lo
	v_and_b32_e32 v16, 7, v3
	v_lshrrev_b32_e32 v3, 2, v3
	v_cmp_lt_i32_e32 vcc_lo, 5, v16
	v_cndmask_b32_e64 v17, 0, 1, vcc_lo
	v_cmp_eq_u32_e32 vcc_lo, 3, v16
	v_cndmask_b32_e64 v16, 0, 1, vcc_lo
	v_cmp_ne_u32_e32 vcc_lo, 0, v2
	v_or_b32_e32 v16, v16, v17
	v_mov_b32_e32 v17, 0x7e00
	v_add_nc_u32_e32 v3, v3, v16
	v_cndmask_b32_e32 v2, 0x7c00, v17, vcc_lo
	v_cmp_gt_i32_e32 vcc_lo, 31, v11
	v_cndmask_b32_e32 v3, 0x7c00, v3, vcc_lo
	v_cmp_eq_u32_e32 vcc_lo, 0x40f, v11
	v_cndmask_b32_e32 v2, v3, v2, vcc_lo
	v_lshrrev_b32_e32 v3, 16, v1
	v_and_or_b32 v2, 0x8000, v3, v2
	global_store_short v[4:5], v2, off
.LBB6_1795:
	s_mov_b32 s2, 0
.LBB6_1796:
	s_andn2_b32 vcc_lo, exec_lo, s2
	s_cbranch_vccnz .LBB6_1812
; %bb.1797:
	s_cmp_lt_i32 s0, 2
	s_mov_b32 s2, -1
	s_cbranch_scc1 .LBB6_1807
; %bb.1798:
	s_cmp_lt_i32 s0, 3
	s_cbranch_scc1 .LBB6_1804
; %bb.1799:
	s_cmp_gt_i32 s0, 3
	s_cbranch_scc0 .LBB6_1801
; %bb.1800:
	v_trunc_f64_e32 v[2:3], v[0:1]
	s_mov_b32 s2, 0
	v_ldexp_f64 v[16:17], v[2:3], 0xffffffe0
	v_floor_f64_e32 v[16:17], v[16:17]
	v_fma_f64 v[2:3], 0xc1f00000, v[16:17], v[2:3]
	v_cvt_i32_f64_e32 v17, v[16:17]
	v_cvt_u32_f64_e32 v16, v[2:3]
	global_store_dwordx2 v[4:5], v[16:17], off
.LBB6_1801:
	s_andn2_b32 vcc_lo, exec_lo, s2
	s_cbranch_vccnz .LBB6_1803
; %bb.1802:
	v_cvt_i32_f64_e32 v2, v[0:1]
	global_store_dword v[4:5], v2, off
.LBB6_1803:
	s_mov_b32 s2, 0
.LBB6_1804:
	s_andn2_b32 vcc_lo, exec_lo, s2
	s_cbranch_vccnz .LBB6_1806
; %bb.1805:
	v_cvt_i32_f64_e32 v2, v[0:1]
	global_store_short v[4:5], v2, off
.LBB6_1806:
	s_mov_b32 s2, 0
.LBB6_1807:
	s_andn2_b32 vcc_lo, exec_lo, s2
	s_cbranch_vccnz .LBB6_1812
; %bb.1808:
	s_cmp_gt_i32 s0, 0
	s_mov_b32 s0, -1
	s_cbranch_scc0 .LBB6_1810
; %bb.1809:
	v_cvt_i32_f64_e32 v2, v[0:1]
	s_mov_b32 s0, 0
	global_store_byte v[4:5], v2, off
.LBB6_1810:
	s_andn2_b32 vcc_lo, exec_lo, s0
	s_cbranch_vccnz .LBB6_1812
; %bb.1811:
	v_trunc_f64_e32 v[0:1], v[0:1]
	v_ldexp_f64 v[2:3], v[0:1], 0xffffffe0
	v_floor_f64_e32 v[2:3], v[2:3]
	v_fma_f64 v[0:1], 0xc1f00000, v[2:3], v[0:1]
	v_cvt_u32_f64_e32 v0, v[0:1]
	global_store_byte v[4:5], v0, off
.LBB6_1812:
.LBB6_1813:
	v_mul_f64 v[0:1], v[12:13], v[12:13]
	s_mov_b32 s2, 0xb42fdfa7
	s_mov_b32 s10, 0xf9a43bb8
	;; [unrolled: 1-line block ×4, first 2 shown]
	v_mul_f64 v[24:25], v[20:21], 0.5
	v_cmp_class_f64_e64 s0, v[6:7], 0x1f8
	v_add_nc_u32_e32 v6, s1, v10
	s_mov_b32 s5, 0
	s_cmp_lt_i32 s12, 11
	v_fma_f64 v[2:3], v[0:1], s[10:11], s[2:3]
	s_mov_b32 s2, 0x9037ab78
	s_mov_b32 s10, 0x46cc5e42
	;; [unrolled: 1-line block ×4, first 2 shown]
	v_mul_f64 v[16:17], v[0:1], 0.5
	v_fma_f64 v[4:5], v[0:1], s[10:11], s[2:3]
	s_mov_b32 s2, 0xa17f65f6
	s_mov_b32 s10, 0x19e83e5c
	;; [unrolled: 1-line block ×4, first 2 shown]
	v_mul_f64 v[29:30], v[12:13], -v[0:1]
	v_fma_f64 v[2:3], v[0:1], v[2:3], s[14:15]
	v_add_f64 v[18:19], -v[16:17], 1.0
	v_fma_f64 v[4:5], v[0:1], v[4:5], s[2:3]
	s_mov_b32 s2, 0x19f4ec90
	s_mov_b32 s3, 0x3efa01a0
	v_fma_f64 v[2:3], v[0:1], v[2:3], s[10:11]
	s_mov_b32 s10, 0x11110bb3
	s_mov_b32 s11, 0x3f811111
	v_add_f64 v[31:32], -v[18:19], 1.0
	v_fma_f64 v[4:5], v[0:1], v[4:5], s[2:3]
	s_mov_b32 s2, 0x16c16967
	s_mov_b32 s3, 0xbf56c16c
	v_fma_f64 v[2:3], v[0:1], v[2:3], s[10:11]
	v_add_f64 v[16:17], v[31:32], -v[16:17]
	v_fma_f64 v[4:5], v[0:1], v[4:5], s[2:3]
	s_mov_b32 s3, 0x3fa55555
	s_mov_b32 s2, 0x55555555
	v_fma_f64 v[2:3], v[29:30], v[2:3], v[24:25]
	v_mul_f64 v[24:25], v[0:1], v[0:1]
	v_fma_f64 v[16:17], v[12:13], -v[20:21], v[16:17]
	v_fma_f64 v[4:5], v[0:1], v[4:5], s[2:3]
	s_mov_b32 s3, 0xbfc55555
	v_fma_f64 v[0:1], v[0:1], v[2:3], -v[20:21]
	v_fma_f64 v[2:3], v[24:25], v[4:5], v[16:17]
	v_and_b32_e32 v4, 1, v27
	v_cmp_eq_u32_e32 vcc_lo, 0, v4
	v_fma_f64 v[0:1], v[29:30], s[2:3], v[0:1]
	v_add_f64 v[2:3], v[18:19], v[2:3]
	v_add_f64 v[0:1], v[12:13], -v[0:1]
	v_cndmask_b32_e32 v0, v2, v0, vcc_lo
	v_lshlrev_b32_e32 v2, 30, v27
	v_cndmask_b32_e32 v1, v3, v1, vcc_lo
	v_add_co_u32 v4, vcc_lo, s8, v6
	v_cndmask_b32_e64 v0, 0, v0, s0
	v_xor_b32_e32 v2, v2, v7
	v_and_b32_e32 v2, 0x80000000, v2
	v_xor_b32_e32 v1, v1, v2
	v_ashrrev_i32_e32 v2, 31, v6
	v_cndmask_b32_e64 v1, 0x7ff80000, v1, s0
	v_add_co_ci_u32_e64 v5, null, s9, v2, vcc_lo
	s_mov_b32 s0, -1
	s_cbranch_scc1 .LBB6_1968
; %bb.1814:
	s_and_b32 s2, 0xffff, s12
	s_mov_b32 s10, -1
	s_mov_b32 s3, 0
	s_cmp_gt_i32 s2, 25
	s_mov_b32 s0, 0
	s_cbranch_scc0 .LBB6_1847
; %bb.1815:
	s_cmp_gt_i32 s2, 28
	s_cbranch_scc0 .LBB6_1830
; %bb.1816:
	s_cmp_gt_i32 s2, 43
	;; [unrolled: 3-line block ×3, first 2 shown]
	s_cbranch_scc0 .LBB6_1820
; %bb.1818:
	s_mov_b32 s0, -1
	s_mov_b32 s10, 0
	s_cmp_eq_u32 s2, 46
	s_cbranch_scc0 .LBB6_1820
; %bb.1819:
	v_cvt_f32_f64_e32 v2, v[0:1]
	s_mov_b32 s0, 0
	s_mov_b32 s5, -1
	v_bfe_u32 v3, v2, 16, 1
	v_cmp_o_f32_e32 vcc_lo, v2, v2
	v_add3_u32 v2, v2, v3, 0x7fff
	v_mov_b32_e32 v3, 0x7fc0
	v_cndmask_b32_sdwa v2, v3, v2, vcc_lo dst_sel:DWORD dst_unused:UNUSED_PAD src0_sel:DWORD src1_sel:WORD_1
	global_store_dword v[4:5], v2, off
.LBB6_1820:
	s_and_b32 vcc_lo, exec_lo, s10
	s_cbranch_vccz .LBB6_1825
; %bb.1821:
	s_cmp_eq_u32 s2, 44
	s_mov_b32 s0, -1
	s_cbranch_scc0 .LBB6_1825
; %bb.1822:
	v_cvt_f32_f64_e32 v2, v[0:1]
	v_mov_b32_e32 v3, 0xff
	s_mov_b32 s5, exec_lo
	v_bfe_u32 v7, v2, 23, 8
	v_cmpx_ne_u32_e32 0xff, v7
	s_cbranch_execz .LBB6_1824
; %bb.1823:
	v_and_b32_e32 v3, 0x400000, v2
	v_and_or_b32 v7, 0x3fffff, v2, v7
	v_lshrrev_b32_e32 v2, 23, v2
	v_cmp_ne_u32_e32 vcc_lo, 0, v3
	v_cmp_ne_u32_e64 s0, 0, v7
	s_and_b32 s0, vcc_lo, s0
	v_cndmask_b32_e64 v3, 0, 1, s0
	v_add_nc_u32_e32 v3, v2, v3
.LBB6_1824:
	s_or_b32 exec_lo, exec_lo, s5
	s_mov_b32 s0, 0
	s_mov_b32 s5, -1
	global_store_byte v[4:5], v3, off
.LBB6_1825:
	s_mov_b32 s10, 0
.LBB6_1826:
	s_and_b32 vcc_lo, exec_lo, s10
	s_cbranch_vccz .LBB6_1829
; %bb.1827:
	s_cmp_eq_u32 s2, 29
	s_mov_b32 s0, -1
	s_cbranch_scc0 .LBB6_1829
; %bb.1828:
	v_trunc_f64_e32 v[2:3], v[0:1]
	s_mov_b32 s0, 0
	s_mov_b32 s5, -1
	v_ldexp_f64 v[10:11], v[2:3], 0xffffffe0
	v_floor_f64_e32 v[10:11], v[10:11]
	v_fma_f64 v[2:3], 0xc1f00000, v[10:11], v[2:3]
	v_cvt_u32_f64_e32 v11, v[10:11]
	v_cvt_u32_f64_e32 v10, v[2:3]
	global_store_dwordx2 v[4:5], v[10:11], off
.LBB6_1829:
	s_mov_b32 s10, 0
.LBB6_1830:
	s_and_b32 vcc_lo, exec_lo, s10
	s_cbranch_vccz .LBB6_1846
; %bb.1831:
	s_cmp_lt_i32 s2, 27
	s_mov_b32 s5, -1
	s_cbranch_scc1 .LBB6_1837
; %bb.1832:
	v_cvt_u32_f64_e32 v2, v[0:1]
	s_cmp_gt_i32 s2, 27
	s_cbranch_scc0 .LBB6_1834
; %bb.1833:
	s_mov_b32 s5, 0
	global_store_dword v[4:5], v2, off
.LBB6_1834:
	s_andn2_b32 vcc_lo, exec_lo, s5
	s_cbranch_vccnz .LBB6_1836
; %bb.1835:
	global_store_short v[4:5], v2, off
.LBB6_1836:
	s_mov_b32 s5, 0
.LBB6_1837:
	s_andn2_b32 vcc_lo, exec_lo, s5
	s_cbranch_vccnz .LBB6_1845
; %bb.1838:
	v_cvt_f32_f64_e32 v2, v[0:1]
	v_mov_b32_e32 v7, 0x80
	s_mov_b32 s5, exec_lo
	v_and_b32_e32 v3, 0x7fffffff, v2
	v_cmpx_gt_u32_e32 0x43800000, v3
	s_cbranch_execz .LBB6_1844
; %bb.1839:
	v_cmp_lt_u32_e32 vcc_lo, 0x3bffffff, v3
	s_mov_b32 s10, 0
                                        ; implicit-def: $vgpr3
	s_and_saveexec_b32 s11, vcc_lo
	s_xor_b32 s11, exec_lo, s11
	s_cbranch_execz .LBB6_2063
; %bb.1840:
	v_bfe_u32 v3, v2, 20, 1
	s_mov_b32 s10, exec_lo
	v_add3_u32 v3, v2, v3, 0x487ffff
	v_lshrrev_b32_e32 v3, 20, v3
	s_andn2_saveexec_b32 s11, s11
	s_cbranch_execnz .LBB6_2064
.LBB6_1841:
	s_or_b32 exec_lo, exec_lo, s11
	v_mov_b32_e32 v7, 0
	s_and_saveexec_b32 s11, s10
.LBB6_1842:
	v_lshrrev_b32_e32 v2, 24, v2
	v_and_or_b32 v7, 0x80, v2, v3
.LBB6_1843:
	s_or_b32 exec_lo, exec_lo, s11
.LBB6_1844:
	s_or_b32 exec_lo, exec_lo, s5
	global_store_byte v[4:5], v7, off
.LBB6_1845:
	s_mov_b32 s5, -1
.LBB6_1846:
	s_mov_b32 s10, 0
.LBB6_1847:
	s_and_b32 vcc_lo, exec_lo, s10
	s_cbranch_vccz .LBB6_1887
; %bb.1848:
	s_cmp_gt_i32 s2, 22
	s_mov_b32 s3, -1
	s_cbranch_scc0 .LBB6_1880
; %bb.1849:
	s_cmp_lt_i32 s2, 24
	s_cbranch_scc1 .LBB6_1869
; %bb.1850:
	s_cmp_gt_i32 s2, 24
	s_cbranch_scc0 .LBB6_1858
; %bb.1851:
	v_cvt_f32_f64_e32 v2, v[0:1]
	v_mov_b32_e32 v7, 0x80
	s_mov_b32 s3, exec_lo
	v_and_b32_e32 v3, 0x7fffffff, v2
	v_cmpx_gt_u32_e32 0x47800000, v3
	s_cbranch_execz .LBB6_1857
; %bb.1852:
	v_cmp_lt_u32_e32 vcc_lo, 0x37ffffff, v3
	s_mov_b32 s5, 0
                                        ; implicit-def: $vgpr3
	s_and_saveexec_b32 s10, vcc_lo
	s_xor_b32 s10, exec_lo, s10
	s_cbranch_execz .LBB6_2066
; %bb.1853:
	v_bfe_u32 v3, v2, 21, 1
	s_mov_b32 s5, exec_lo
	v_add3_u32 v3, v2, v3, 0x88fffff
	v_lshrrev_b32_e32 v3, 21, v3
	s_andn2_saveexec_b32 s10, s10
	s_cbranch_execnz .LBB6_2067
.LBB6_1854:
	s_or_b32 exec_lo, exec_lo, s10
	v_mov_b32_e32 v7, 0
	s_and_saveexec_b32 s10, s5
.LBB6_1855:
	v_lshrrev_b32_e32 v2, 24, v2
	v_and_or_b32 v7, 0x80, v2, v3
.LBB6_1856:
	s_or_b32 exec_lo, exec_lo, s10
.LBB6_1857:
	s_or_b32 exec_lo, exec_lo, s3
	s_mov_b32 s3, 0
	global_store_byte v[4:5], v7, off
.LBB6_1858:
	s_and_b32 vcc_lo, exec_lo, s3
	s_cbranch_vccz .LBB6_1868
; %bb.1859:
	v_cvt_f32_f64_e32 v2, v[0:1]
	s_mov_b32 s3, exec_lo
                                        ; implicit-def: $vgpr3
	v_and_b32_e32 v7, 0x7fffffff, v2
	v_cmpx_gt_u32_e32 0x43f00000, v7
	s_xor_b32 s3, exec_lo, s3
	s_cbranch_execz .LBB6_1865
; %bb.1860:
	s_mov_b32 s5, exec_lo
                                        ; implicit-def: $vgpr3
	v_cmpx_lt_u32_e32 0x3c7fffff, v7
	s_xor_b32 s5, exec_lo, s5
; %bb.1861:
	v_bfe_u32 v3, v2, 20, 1
	v_add3_u32 v3, v2, v3, 0x407ffff
	v_and_b32_e32 v7, 0xff00000, v3
	v_lshrrev_b32_e32 v3, 20, v3
	v_cmp_ne_u32_e32 vcc_lo, 0x7f00000, v7
	v_cndmask_b32_e32 v3, 0x7e, v3, vcc_lo
; %bb.1862:
	s_andn2_saveexec_b32 s5, s5
; %bb.1863:
	v_add_f32_e64 v3, 0x46800000, |v2|
; %bb.1864:
	s_or_b32 exec_lo, exec_lo, s5
                                        ; implicit-def: $vgpr7
.LBB6_1865:
	s_andn2_saveexec_b32 s3, s3
; %bb.1866:
	v_mov_b32_e32 v3, 0x7f
	v_cmp_lt_u32_e32 vcc_lo, 0x7f800000, v7
	v_cndmask_b32_e32 v3, 0x7e, v3, vcc_lo
; %bb.1867:
	s_or_b32 exec_lo, exec_lo, s3
	v_lshrrev_b32_e32 v2, 24, v2
	v_and_or_b32 v2, 0x80, v2, v3
	global_store_byte v[4:5], v2, off
.LBB6_1868:
	s_mov_b32 s3, 0
.LBB6_1869:
	s_andn2_b32 vcc_lo, exec_lo, s3
	s_cbranch_vccnz .LBB6_1879
; %bb.1870:
	v_cvt_f32_f64_e32 v2, v[0:1]
	s_mov_b32 s3, exec_lo
                                        ; implicit-def: $vgpr3
	v_and_b32_e32 v7, 0x7fffffff, v2
	v_cmpx_gt_u32_e32 0x47800000, v7
	s_xor_b32 s3, exec_lo, s3
	s_cbranch_execz .LBB6_1876
; %bb.1871:
	s_mov_b32 s5, exec_lo
                                        ; implicit-def: $vgpr3
	v_cmpx_lt_u32_e32 0x387fffff, v7
	s_xor_b32 s5, exec_lo, s5
; %bb.1872:
	v_bfe_u32 v3, v2, 21, 1
	v_add3_u32 v3, v2, v3, 0x80fffff
	v_lshrrev_b32_e32 v3, 21, v3
; %bb.1873:
	s_andn2_saveexec_b32 s5, s5
; %bb.1874:
	v_add_f32_e64 v3, 0x43000000, |v2|
; %bb.1875:
	s_or_b32 exec_lo, exec_lo, s5
                                        ; implicit-def: $vgpr7
.LBB6_1876:
	s_andn2_saveexec_b32 s3, s3
; %bb.1877:
	v_mov_b32_e32 v3, 0x7f
	v_cmp_lt_u32_e32 vcc_lo, 0x7f800000, v7
	v_cndmask_b32_e32 v3, 0x7c, v3, vcc_lo
; %bb.1878:
	s_or_b32 exec_lo, exec_lo, s3
	v_lshrrev_b32_e32 v2, 24, v2
	v_and_or_b32 v2, 0x80, v2, v3
	global_store_byte v[4:5], v2, off
.LBB6_1879:
	s_mov_b32 s3, 0
	s_mov_b32 s5, -1
.LBB6_1880:
	s_andn2_b32 vcc_lo, exec_lo, s3
	s_mov_b32 s3, 0
	s_cbranch_vccnz .LBB6_1887
; %bb.1881:
	s_cmp_gt_i32 s2, 14
	s_mov_b32 s3, -1
	s_cbranch_scc0 .LBB6_1885
; %bb.1882:
	s_cmp_eq_u32 s2, 15
	s_mov_b32 s0, -1
	s_cbranch_scc0 .LBB6_1884
; %bb.1883:
	v_cvt_f32_f64_e32 v2, v[0:1]
	s_mov_b32 s0, 0
	s_mov_b32 s5, -1
	v_bfe_u32 v3, v2, 16, 1
	v_cmp_o_f32_e32 vcc_lo, v2, v2
	v_add3_u32 v2, v2, v3, 0x7fff
	v_mov_b32_e32 v3, 0x7fc0
	v_cndmask_b32_sdwa v2, v3, v2, vcc_lo dst_sel:DWORD dst_unused:UNUSED_PAD src0_sel:DWORD src1_sel:WORD_1
	global_store_short v[4:5], v2, off
.LBB6_1884:
	s_mov_b32 s3, 0
.LBB6_1885:
	s_and_b32 vcc_lo, exec_lo, s3
	s_mov_b32 s3, 0
	s_cbranch_vccz .LBB6_1887
; %bb.1886:
	s_cmp_lg_u32 s2, 11
	s_mov_b32 s3, -1
	s_cselect_b32 s0, -1, 0
.LBB6_1887:
	s_and_b32 vcc_lo, exec_lo, s0
	s_cbranch_vccnz .LBB6_2065
; %bb.1888:
	s_andn2_b32 vcc_lo, exec_lo, s3
	s_cbranch_vccnz .LBB6_1890
.LBB6_1889:
	v_cmp_neq_f64_e32 vcc_lo, 0, v[0:1]
	s_mov_b32 s5, -1
	v_cndmask_b32_e64 v2, 0, 1, vcc_lo
	global_store_byte v[4:5], v2, off
.LBB6_1890:
.LBB6_1891:
	s_andn2_b32 vcc_lo, exec_lo, s5
	s_cbranch_vccnz .LBB6_2007
.LBB6_1892:
	v_mul_f64 v[0:1], v[14:15], v[14:15]
	s_mov_b32 s2, 0xb42fdfa7
	s_mov_b32 s10, 0xf9a43bb8
	;; [unrolled: 1-line block ×4, first 2 shown]
	v_mul_f64 v[16:17], v[22:23], 0.5
	v_cmp_class_f64_e64 s0, v[8:9], 0x1f8
	s_cmp_lt_i32 s12, 11
	v_fma_f64 v[2:3], v[0:1], s[10:11], s[2:3]
	s_mov_b32 s2, 0x9037ab78
	s_mov_b32 s10, 0x46cc5e42
	;; [unrolled: 1-line block ×4, first 2 shown]
	v_mul_f64 v[10:11], v[0:1], 0.5
	v_fma_f64 v[4:5], v[0:1], s[10:11], s[2:3]
	s_mov_b32 s2, 0xa17f65f6
	s_mov_b32 s10, 0x19e83e5c
	;; [unrolled: 1-line block ×4, first 2 shown]
	v_mul_f64 v[18:19], v[14:15], -v[0:1]
	v_fma_f64 v[2:3], v[0:1], v[2:3], s[14:15]
	v_add_f64 v[12:13], -v[10:11], 1.0
	v_fma_f64 v[4:5], v[0:1], v[4:5], s[2:3]
	s_mov_b32 s2, 0x19f4ec90
	s_mov_b32 s3, 0x3efa01a0
	v_fma_f64 v[2:3], v[0:1], v[2:3], s[10:11]
	s_mov_b32 s10, 0x11110bb3
	s_mov_b32 s11, 0x3f811111
	v_add_f64 v[20:21], -v[12:13], 1.0
	v_fma_f64 v[4:5], v[0:1], v[4:5], s[2:3]
	s_mov_b32 s2, 0x16c16967
	s_mov_b32 s3, 0xbf56c16c
	v_fma_f64 v[2:3], v[0:1], v[2:3], s[10:11]
	v_add_f64 v[10:11], v[20:21], -v[10:11]
	v_fma_f64 v[4:5], v[0:1], v[4:5], s[2:3]
	s_mov_b32 s3, 0x3fa55555
	s_mov_b32 s2, 0x55555555
	v_fma_f64 v[2:3], v[18:19], v[2:3], v[16:17]
	v_mul_f64 v[16:17], v[0:1], v[0:1]
	v_fma_f64 v[10:11], v[14:15], -v[22:23], v[10:11]
	v_fma_f64 v[4:5], v[0:1], v[4:5], s[2:3]
	s_mov_b32 s3, 0xbfc55555
	v_fma_f64 v[0:1], v[0:1], v[2:3], -v[22:23]
	v_fma_f64 v[2:3], v[16:17], v[4:5], v[10:11]
	v_and_b32_e32 v4, 1, v28
	v_cmp_eq_u32_e32 vcc_lo, 0, v4
	v_fma_f64 v[0:1], v[18:19], s[2:3], v[0:1]
	s_mov_b32 s2, 0
	v_add_f64 v[2:3], v[12:13], v[2:3]
	v_add_f64 v[0:1], v[14:15], -v[0:1]
	v_cndmask_b32_e32 v0, v2, v0, vcc_lo
	v_lshlrev_b32_e32 v2, 30, v28
	v_cndmask_b32_e32 v1, v3, v1, vcc_lo
	v_add_nc_u32_e32 v3, s1, v6
	v_cndmask_b32_e64 v0, 0, v0, s0
	v_xor_b32_e32 v2, v2, v9
	v_add_co_u32 v4, vcc_lo, s8, v3
	v_and_b32_e32 v2, 0x80000000, v2
	v_xor_b32_e32 v1, v1, v2
	v_ashrrev_i32_e32 v2, 31, v3
	v_cndmask_b32_e64 v1, 0x7ff80000, v1, s0
	v_add_co_ci_u32_e64 v5, null, s9, v2, vcc_lo
	s_mov_b32 s0, -1
	s_cbranch_scc1 .LBB6_2008
; %bb.1893:
	s_and_b32 s1, 0xffff, s12
	s_mov_b32 s3, -1
	s_cmp_gt_i32 s1, 25
	s_mov_b32 s0, 0
	s_cbranch_scc0 .LBB6_1926
; %bb.1894:
	s_cmp_gt_i32 s1, 28
	s_cbranch_scc0 .LBB6_1910
; %bb.1895:
	s_cmp_gt_i32 s1, 43
	;; [unrolled: 3-line block ×3, first 2 shown]
	s_cbranch_scc0 .LBB6_1900
; %bb.1897:
	s_cmp_eq_u32 s1, 46
	s_mov_b32 s0, -1
	s_cbranch_scc0 .LBB6_1899
; %bb.1898:
	v_cvt_f32_f64_e32 v2, v[0:1]
	s_mov_b32 s0, 0
	v_bfe_u32 v3, v2, 16, 1
	v_cmp_o_f32_e32 vcc_lo, v2, v2
	v_add3_u32 v2, v2, v3, 0x7fff
	v_mov_b32_e32 v3, 0x7fc0
	v_cndmask_b32_sdwa v2, v3, v2, vcc_lo dst_sel:DWORD dst_unused:UNUSED_PAD src0_sel:DWORD src1_sel:WORD_1
	global_store_dword v[4:5], v2, off
.LBB6_1899:
	s_mov_b32 s3, 0
.LBB6_1900:
	s_and_b32 vcc_lo, exec_lo, s3
	s_cbranch_vccz .LBB6_1905
; %bb.1901:
	s_cmp_eq_u32 s1, 44
	s_mov_b32 s0, -1
	s_cbranch_scc0 .LBB6_1905
; %bb.1902:
	v_cvt_f32_f64_e32 v2, v[0:1]
	v_mov_b32_e32 v3, 0xff
	s_mov_b32 s3, exec_lo
	v_bfe_u32 v6, v2, 23, 8
	v_cmpx_ne_u32_e32 0xff, v6
	s_cbranch_execz .LBB6_1904
; %bb.1903:
	v_and_b32_e32 v3, 0x400000, v2
	v_and_or_b32 v6, 0x3fffff, v2, v6
	v_lshrrev_b32_e32 v2, 23, v2
	v_cmp_ne_u32_e32 vcc_lo, 0, v3
	v_cmp_ne_u32_e64 s0, 0, v6
	s_and_b32 s0, vcc_lo, s0
	v_cndmask_b32_e64 v3, 0, 1, s0
	v_add_nc_u32_e32 v3, v2, v3
.LBB6_1904:
	s_or_b32 exec_lo, exec_lo, s3
	s_mov_b32 s0, 0
	global_store_byte v[4:5], v3, off
.LBB6_1905:
	s_mov_b32 s3, 0
.LBB6_1906:
	s_and_b32 vcc_lo, exec_lo, s3
	s_cbranch_vccz .LBB6_1909
; %bb.1907:
	s_cmp_eq_u32 s1, 29
	s_mov_b32 s0, -1
	s_cbranch_scc0 .LBB6_1909
; %bb.1908:
	v_trunc_f64_e32 v[2:3], v[0:1]
	s_mov_b32 s0, 0
	v_ldexp_f64 v[6:7], v[2:3], 0xffffffe0
	v_floor_f64_e32 v[6:7], v[6:7]
	v_fma_f64 v[2:3], 0xc1f00000, v[6:7], v[2:3]
	v_cvt_u32_f64_e32 v7, v[6:7]
	v_cvt_u32_f64_e32 v6, v[2:3]
	global_store_dwordx2 v[4:5], v[6:7], off
.LBB6_1909:
	s_mov_b32 s3, 0
.LBB6_1910:
	s_and_b32 vcc_lo, exec_lo, s3
	s_cbranch_vccz .LBB6_1925
; %bb.1911:
	s_cmp_lt_i32 s1, 27
	s_mov_b32 s3, -1
	s_cbranch_scc1 .LBB6_1917
; %bb.1912:
	v_cvt_u32_f64_e32 v2, v[0:1]
	s_cmp_gt_i32 s1, 27
	s_cbranch_scc0 .LBB6_1914
; %bb.1913:
	s_mov_b32 s3, 0
	global_store_dword v[4:5], v2, off
.LBB6_1914:
	s_andn2_b32 vcc_lo, exec_lo, s3
	s_cbranch_vccnz .LBB6_1916
; %bb.1915:
	global_store_short v[4:5], v2, off
.LBB6_1916:
	s_mov_b32 s3, 0
.LBB6_1917:
	s_andn2_b32 vcc_lo, exec_lo, s3
	s_cbranch_vccnz .LBB6_1925
; %bb.1918:
	v_cvt_f32_f64_e32 v2, v[0:1]
	v_mov_b32_e32 v6, 0x80
	s_mov_b32 s3, exec_lo
	v_and_b32_e32 v3, 0x7fffffff, v2
	v_cmpx_gt_u32_e32 0x43800000, v3
	s_cbranch_execz .LBB6_1924
; %bb.1919:
	v_cmp_lt_u32_e32 vcc_lo, 0x3bffffff, v3
	s_mov_b32 s5, 0
                                        ; implicit-def: $vgpr3
	s_and_saveexec_b32 s8, vcc_lo
	s_xor_b32 s8, exec_lo, s8
	s_cbranch_execz .LBB6_2068
; %bb.1920:
	v_bfe_u32 v3, v2, 20, 1
	s_mov_b32 s5, exec_lo
	v_add3_u32 v3, v2, v3, 0x487ffff
	v_lshrrev_b32_e32 v3, 20, v3
	s_andn2_saveexec_b32 s8, s8
	s_cbranch_execnz .LBB6_2069
.LBB6_1921:
	s_or_b32 exec_lo, exec_lo, s8
	v_mov_b32_e32 v6, 0
	s_and_saveexec_b32 s8, s5
.LBB6_1922:
	v_lshrrev_b32_e32 v2, 24, v2
	v_and_or_b32 v6, 0x80, v2, v3
.LBB6_1923:
	s_or_b32 exec_lo, exec_lo, s8
.LBB6_1924:
	s_or_b32 exec_lo, exec_lo, s3
	global_store_byte v[4:5], v6, off
.LBB6_1925:
	s_mov_b32 s3, 0
.LBB6_1926:
	s_and_b32 vcc_lo, exec_lo, s3
	s_cbranch_vccz .LBB6_1966
; %bb.1927:
	s_cmp_gt_i32 s1, 22
	s_mov_b32 s2, -1
	s_cbranch_scc0 .LBB6_1959
; %bb.1928:
	s_cmp_lt_i32 s1, 24
	s_cbranch_scc1 .LBB6_1948
; %bb.1929:
	s_cmp_gt_i32 s1, 24
	s_cbranch_scc0 .LBB6_1937
; %bb.1930:
	v_cvt_f32_f64_e32 v2, v[0:1]
	v_mov_b32_e32 v6, 0x80
	s_mov_b32 s2, exec_lo
	v_and_b32_e32 v3, 0x7fffffff, v2
	v_cmpx_gt_u32_e32 0x47800000, v3
	s_cbranch_execz .LBB6_1936
; %bb.1931:
	v_cmp_lt_u32_e32 vcc_lo, 0x37ffffff, v3
	s_mov_b32 s3, 0
                                        ; implicit-def: $vgpr3
	s_and_saveexec_b32 s5, vcc_lo
	s_xor_b32 s5, exec_lo, s5
	s_cbranch_execz .LBB6_2071
; %bb.1932:
	v_bfe_u32 v3, v2, 21, 1
	s_mov_b32 s3, exec_lo
	v_add3_u32 v3, v2, v3, 0x88fffff
	v_lshrrev_b32_e32 v3, 21, v3
	s_andn2_saveexec_b32 s5, s5
	s_cbranch_execnz .LBB6_2072
.LBB6_1933:
	s_or_b32 exec_lo, exec_lo, s5
	v_mov_b32_e32 v6, 0
	s_and_saveexec_b32 s5, s3
.LBB6_1934:
	v_lshrrev_b32_e32 v2, 24, v2
	v_and_or_b32 v6, 0x80, v2, v3
.LBB6_1935:
	s_or_b32 exec_lo, exec_lo, s5
.LBB6_1936:
	s_or_b32 exec_lo, exec_lo, s2
	s_mov_b32 s2, 0
	global_store_byte v[4:5], v6, off
.LBB6_1937:
	s_and_b32 vcc_lo, exec_lo, s2
	s_cbranch_vccz .LBB6_1947
; %bb.1938:
	v_cvt_f32_f64_e32 v2, v[0:1]
	s_mov_b32 s2, exec_lo
                                        ; implicit-def: $vgpr3
	v_and_b32_e32 v6, 0x7fffffff, v2
	v_cmpx_gt_u32_e32 0x43f00000, v6
	s_xor_b32 s2, exec_lo, s2
	s_cbranch_execz .LBB6_1944
; %bb.1939:
	s_mov_b32 s3, exec_lo
                                        ; implicit-def: $vgpr3
	v_cmpx_lt_u32_e32 0x3c7fffff, v6
	s_xor_b32 s3, exec_lo, s3
; %bb.1940:
	v_bfe_u32 v3, v2, 20, 1
	v_add3_u32 v3, v2, v3, 0x407ffff
	v_and_b32_e32 v6, 0xff00000, v3
	v_lshrrev_b32_e32 v3, 20, v3
	v_cmp_ne_u32_e32 vcc_lo, 0x7f00000, v6
	v_cndmask_b32_e32 v3, 0x7e, v3, vcc_lo
; %bb.1941:
	s_andn2_saveexec_b32 s3, s3
; %bb.1942:
	v_add_f32_e64 v3, 0x46800000, |v2|
; %bb.1943:
	s_or_b32 exec_lo, exec_lo, s3
                                        ; implicit-def: $vgpr6
.LBB6_1944:
	s_andn2_saveexec_b32 s2, s2
; %bb.1945:
	v_mov_b32_e32 v3, 0x7f
	v_cmp_lt_u32_e32 vcc_lo, 0x7f800000, v6
	v_cndmask_b32_e32 v3, 0x7e, v3, vcc_lo
; %bb.1946:
	s_or_b32 exec_lo, exec_lo, s2
	v_lshrrev_b32_e32 v2, 24, v2
	v_and_or_b32 v2, 0x80, v2, v3
	global_store_byte v[4:5], v2, off
.LBB6_1947:
	s_mov_b32 s2, 0
.LBB6_1948:
	s_andn2_b32 vcc_lo, exec_lo, s2
	s_cbranch_vccnz .LBB6_1958
; %bb.1949:
	v_cvt_f32_f64_e32 v2, v[0:1]
	s_mov_b32 s2, exec_lo
                                        ; implicit-def: $vgpr3
	v_and_b32_e32 v6, 0x7fffffff, v2
	v_cmpx_gt_u32_e32 0x47800000, v6
	s_xor_b32 s2, exec_lo, s2
	s_cbranch_execz .LBB6_1955
; %bb.1950:
	s_mov_b32 s3, exec_lo
                                        ; implicit-def: $vgpr3
	v_cmpx_lt_u32_e32 0x387fffff, v6
	s_xor_b32 s3, exec_lo, s3
; %bb.1951:
	v_bfe_u32 v3, v2, 21, 1
	v_add3_u32 v3, v2, v3, 0x80fffff
	v_lshrrev_b32_e32 v3, 21, v3
; %bb.1952:
	s_andn2_saveexec_b32 s3, s3
; %bb.1953:
	v_add_f32_e64 v3, 0x43000000, |v2|
; %bb.1954:
	s_or_b32 exec_lo, exec_lo, s3
                                        ; implicit-def: $vgpr6
.LBB6_1955:
	s_andn2_saveexec_b32 s2, s2
; %bb.1956:
	v_mov_b32_e32 v3, 0x7f
	v_cmp_lt_u32_e32 vcc_lo, 0x7f800000, v6
	v_cndmask_b32_e32 v3, 0x7c, v3, vcc_lo
; %bb.1957:
	s_or_b32 exec_lo, exec_lo, s2
	v_lshrrev_b32_e32 v2, 24, v2
	v_and_or_b32 v2, 0x80, v2, v3
	global_store_byte v[4:5], v2, off
.LBB6_1958:
	s_mov_b32 s2, 0
.LBB6_1959:
	s_andn2_b32 vcc_lo, exec_lo, s2
	s_mov_b32 s2, 0
	s_cbranch_vccnz .LBB6_1966
; %bb.1960:
	s_cmp_gt_i32 s1, 14
	s_mov_b32 s2, -1
	s_cbranch_scc0 .LBB6_1964
; %bb.1961:
	s_cmp_eq_u32 s1, 15
	s_mov_b32 s0, -1
	s_cbranch_scc0 .LBB6_1963
; %bb.1962:
	v_cvt_f32_f64_e32 v2, v[0:1]
	s_mov_b32 s0, 0
	v_bfe_u32 v3, v2, 16, 1
	v_cmp_o_f32_e32 vcc_lo, v2, v2
	v_add3_u32 v2, v2, v3, 0x7fff
	v_mov_b32_e32 v3, 0x7fc0
	v_cndmask_b32_sdwa v2, v3, v2, vcc_lo dst_sel:DWORD dst_unused:UNUSED_PAD src0_sel:DWORD src1_sel:WORD_1
	global_store_short v[4:5], v2, off
.LBB6_1963:
	s_mov_b32 s2, 0
.LBB6_1964:
	s_and_b32 vcc_lo, exec_lo, s2
	s_mov_b32 s2, 0
	s_cbranch_vccz .LBB6_1966
; %bb.1965:
	s_cmp_lg_u32 s1, 11
	s_mov_b32 s2, -1
	s_cselect_b32 s0, -1, 0
.LBB6_1966:
	s_and_b32 vcc_lo, exec_lo, s0
	s_cbranch_vccnz .LBB6_2070
.LBB6_1967:
	s_mov_b32 s0, 0
	s_branch .LBB6_2008
.LBB6_1968:
	s_and_b32 vcc_lo, exec_lo, s0
	s_cbranch_vccz .LBB6_1891
; %bb.1969:
	s_and_b32 s0, 0xffff, s12
	s_mov_b32 s2, -1
	s_cmp_lt_i32 s0, 5
	s_cbranch_scc1 .LBB6_1990
; %bb.1970:
	s_cmp_lt_i32 s0, 8
	s_cbranch_scc1 .LBB6_1980
; %bb.1971:
	;; [unrolled: 3-line block ×3, first 2 shown]
	s_cmp_gt_i32 s0, 9
	s_cbranch_scc0 .LBB6_1974
; %bb.1973:
	v_mov_b32_e32 v2, 0
	s_mov_b32 s2, 0
	v_mov_b32_e32 v3, v2
	global_store_dwordx4 v[4:5], v[0:3], off
.LBB6_1974:
	s_andn2_b32 vcc_lo, exec_lo, s2
	s_cbranch_vccnz .LBB6_1976
; %bb.1975:
	v_cvt_f32_f64_e32 v2, v[0:1]
	v_mov_b32_e32 v3, 0
	global_store_dwordx2 v[4:5], v[2:3], off
.LBB6_1976:
	s_mov_b32 s2, 0
.LBB6_1977:
	s_andn2_b32 vcc_lo, exec_lo, s2
	s_cbranch_vccnz .LBB6_1979
; %bb.1978:
	v_and_or_b32 v2, 0x1ff, v1, v0
	v_lshrrev_b32_e32 v3, 8, v1
	v_bfe_u32 v7, v1, 20, 11
	v_cmp_ne_u32_e32 vcc_lo, 0, v2
	v_sub_nc_u32_e32 v10, 0x3f1, v7
	v_add_nc_u32_e32 v7, 0xfffffc10, v7
	v_cndmask_b32_e64 v2, 0, 1, vcc_lo
	v_and_or_b32 v2, 0xffe, v3, v2
	v_med3_i32 v3, v10, 0, 13
	v_or_b32_e32 v10, 0x1000, v2
	v_lshrrev_b32_e32 v11, v3, v10
	v_lshlrev_b32_e32 v3, v3, v11
	v_cmp_ne_u32_e32 vcc_lo, v3, v10
	v_lshl_or_b32 v10, v7, 12, v2
	v_cndmask_b32_e64 v3, 0, 1, vcc_lo
	v_cmp_gt_i32_e32 vcc_lo, 1, v7
	v_or_b32_e32 v3, v11, v3
	v_cndmask_b32_e32 v3, v10, v3, vcc_lo
	v_and_b32_e32 v10, 7, v3
	v_lshrrev_b32_e32 v3, 2, v3
	v_cmp_lt_i32_e32 vcc_lo, 5, v10
	v_cndmask_b32_e64 v11, 0, 1, vcc_lo
	v_cmp_eq_u32_e32 vcc_lo, 3, v10
	v_cndmask_b32_e64 v10, 0, 1, vcc_lo
	v_cmp_ne_u32_e32 vcc_lo, 0, v2
	v_or_b32_e32 v10, v10, v11
	v_mov_b32_e32 v11, 0x7e00
	v_add_nc_u32_e32 v3, v3, v10
	v_cndmask_b32_e32 v2, 0x7c00, v11, vcc_lo
	v_cmp_gt_i32_e32 vcc_lo, 31, v7
	v_cndmask_b32_e32 v3, 0x7c00, v3, vcc_lo
	v_cmp_eq_u32_e32 vcc_lo, 0x40f, v7
	v_cndmask_b32_e32 v2, v3, v2, vcc_lo
	v_lshrrev_b32_e32 v3, 16, v1
	v_and_or_b32 v2, 0x8000, v3, v2
	v_and_b32_e32 v2, 0xffff, v2
	global_store_dword v[4:5], v2, off
.LBB6_1979:
	s_mov_b32 s2, 0
.LBB6_1980:
	s_andn2_b32 vcc_lo, exec_lo, s2
	s_cbranch_vccnz .LBB6_1989
; %bb.1981:
	s_cmp_lt_i32 s0, 6
	s_mov_b32 s2, -1
	s_cbranch_scc1 .LBB6_1987
; %bb.1982:
	s_cmp_gt_i32 s0, 6
	s_cbranch_scc0 .LBB6_1984
; %bb.1983:
	s_mov_b32 s2, 0
	global_store_dwordx2 v[4:5], v[0:1], off
.LBB6_1984:
	s_andn2_b32 vcc_lo, exec_lo, s2
	s_cbranch_vccnz .LBB6_1986
; %bb.1985:
	v_cvt_f32_f64_e32 v2, v[0:1]
	global_store_dword v[4:5], v2, off
.LBB6_1986:
	s_mov_b32 s2, 0
.LBB6_1987:
	s_andn2_b32 vcc_lo, exec_lo, s2
	s_cbranch_vccnz .LBB6_1989
; %bb.1988:
	v_and_or_b32 v2, 0x1ff, v1, v0
	v_lshrrev_b32_e32 v3, 8, v1
	v_bfe_u32 v7, v1, 20, 11
	v_cmp_ne_u32_e32 vcc_lo, 0, v2
	v_sub_nc_u32_e32 v10, 0x3f1, v7
	v_add_nc_u32_e32 v7, 0xfffffc10, v7
	v_cndmask_b32_e64 v2, 0, 1, vcc_lo
	v_and_or_b32 v2, 0xffe, v3, v2
	v_med3_i32 v3, v10, 0, 13
	v_or_b32_e32 v10, 0x1000, v2
	v_lshrrev_b32_e32 v11, v3, v10
	v_lshlrev_b32_e32 v3, v3, v11
	v_cmp_ne_u32_e32 vcc_lo, v3, v10
	v_lshl_or_b32 v10, v7, 12, v2
	v_cndmask_b32_e64 v3, 0, 1, vcc_lo
	v_cmp_gt_i32_e32 vcc_lo, 1, v7
	v_or_b32_e32 v3, v11, v3
	v_cndmask_b32_e32 v3, v10, v3, vcc_lo
	v_and_b32_e32 v10, 7, v3
	v_lshrrev_b32_e32 v3, 2, v3
	v_cmp_lt_i32_e32 vcc_lo, 5, v10
	v_cndmask_b32_e64 v11, 0, 1, vcc_lo
	v_cmp_eq_u32_e32 vcc_lo, 3, v10
	v_cndmask_b32_e64 v10, 0, 1, vcc_lo
	v_cmp_ne_u32_e32 vcc_lo, 0, v2
	v_or_b32_e32 v10, v10, v11
	v_mov_b32_e32 v11, 0x7e00
	v_add_nc_u32_e32 v3, v3, v10
	v_cndmask_b32_e32 v2, 0x7c00, v11, vcc_lo
	v_cmp_gt_i32_e32 vcc_lo, 31, v7
	v_cndmask_b32_e32 v3, 0x7c00, v3, vcc_lo
	v_cmp_eq_u32_e32 vcc_lo, 0x40f, v7
	v_cndmask_b32_e32 v2, v3, v2, vcc_lo
	v_lshrrev_b32_e32 v3, 16, v1
	v_and_or_b32 v2, 0x8000, v3, v2
	global_store_short v[4:5], v2, off
.LBB6_1989:
	s_mov_b32 s2, 0
.LBB6_1990:
	s_andn2_b32 vcc_lo, exec_lo, s2
	s_cbranch_vccnz .LBB6_2006
; %bb.1991:
	s_cmp_lt_i32 s0, 2
	s_mov_b32 s2, -1
	s_cbranch_scc1 .LBB6_2001
; %bb.1992:
	s_cmp_lt_i32 s0, 3
	s_cbranch_scc1 .LBB6_1998
; %bb.1993:
	s_cmp_gt_i32 s0, 3
	s_cbranch_scc0 .LBB6_1995
; %bb.1994:
	v_trunc_f64_e32 v[2:3], v[0:1]
	s_mov_b32 s2, 0
	v_ldexp_f64 v[10:11], v[2:3], 0xffffffe0
	v_floor_f64_e32 v[10:11], v[10:11]
	v_fma_f64 v[2:3], 0xc1f00000, v[10:11], v[2:3]
	v_cvt_i32_f64_e32 v11, v[10:11]
	v_cvt_u32_f64_e32 v10, v[2:3]
	global_store_dwordx2 v[4:5], v[10:11], off
.LBB6_1995:
	s_andn2_b32 vcc_lo, exec_lo, s2
	s_cbranch_vccnz .LBB6_1997
; %bb.1996:
	v_cvt_i32_f64_e32 v2, v[0:1]
	global_store_dword v[4:5], v2, off
.LBB6_1997:
	s_mov_b32 s2, 0
.LBB6_1998:
	s_andn2_b32 vcc_lo, exec_lo, s2
	s_cbranch_vccnz .LBB6_2000
; %bb.1999:
	v_cvt_i32_f64_e32 v2, v[0:1]
	global_store_short v[4:5], v2, off
.LBB6_2000:
	s_mov_b32 s2, 0
.LBB6_2001:
	s_andn2_b32 vcc_lo, exec_lo, s2
	s_cbranch_vccnz .LBB6_2006
; %bb.2002:
	s_cmp_gt_i32 s0, 0
	s_mov_b32 s0, -1
	s_cbranch_scc0 .LBB6_2004
; %bb.2003:
	v_cvt_i32_f64_e32 v2, v[0:1]
	s_mov_b32 s0, 0
	global_store_byte v[4:5], v2, off
.LBB6_2004:
	s_andn2_b32 vcc_lo, exec_lo, s0
	s_cbranch_vccnz .LBB6_2006
; %bb.2005:
	v_trunc_f64_e32 v[0:1], v[0:1]
	v_ldexp_f64 v[2:3], v[0:1], 0xffffffe0
	v_floor_f64_e32 v[2:3], v[2:3]
	v_fma_f64 v[0:1], 0xc1f00000, v[2:3], v[0:1]
	v_cvt_u32_f64_e32 v0, v[0:1]
	global_store_byte v[4:5], v0, off
.LBB6_2006:
	s_branch .LBB6_1892
.LBB6_2007:
	s_mov_b32 s0, 0
	s_mov_b32 s2, 0
                                        ; implicit-def: $sgpr12
                                        ; implicit-def: $vgpr4_vgpr5
                                        ; implicit-def: $vgpr0_vgpr1
.LBB6_2008:
	s_andn2_b32 s1, s7, exec_lo
	s_and_b32 s3, s4, exec_lo
	s_and_b32 s0, s0, exec_lo
	s_and_b32 s4, s2, exec_lo
	s_or_b32 s7, s1, s3
.LBB6_2009:
	s_or_b32 exec_lo, exec_lo, s6
	s_and_saveexec_b32 s1, s7
	s_cbranch_execz .LBB6_2012
; %bb.2010:
	; divergent unreachable
	s_or_b32 exec_lo, exec_lo, s1
	s_and_saveexec_b32 s1, s4
	s_xor_b32 s1, exec_lo, s1
	s_cbranch_execnz .LBB6_2013
.LBB6_2011:
	s_or_b32 exec_lo, exec_lo, s1
	s_and_saveexec_b32 s1, s0
	s_cbranch_execnz .LBB6_2014
	s_branch .LBB6_2051
.LBB6_2012:
	s_or_b32 exec_lo, exec_lo, s1
	s_and_saveexec_b32 s1, s4
	s_xor_b32 s1, exec_lo, s1
	s_cbranch_execz .LBB6_2011
.LBB6_2013:
	s_waitcnt vmcnt(0)
	v_cmp_neq_f64_e32 vcc_lo, 0, v[0:1]
	v_cndmask_b32_e64 v2, 0, 1, vcc_lo
	global_store_byte v[4:5], v2, off
	s_or_b32 exec_lo, exec_lo, s1
	s_and_saveexec_b32 s1, s0
	s_cbranch_execz .LBB6_2051
.LBB6_2014:
	s_sext_i32_i16 s1, s12
	s_mov_b32 s0, -1
	s_cmp_lt_i32 s1, 5
	s_cbranch_scc1 .LBB6_2035
; %bb.2015:
	s_cmp_lt_i32 s1, 8
	s_cbranch_scc1 .LBB6_2025
; %bb.2016:
	;; [unrolled: 3-line block ×3, first 2 shown]
	s_cmp_gt_i32 s1, 9
	s_cbranch_scc0 .LBB6_2019
; %bb.2018:
	s_waitcnt vmcnt(0)
	v_mov_b32_e32 v2, 0
	s_mov_b32 s0, 0
	v_mov_b32_e32 v3, v2
	global_store_dwordx4 v[4:5], v[0:3], off
.LBB6_2019:
	s_andn2_b32 vcc_lo, exec_lo, s0
	s_cbranch_vccnz .LBB6_2021
; %bb.2020:
	s_waitcnt vmcnt(0)
	v_cvt_f32_f64_e32 v2, v[0:1]
	v_mov_b32_e32 v3, 0
	global_store_dwordx2 v[4:5], v[2:3], off
.LBB6_2021:
	s_mov_b32 s0, 0
.LBB6_2022:
	s_andn2_b32 vcc_lo, exec_lo, s0
	s_cbranch_vccnz .LBB6_2024
; %bb.2023:
	s_waitcnt vmcnt(0)
	v_and_or_b32 v2, 0x1ff, v1, v0
	v_lshrrev_b32_e32 v3, 8, v1
	v_bfe_u32 v6, v1, 20, 11
	v_cmp_ne_u32_e32 vcc_lo, 0, v2
	v_sub_nc_u32_e32 v7, 0x3f1, v6
	v_add_nc_u32_e32 v6, 0xfffffc10, v6
	v_cndmask_b32_e64 v2, 0, 1, vcc_lo
	v_and_or_b32 v2, 0xffe, v3, v2
	v_med3_i32 v3, v7, 0, 13
	v_or_b32_e32 v7, 0x1000, v2
	v_lshrrev_b32_e32 v8, v3, v7
	v_lshlrev_b32_e32 v3, v3, v8
	v_cmp_ne_u32_e32 vcc_lo, v3, v7
	v_lshl_or_b32 v7, v6, 12, v2
	v_cndmask_b32_e64 v3, 0, 1, vcc_lo
	v_cmp_gt_i32_e32 vcc_lo, 1, v6
	v_or_b32_e32 v3, v8, v3
	v_cndmask_b32_e32 v3, v7, v3, vcc_lo
	v_and_b32_e32 v7, 7, v3
	v_lshrrev_b32_e32 v3, 2, v3
	v_cmp_lt_i32_e32 vcc_lo, 5, v7
	v_cndmask_b32_e64 v8, 0, 1, vcc_lo
	v_cmp_eq_u32_e32 vcc_lo, 3, v7
	v_cndmask_b32_e64 v7, 0, 1, vcc_lo
	v_cmp_ne_u32_e32 vcc_lo, 0, v2
	v_or_b32_e32 v7, v7, v8
	v_mov_b32_e32 v8, 0x7e00
	v_add_nc_u32_e32 v3, v3, v7
	v_cndmask_b32_e32 v2, 0x7c00, v8, vcc_lo
	v_cmp_gt_i32_e32 vcc_lo, 31, v6
	v_cndmask_b32_e32 v3, 0x7c00, v3, vcc_lo
	v_cmp_eq_u32_e32 vcc_lo, 0x40f, v6
	v_cndmask_b32_e32 v2, v3, v2, vcc_lo
	v_lshrrev_b32_e32 v3, 16, v1
	v_and_or_b32 v2, 0x8000, v3, v2
	v_and_b32_e32 v2, 0xffff, v2
	global_store_dword v[4:5], v2, off
.LBB6_2024:
	s_mov_b32 s0, 0
.LBB6_2025:
	s_andn2_b32 vcc_lo, exec_lo, s0
	s_cbranch_vccnz .LBB6_2034
; %bb.2026:
	s_sext_i32_i16 s1, s12
	s_mov_b32 s0, -1
	s_cmp_lt_i32 s1, 6
	s_cbranch_scc1 .LBB6_2032
; %bb.2027:
	s_cmp_gt_i32 s1, 6
	s_cbranch_scc0 .LBB6_2029
; %bb.2028:
	s_mov_b32 s0, 0
	s_waitcnt vmcnt(0)
	global_store_dwordx2 v[4:5], v[0:1], off
.LBB6_2029:
	s_andn2_b32 vcc_lo, exec_lo, s0
	s_cbranch_vccnz .LBB6_2031
; %bb.2030:
	s_waitcnt vmcnt(0)
	v_cvt_f32_f64_e32 v2, v[0:1]
	global_store_dword v[4:5], v2, off
.LBB6_2031:
	s_mov_b32 s0, 0
.LBB6_2032:
	s_andn2_b32 vcc_lo, exec_lo, s0
	s_cbranch_vccnz .LBB6_2034
; %bb.2033:
	s_waitcnt vmcnt(0)
	v_and_or_b32 v2, 0x1ff, v1, v0
	v_lshrrev_b32_e32 v3, 8, v1
	v_bfe_u32 v6, v1, 20, 11
	v_cmp_ne_u32_e32 vcc_lo, 0, v2
	v_sub_nc_u32_e32 v7, 0x3f1, v6
	v_add_nc_u32_e32 v6, 0xfffffc10, v6
	v_cndmask_b32_e64 v2, 0, 1, vcc_lo
	v_and_or_b32 v2, 0xffe, v3, v2
	v_med3_i32 v3, v7, 0, 13
	v_or_b32_e32 v7, 0x1000, v2
	v_lshrrev_b32_e32 v8, v3, v7
	v_lshlrev_b32_e32 v3, v3, v8
	v_cmp_ne_u32_e32 vcc_lo, v3, v7
	v_lshl_or_b32 v7, v6, 12, v2
	v_cndmask_b32_e64 v3, 0, 1, vcc_lo
	v_cmp_gt_i32_e32 vcc_lo, 1, v6
	v_or_b32_e32 v3, v8, v3
	v_cndmask_b32_e32 v3, v7, v3, vcc_lo
	v_and_b32_e32 v7, 7, v3
	v_lshrrev_b32_e32 v3, 2, v3
	v_cmp_lt_i32_e32 vcc_lo, 5, v7
	v_cndmask_b32_e64 v8, 0, 1, vcc_lo
	v_cmp_eq_u32_e32 vcc_lo, 3, v7
	v_cndmask_b32_e64 v7, 0, 1, vcc_lo
	v_cmp_ne_u32_e32 vcc_lo, 0, v2
	v_or_b32_e32 v7, v7, v8
	v_mov_b32_e32 v8, 0x7e00
	v_add_nc_u32_e32 v3, v3, v7
	v_cndmask_b32_e32 v2, 0x7c00, v8, vcc_lo
	v_cmp_gt_i32_e32 vcc_lo, 31, v6
	v_cndmask_b32_e32 v3, 0x7c00, v3, vcc_lo
	v_cmp_eq_u32_e32 vcc_lo, 0x40f, v6
	v_cndmask_b32_e32 v2, v3, v2, vcc_lo
	v_lshrrev_b32_e32 v3, 16, v1
	v_and_or_b32 v2, 0x8000, v3, v2
	global_store_short v[4:5], v2, off
.LBB6_2034:
	s_mov_b32 s0, 0
.LBB6_2035:
	s_andn2_b32 vcc_lo, exec_lo, s0
	s_cbranch_vccnz .LBB6_2051
; %bb.2036:
	s_sext_i32_i16 s1, s12
	s_mov_b32 s0, -1
	s_cmp_lt_i32 s1, 2
	s_cbranch_scc1 .LBB6_2046
; %bb.2037:
	s_cmp_lt_i32 s1, 3
	s_cbranch_scc1 .LBB6_2043
; %bb.2038:
	s_cmp_gt_i32 s1, 3
	s_cbranch_scc0 .LBB6_2040
; %bb.2039:
	s_waitcnt vmcnt(0)
	v_trunc_f64_e32 v[2:3], v[0:1]
	s_mov_b32 s0, 0
	v_ldexp_f64 v[6:7], v[2:3], 0xffffffe0
	v_floor_f64_e32 v[6:7], v[6:7]
	v_fma_f64 v[2:3], 0xc1f00000, v[6:7], v[2:3]
	v_cvt_i32_f64_e32 v7, v[6:7]
	v_cvt_u32_f64_e32 v6, v[2:3]
	global_store_dwordx2 v[4:5], v[6:7], off
.LBB6_2040:
	s_andn2_b32 vcc_lo, exec_lo, s0
	s_cbranch_vccnz .LBB6_2042
; %bb.2041:
	s_waitcnt vmcnt(0)
	v_cvt_i32_f64_e32 v2, v[0:1]
	global_store_dword v[4:5], v2, off
.LBB6_2042:
	s_mov_b32 s0, 0
.LBB6_2043:
	s_andn2_b32 vcc_lo, exec_lo, s0
	s_cbranch_vccnz .LBB6_2045
; %bb.2044:
	s_waitcnt vmcnt(0)
	v_cvt_i32_f64_e32 v2, v[0:1]
	global_store_short v[4:5], v2, off
.LBB6_2045:
	s_mov_b32 s0, 0
.LBB6_2046:
	s_andn2_b32 vcc_lo, exec_lo, s0
	s_cbranch_vccnz .LBB6_2051
; %bb.2047:
	s_sext_i32_i16 s0, s12
	s_cmp_gt_i32 s0, 0
	s_mov_b32 s0, -1
	s_cbranch_scc0 .LBB6_2049
; %bb.2048:
	s_waitcnt vmcnt(0)
	v_cvt_i32_f64_e32 v2, v[0:1]
	s_mov_b32 s0, 0
	global_store_byte v[4:5], v2, off
.LBB6_2049:
	s_andn2_b32 vcc_lo, exec_lo, s0
	s_cbranch_vccnz .LBB6_2051
; %bb.2050:
	s_waitcnt vmcnt(0)
	v_trunc_f64_e32 v[0:1], v[0:1]
	v_ldexp_f64 v[2:3], v[0:1], 0xffffffe0
	v_floor_f64_e32 v[2:3], v[2:3]
	v_fma_f64 v[0:1], 0xc1f00000, v[2:3], v[0:1]
	v_cvt_u32_f64_e32 v0, v[0:1]
	global_store_byte v[4:5], v0, off
	s_endpgm
.LBB6_2051:
	s_endpgm
.LBB6_2052:
	s_or_b32 s4, s4, exec_lo
	s_trap 2
	s_cbranch_execz .LBB6_1521
	s_branch .LBB6_1522
.LBB6_2053:
	s_andn2_saveexec_b32 s11, s11
	s_cbranch_execz .LBB6_1605
.LBB6_2054:
	v_add_f32_e64 v3, 0x46000000, |v2|
	s_andn2_b32 s10, s10, exec_lo
	v_and_b32_e32 v3, 0xff, v3
	v_cmp_ne_u32_e32 vcc_lo, 0, v3
	s_and_b32 s13, vcc_lo, exec_lo
	s_or_b32 s10, s10, s13
	s_or_b32 exec_lo, exec_lo, s11
	v_mov_b32_e32 v25, 0
	s_and_saveexec_b32 s11, s10
	s_cbranch_execnz .LBB6_1606
	s_branch .LBB6_1607
.LBB6_2055:
	s_or_b32 s4, s4, exec_lo
	s_trap 2
	s_cbranch_execz .LBB6_1653
	s_branch .LBB6_1654
.LBB6_2056:
	s_andn2_saveexec_b32 s10, s10
	s_cbranch_execz .LBB6_1618
.LBB6_2057:
	v_add_f32_e64 v3, 0x42800000, |v2|
	s_andn2_b32 s5, s5, exec_lo
	v_and_b32_e32 v3, 0xff, v3
	v_cmp_ne_u32_e32 vcc_lo, 0, v3
	s_and_b32 s11, vcc_lo, exec_lo
	s_or_b32 s5, s5, s11
	s_or_b32 exec_lo, exec_lo, s10
	v_mov_b32_e32 v25, 0
	s_and_saveexec_b32 s10, s5
	s_cbranch_execnz .LBB6_1619
	s_branch .LBB6_1620
.LBB6_2058:
	s_andn2_saveexec_b32 s11, s11
	s_cbranch_execz .LBB6_1723
.LBB6_2059:
	v_add_f32_e64 v3, 0x46000000, |v2|
	s_andn2_b32 s10, s10, exec_lo
	v_and_b32_e32 v3, 0xff, v3
	v_cmp_ne_u32_e32 vcc_lo, 0, v3
	s_and_b32 s13, vcc_lo, exec_lo
	s_or_b32 s10, s10, s13
	s_or_b32 exec_lo, exec_lo, s11
	v_mov_b32_e32 v11, 0
	s_and_saveexec_b32 s11, s10
	s_cbranch_execnz .LBB6_1724
	s_branch .LBB6_1725
.LBB6_2060:
	s_or_b32 s4, s4, exec_lo
	s_trap 2
	s_cbranch_execz .LBB6_1771
	s_branch .LBB6_1772
.LBB6_2061:
	s_andn2_saveexec_b32 s10, s10
	s_cbranch_execz .LBB6_1736
.LBB6_2062:
	v_add_f32_e64 v3, 0x42800000, |v2|
	s_andn2_b32 s5, s5, exec_lo
	v_and_b32_e32 v3, 0xff, v3
	v_cmp_ne_u32_e32 vcc_lo, 0, v3
	s_and_b32 s11, vcc_lo, exec_lo
	s_or_b32 s5, s5, s11
	s_or_b32 exec_lo, exec_lo, s10
	v_mov_b32_e32 v11, 0
	s_and_saveexec_b32 s10, s5
	s_cbranch_execnz .LBB6_1737
	s_branch .LBB6_1738
.LBB6_2063:
	s_andn2_saveexec_b32 s11, s11
	s_cbranch_execz .LBB6_1841
.LBB6_2064:
	v_add_f32_e64 v3, 0x46000000, |v2|
	s_andn2_b32 s10, s10, exec_lo
	v_and_b32_e32 v3, 0xff, v3
	v_cmp_ne_u32_e32 vcc_lo, 0, v3
	s_and_b32 s13, vcc_lo, exec_lo
	s_or_b32 s10, s10, s13
	s_or_b32 exec_lo, exec_lo, s11
	v_mov_b32_e32 v7, 0
	s_and_saveexec_b32 s11, s10
	s_cbranch_execnz .LBB6_1842
	s_branch .LBB6_1843
.LBB6_2065:
	s_or_b32 s4, s4, exec_lo
	s_trap 2
	s_cbranch_execz .LBB6_1889
	s_branch .LBB6_1890
.LBB6_2066:
	s_andn2_saveexec_b32 s10, s10
	s_cbranch_execz .LBB6_1854
.LBB6_2067:
	v_add_f32_e64 v3, 0x42800000, |v2|
	s_andn2_b32 s5, s5, exec_lo
	v_and_b32_e32 v3, 0xff, v3
	v_cmp_ne_u32_e32 vcc_lo, 0, v3
	s_and_b32 s11, vcc_lo, exec_lo
	s_or_b32 s5, s5, s11
	s_or_b32 exec_lo, exec_lo, s10
	v_mov_b32_e32 v7, 0
	s_and_saveexec_b32 s10, s5
	s_cbranch_execnz .LBB6_1855
	s_branch .LBB6_1856
.LBB6_2068:
	s_andn2_saveexec_b32 s8, s8
	s_cbranch_execz .LBB6_1921
.LBB6_2069:
	v_add_f32_e64 v3, 0x46000000, |v2|
	s_andn2_b32 s5, s5, exec_lo
	v_and_b32_e32 v3, 0xff, v3
	v_cmp_ne_u32_e32 vcc_lo, 0, v3
	s_and_b32 s9, vcc_lo, exec_lo
	s_or_b32 s5, s5, s9
	s_or_b32 exec_lo, exec_lo, s8
	v_mov_b32_e32 v6, 0
	s_and_saveexec_b32 s8, s5
	s_cbranch_execnz .LBB6_1922
	s_branch .LBB6_1923
.LBB6_2070:
	s_mov_b32 s2, 0
	s_or_b32 s4, s4, exec_lo
	s_trap 2
	s_branch .LBB6_1967
.LBB6_2071:
	s_andn2_saveexec_b32 s5, s5
	s_cbranch_execz .LBB6_1933
.LBB6_2072:
	v_add_f32_e64 v3, 0x42800000, |v2|
	s_andn2_b32 s3, s3, exec_lo
	v_and_b32_e32 v3, 0xff, v3
	v_cmp_ne_u32_e32 vcc_lo, 0, v3
	s_and_b32 s8, vcc_lo, exec_lo
	s_or_b32 s3, s3, s8
	s_or_b32 exec_lo, exec_lo, s5
	v_mov_b32_e32 v6, 0
	s_and_saveexec_b32 s5, s3
	s_cbranch_execnz .LBB6_1934
	s_branch .LBB6_1935
	.section	.rodata,"a",@progbits
	.p2align	6, 0x0
	.amdhsa_kernel _ZN2at6native32elementwise_kernel_manual_unrollILi128ELi4EZNS0_15gpu_kernel_implIZZZNS0_15sin_kernel_cudaERNS_18TensorIteratorBaseEENKUlvE0_clEvENKUlvE_clEvEUldE_EEvS4_RKT_EUlibE_EEviT1_
		.amdhsa_group_segment_fixed_size 0
		.amdhsa_private_segment_fixed_size 0
		.amdhsa_kernarg_size 40
		.amdhsa_user_sgpr_count 6
		.amdhsa_user_sgpr_private_segment_buffer 1
		.amdhsa_user_sgpr_dispatch_ptr 0
		.amdhsa_user_sgpr_queue_ptr 0
		.amdhsa_user_sgpr_kernarg_segment_ptr 1
		.amdhsa_user_sgpr_dispatch_id 0
		.amdhsa_user_sgpr_flat_scratch_init 0
		.amdhsa_user_sgpr_private_segment_size 0
		.amdhsa_wavefront_size32 1
		.amdhsa_uses_dynamic_stack 0
		.amdhsa_system_sgpr_private_segment_wavefront_offset 0
		.amdhsa_system_sgpr_workgroup_id_x 1
		.amdhsa_system_sgpr_workgroup_id_y 0
		.amdhsa_system_sgpr_workgroup_id_z 0
		.amdhsa_system_sgpr_workgroup_info 0
		.amdhsa_system_vgpr_workitem_id 0
		.amdhsa_next_free_vgpr 55
		.amdhsa_next_free_sgpr 26
		.amdhsa_reserve_vcc 1
		.amdhsa_reserve_flat_scratch 0
		.amdhsa_float_round_mode_32 0
		.amdhsa_float_round_mode_16_64 0
		.amdhsa_float_denorm_mode_32 3
		.amdhsa_float_denorm_mode_16_64 3
		.amdhsa_dx10_clamp 1
		.amdhsa_ieee_mode 1
		.amdhsa_fp16_overflow 0
		.amdhsa_workgroup_processor_mode 1
		.amdhsa_memory_ordered 1
		.amdhsa_forward_progress 1
		.amdhsa_shared_vgpr_count 0
		.amdhsa_exception_fp_ieee_invalid_op 0
		.amdhsa_exception_fp_denorm_src 0
		.amdhsa_exception_fp_ieee_div_zero 0
		.amdhsa_exception_fp_ieee_overflow 0
		.amdhsa_exception_fp_ieee_underflow 0
		.amdhsa_exception_fp_ieee_inexact 0
		.amdhsa_exception_int_div_zero 0
	.end_amdhsa_kernel
	.section	.text._ZN2at6native32elementwise_kernel_manual_unrollILi128ELi4EZNS0_15gpu_kernel_implIZZZNS0_15sin_kernel_cudaERNS_18TensorIteratorBaseEENKUlvE0_clEvENKUlvE_clEvEUldE_EEvS4_RKT_EUlibE_EEviT1_,"axG",@progbits,_ZN2at6native32elementwise_kernel_manual_unrollILi128ELi4EZNS0_15gpu_kernel_implIZZZNS0_15sin_kernel_cudaERNS_18TensorIteratorBaseEENKUlvE0_clEvENKUlvE_clEvEUldE_EEvS4_RKT_EUlibE_EEviT1_,comdat
.Lfunc_end6:
	.size	_ZN2at6native32elementwise_kernel_manual_unrollILi128ELi4EZNS0_15gpu_kernel_implIZZZNS0_15sin_kernel_cudaERNS_18TensorIteratorBaseEENKUlvE0_clEvENKUlvE_clEvEUldE_EEvS4_RKT_EUlibE_EEviT1_, .Lfunc_end6-_ZN2at6native32elementwise_kernel_manual_unrollILi128ELi4EZNS0_15gpu_kernel_implIZZZNS0_15sin_kernel_cudaERNS_18TensorIteratorBaseEENKUlvE0_clEvENKUlvE_clEvEUldE_EEvS4_RKT_EUlibE_EEviT1_
                                        ; -- End function
	.set _ZN2at6native32elementwise_kernel_manual_unrollILi128ELi4EZNS0_15gpu_kernel_implIZZZNS0_15sin_kernel_cudaERNS_18TensorIteratorBaseEENKUlvE0_clEvENKUlvE_clEvEUldE_EEvS4_RKT_EUlibE_EEviT1_.num_vgpr, 55
	.set _ZN2at6native32elementwise_kernel_manual_unrollILi128ELi4EZNS0_15gpu_kernel_implIZZZNS0_15sin_kernel_cudaERNS_18TensorIteratorBaseEENKUlvE0_clEvENKUlvE_clEvEUldE_EEvS4_RKT_EUlibE_EEviT1_.num_agpr, 0
	.set _ZN2at6native32elementwise_kernel_manual_unrollILi128ELi4EZNS0_15gpu_kernel_implIZZZNS0_15sin_kernel_cudaERNS_18TensorIteratorBaseEENKUlvE0_clEvENKUlvE_clEvEUldE_EEvS4_RKT_EUlibE_EEviT1_.numbered_sgpr, 26
	.set _ZN2at6native32elementwise_kernel_manual_unrollILi128ELi4EZNS0_15gpu_kernel_implIZZZNS0_15sin_kernel_cudaERNS_18TensorIteratorBaseEENKUlvE0_clEvENKUlvE_clEvEUldE_EEvS4_RKT_EUlibE_EEviT1_.num_named_barrier, 0
	.set _ZN2at6native32elementwise_kernel_manual_unrollILi128ELi4EZNS0_15gpu_kernel_implIZZZNS0_15sin_kernel_cudaERNS_18TensorIteratorBaseEENKUlvE0_clEvENKUlvE_clEvEUldE_EEvS4_RKT_EUlibE_EEviT1_.private_seg_size, 0
	.set _ZN2at6native32elementwise_kernel_manual_unrollILi128ELi4EZNS0_15gpu_kernel_implIZZZNS0_15sin_kernel_cudaERNS_18TensorIteratorBaseEENKUlvE0_clEvENKUlvE_clEvEUldE_EEvS4_RKT_EUlibE_EEviT1_.uses_vcc, 1
	.set _ZN2at6native32elementwise_kernel_manual_unrollILi128ELi4EZNS0_15gpu_kernel_implIZZZNS0_15sin_kernel_cudaERNS_18TensorIteratorBaseEENKUlvE0_clEvENKUlvE_clEvEUldE_EEvS4_RKT_EUlibE_EEviT1_.uses_flat_scratch, 0
	.set _ZN2at6native32elementwise_kernel_manual_unrollILi128ELi4EZNS0_15gpu_kernel_implIZZZNS0_15sin_kernel_cudaERNS_18TensorIteratorBaseEENKUlvE0_clEvENKUlvE_clEvEUldE_EEvS4_RKT_EUlibE_EEviT1_.has_dyn_sized_stack, 0
	.set _ZN2at6native32elementwise_kernel_manual_unrollILi128ELi4EZNS0_15gpu_kernel_implIZZZNS0_15sin_kernel_cudaERNS_18TensorIteratorBaseEENKUlvE0_clEvENKUlvE_clEvEUldE_EEvS4_RKT_EUlibE_EEviT1_.has_recursion, 0
	.set _ZN2at6native32elementwise_kernel_manual_unrollILi128ELi4EZNS0_15gpu_kernel_implIZZZNS0_15sin_kernel_cudaERNS_18TensorIteratorBaseEENKUlvE0_clEvENKUlvE_clEvEUldE_EEvS4_RKT_EUlibE_EEviT1_.has_indirect_call, 0
	.section	.AMDGPU.csdata,"",@progbits
; Kernel info:
; codeLenInByte = 44464
; TotalNumSgprs: 28
; NumVgprs: 55
; ScratchSize: 0
; MemoryBound: 1
; FloatMode: 240
; IeeeMode: 1
; LDSByteSize: 0 bytes/workgroup (compile time only)
; SGPRBlocks: 0
; VGPRBlocks: 6
; NumSGPRsForWavesPerEU: 28
; NumVGPRsForWavesPerEU: 55
; Occupancy: 16
; WaveLimiterHint : 0
; COMPUTE_PGM_RSRC2:SCRATCH_EN: 0
; COMPUTE_PGM_RSRC2:USER_SGPR: 6
; COMPUTE_PGM_RSRC2:TRAP_HANDLER: 0
; COMPUTE_PGM_RSRC2:TGID_X_EN: 1
; COMPUTE_PGM_RSRC2:TGID_Y_EN: 0
; COMPUTE_PGM_RSRC2:TGID_Z_EN: 0
; COMPUTE_PGM_RSRC2:TIDIG_COMP_CNT: 0
	.section	.text._ZN2at6native32elementwise_kernel_manual_unrollILi128ELi4EZNS0_15gpu_kernel_implIZZZNS0_15sin_kernel_cudaERNS_18TensorIteratorBaseEENKUlvE0_clEvENKUlvE_clEvEUldE_EEvS4_RKT_EUlibE0_EEviT1_,"axG",@progbits,_ZN2at6native32elementwise_kernel_manual_unrollILi128ELi4EZNS0_15gpu_kernel_implIZZZNS0_15sin_kernel_cudaERNS_18TensorIteratorBaseEENKUlvE0_clEvENKUlvE_clEvEUldE_EEvS4_RKT_EUlibE0_EEviT1_,comdat
	.globl	_ZN2at6native32elementwise_kernel_manual_unrollILi128ELi4EZNS0_15gpu_kernel_implIZZZNS0_15sin_kernel_cudaERNS_18TensorIteratorBaseEENKUlvE0_clEvENKUlvE_clEvEUldE_EEvS4_RKT_EUlibE0_EEviT1_ ; -- Begin function _ZN2at6native32elementwise_kernel_manual_unrollILi128ELi4EZNS0_15gpu_kernel_implIZZZNS0_15sin_kernel_cudaERNS_18TensorIteratorBaseEENKUlvE0_clEvENKUlvE_clEvEUldE_EEvS4_RKT_EUlibE0_EEviT1_
	.p2align	8
	.type	_ZN2at6native32elementwise_kernel_manual_unrollILi128ELi4EZNS0_15gpu_kernel_implIZZZNS0_15sin_kernel_cudaERNS_18TensorIteratorBaseEENKUlvE0_clEvENKUlvE_clEvEUldE_EEvS4_RKT_EUlibE0_EEviT1_,@function
_ZN2at6native32elementwise_kernel_manual_unrollILi128ELi4EZNS0_15gpu_kernel_implIZZZNS0_15sin_kernel_cudaERNS_18TensorIteratorBaseEENKUlvE0_clEvENKUlvE_clEvEUldE_EEvS4_RKT_EUlibE0_EEviT1_: ; @_ZN2at6native32elementwise_kernel_manual_unrollILi128ELi4EZNS0_15gpu_kernel_implIZZZNS0_15sin_kernel_cudaERNS_18TensorIteratorBaseEENKUlvE0_clEvENKUlvE_clEvEUldE_EEvS4_RKT_EUlibE0_EEviT1_
; %bb.0:
	s_clause 0x1
	s_load_dword s24, s[4:5], 0x8
	s_load_dword s33, s[4:5], 0x0
	v_lshl_or_b32 v7, s6, 9, v0
	s_add_u32 s2, s4, 8
	s_addc_u32 s3, s5, 0
	s_mov_b32 s1, -1
	s_mov_b32 s26, 0
	v_or_b32_e32 v12, 0x180, v7
	s_mov_b32 s12, 0
	s_mov_b32 s0, exec_lo
	s_waitcnt lgkmcnt(0)
	s_add_i32 s25, s24, -1
	s_cmp_gt_u32 s25, 1
	s_cselect_b32 s27, -1, 0
	v_cmpx_le_i32_e64 s33, v12
	s_xor_b32 s28, exec_lo, s0
	s_cbranch_execz .LBB7_1102
; %bb.1:
	v_mov_b32_e32 v0, 0
	s_clause 0x3
	s_load_dwordx4 s[16:19], s[2:3], 0x4
	s_load_dwordx2 s[6:7], s[2:3], 0x14
	s_load_dwordx4 s[12:15], s[2:3], 0xc4
	s_load_dwordx4 s[8:11], s[2:3], 0x148
	s_cmp_lg_u32 s24, 0
	s_mov_b32 s39, 0
	s_cselect_b32 s34, -1, 0
	global_load_ushort v0, v0, s[2:3] offset:345
	s_add_u32 s20, s2, 0xc4
	s_addc_u32 s21, s3, 0
	s_min_u32 s35, s25, 15
	s_cmp_gt_u32 s24, 1
	s_mov_b32 s37, 0
	s_cselect_b32 s31, -1, 0
	s_mov_b32 s36, 0
	s_mov_b32 s38, exec_lo
	s_waitcnt vmcnt(0)
	v_readfirstlane_b32 s29, v0
	s_and_b32 s0, 0xffff, s29
	s_lshr_b32 s30, s0, 8
	v_cmpx_gt_i32_e64 s33, v7
	s_cbranch_execz .LBB7_270
; %bb.2:
	s_andn2_b32 vcc_lo, exec_lo, s27
	s_cbranch_vccnz .LBB7_7
; %bb.3:
	s_andn2_b32 vcc_lo, exec_lo, s34
	s_cbranch_vccnz .LBB7_8
; %bb.4:
	s_add_i32 s37, s35, 1
	s_cmp_eq_u32 s25, 2
	s_cbranch_scc1 .LBB7_9
; %bb.5:
	v_mov_b32_e32 v2, 0
	v_mov_b32_e32 v0, 0
	;; [unrolled: 1-line block ×3, first 2 shown]
	s_and_b32 s36, s37, 28
	s_mov_b32 s40, 0
	s_mov_b64 s[0:1], s[2:3]
	s_mov_b64 s[22:23], s[20:21]
.LBB7_6:                                ; =>This Inner Loop Header: Depth=1
	s_clause 0x1
	s_load_dwordx8 s[44:51], s[0:1], 0x4
	s_load_dwordx4 s[60:63], s[0:1], 0x24
	s_load_dwordx8 s[52:59], s[22:23], 0x0
	s_add_u32 s0, s0, 48
	s_addc_u32 s1, s1, 0
	s_add_i32 s40, s40, 4
	s_add_u32 s22, s22, 32
	s_addc_u32 s23, s23, 0
	s_cmp_lg_u32 s36, s40
	s_waitcnt lgkmcnt(0)
	v_mul_hi_u32 v3, s45, v1
	v_add_nc_u32_e32 v3, v1, v3
	v_lshrrev_b32_e32 v3, s46, v3
	v_mul_hi_u32 v4, s48, v3
	v_mul_lo_u32 v6, v3, s44
	v_add_nc_u32_e32 v4, v3, v4
	v_sub_nc_u32_e32 v1, v1, v6
	v_lshrrev_b32_e32 v4, s49, v4
	v_mul_lo_u32 v6, v1, s52
	v_mul_lo_u32 v9, v1, s53
	v_mul_hi_u32 v5, s51, v4
	v_add_nc_u32_e32 v5, v4, v5
	v_lshrrev_b32_e32 v5, s60, v5
	v_mul_hi_u32 v8, s62, v5
	v_mul_lo_u32 v10, v5, s50
	v_add_nc_u32_e32 v1, v5, v8
	v_mul_lo_u32 v8, v4, s47
	v_sub_nc_u32_e32 v4, v4, v10
	v_lshrrev_b32_e32 v1, s63, v1
	v_mul_lo_u32 v10, v4, s56
	v_mul_lo_u32 v4, v4, s57
	v_sub_nc_u32_e32 v3, v3, v8
	v_mul_lo_u32 v11, v1, s61
	v_mul_lo_u32 v8, v3, s54
	;; [unrolled: 1-line block ×3, first 2 shown]
	v_sub_nc_u32_e32 v5, v5, v11
	v_add3_u32 v0, v6, v0, v8
	v_mul_lo_u32 v11, v5, s58
	v_mul_lo_u32 v5, v5, s59
	v_add3_u32 v2, v9, v2, v3
	v_add3_u32 v0, v10, v0, v11
	;; [unrolled: 1-line block ×3, first 2 shown]
	s_cbranch_scc1 .LBB7_6
	s_branch .LBB7_10
.LBB7_7:
                                        ; implicit-def: $vgpr0
                                        ; implicit-def: $vgpr2
	s_branch .LBB7_14
.LBB7_8:
	v_mov_b32_e32 v0, 0
	v_mov_b32_e32 v2, 0
	s_branch .LBB7_13
.LBB7_9:
	v_mov_b32_e32 v0, 0
	v_mov_b32_e32 v2, 0
	;; [unrolled: 1-line block ×3, first 2 shown]
.LBB7_10:
	s_and_b32 s37, s37, 3
	s_cmp_eq_u32 s37, 0
	s_cbranch_scc1 .LBB7_13
; %bb.11:
	s_lshl_b32 s0, s36, 3
	s_mul_i32 s22, s36, 12
	s_add_u32 s0, s2, s0
	s_addc_u32 s1, s3, 0
	s_add_u32 s0, s0, 0xc4
	s_addc_u32 s1, s1, 0
	;; [unrolled: 2-line block ×3, first 2 shown]
	.p2align	6
.LBB7_12:                               ; =>This Inner Loop Header: Depth=1
	s_clause 0x1
	s_load_dwordx2 s[40:41], s[22:23], 0x4
	s_load_dword s36, s[22:23], 0xc
	s_load_dwordx2 s[42:43], s[0:1], 0x0
	s_add_u32 s22, s22, 12
	s_addc_u32 s23, s23, 0
	s_add_u32 s0, s0, 8
	s_addc_u32 s1, s1, 0
	s_add_i32 s37, s37, -1
	s_cmp_lg_u32 s37, 0
	s_waitcnt lgkmcnt(0)
	v_mul_hi_u32 v3, s41, v1
	v_add_nc_u32_e32 v3, v1, v3
	v_lshrrev_b32_e32 v4, s36, v3
	v_mul_lo_u32 v3, v4, s40
	v_sub_nc_u32_e32 v3, v1, v3
	v_mad_u64_u32 v[0:1], null, v3, s42, v[0:1]
	v_mad_u64_u32 v[2:3], null, v3, s43, v[2:3]
	v_mov_b32_e32 v1, v4
	s_cbranch_scc1 .LBB7_12
.LBB7_13:
	s_cbranch_execnz .LBB7_16
.LBB7_14:
	s_waitcnt lgkmcnt(0)
	v_mul_hi_u32 v0, s17, v7
	s_andn2_b32 vcc_lo, exec_lo, s31
	v_add_nc_u32_e32 v0, v7, v0
	v_lshrrev_b32_e32 v1, s18, v0
	v_mul_lo_u32 v0, v1, s16
	v_sub_nc_u32_e32 v2, v7, v0
	v_mul_lo_u32 v0, v2, s12
	v_mul_lo_u32 v2, v2, s13
	s_cbranch_vccnz .LBB7_16
; %bb.15:
	v_mul_hi_u32 v3, s6, v1
	v_add_nc_u32_e32 v3, v1, v3
	v_lshrrev_b32_e32 v3, s7, v3
	v_mul_lo_u32 v3, v3, s19
	v_sub_nc_u32_e32 v3, v1, v3
	v_mad_u64_u32 v[0:1], null, v3, s14, v[0:1]
	v_mad_u64_u32 v[2:3], null, v3, s15, v[2:3]
.LBB7_16:
	s_waitcnt lgkmcnt(0)
	v_add_co_u32 v1, s0, s10, v2
	v_add_co_ci_u32_e64 v2, null, s11, 0, s0
	s_and_b32 s0, 0xffff, s30
	s_cmp_lt_i32 s0, 11
	s_cbranch_scc1 .LBB7_23
; %bb.17:
	s_cmp_gt_i32 s0, 25
	s_cbranch_scc0 .LBB7_75
; %bb.18:
	s_cmp_gt_i32 s0, 28
	s_cbranch_scc0 .LBB7_76
	;; [unrolled: 3-line block ×4, first 2 shown]
; %bb.21:
	s_cmp_eq_u32 s0, 46
	s_mov_b32 s23, 0
	s_cbranch_scc0 .LBB7_82
; %bb.22:
	global_load_dword v3, v[1:2], off
	s_mov_b32 s22, -1
	s_mov_b32 s1, 0
	s_waitcnt vmcnt(0)
	v_lshlrev_b32_e32 v3, 16, v3
	v_cvt_f64_f32_e32 v[3:4], v3
	s_branch .LBB7_84
.LBB7_23:
	s_mov_b32 s1, 0
	s_mov_b32 s22, 0
                                        ; implicit-def: $vgpr3_vgpr4
	s_cbranch_execnz .LBB7_220
.LBB7_24:
	s_andn2_b32 vcc_lo, exec_lo, s22
	s_cbranch_vccnz .LBB7_267
.LBB7_25:
	s_waitcnt vmcnt(0)
	v_cmp_ngt_f64_e64 s0, 0x41d00000, |v[3:4]|
                                        ; implicit-def: $vgpr8
                                        ; implicit-def: $vgpr1_vgpr2
                                        ; implicit-def: $vgpr5_vgpr6
	s_and_saveexec_b32 s22, s0
	s_xor_b32 s0, exec_lo, s22
	s_cbranch_execz .LBB7_27
; %bb.26:
	v_ldexp_f64 v[1:2], |v[3:4]|, 0xffffff80
	v_cmp_le_f64_e64 vcc_lo, 0x7b000000, |v[3:4]|
	v_trig_preop_f64 v[5:6], |v[3:4]|, 0
	v_and_b32_e32 v8, 0x7fffffff, v4
	v_trig_preop_f64 v[18:19], |v[3:4]|, 2
	v_mov_b32_e32 v26, 0
	s_mov_b32 s22, 0x54442d18
	s_mov_b32 s23, 0x3ff921fb
	;; [unrolled: 1-line block ×4, first 2 shown]
	v_cndmask_b32_e32 v2, v8, v2, vcc_lo
	v_cndmask_b32_e32 v1, v3, v1, vcc_lo
	v_trig_preop_f64 v[8:9], |v[3:4]|, 1
	v_mul_f64 v[10:11], v[5:6], v[1:2]
	v_mul_f64 v[24:25], v[18:19], v[1:2]
	;; [unrolled: 1-line block ×3, first 2 shown]
	v_fma_f64 v[5:6], v[5:6], v[1:2], -v[10:11]
	v_fma_f64 v[8:9], v[8:9], v[1:2], -v[12:13]
	;; [unrolled: 1-line block ×3, first 2 shown]
	v_add_f64 v[14:15], v[12:13], v[5:6]
	v_add_f64 v[16:17], v[14:15], -v[12:13]
	v_add_f64 v[22:23], v[10:11], v[14:15]
	v_add_f64 v[20:21], v[14:15], -v[16:17]
	v_add_f64 v[5:6], v[5:6], -v[16:17]
	v_ldexp_f64 v[16:17], v[22:23], -2
	v_add_f64 v[10:11], v[22:23], -v[10:11]
	v_add_f64 v[12:13], v[12:13], -v[20:21]
	v_add_f64 v[20:21], v[24:25], v[8:9]
	v_cmp_neq_f64_e64 vcc_lo, 0x7ff00000, |v[16:17]|
	v_add_f64 v[10:11], v[14:15], -v[10:11]
	v_add_f64 v[5:6], v[5:6], v[12:13]
	v_fract_f64_e32 v[12:13], v[16:17]
	v_add_f64 v[14:15], v[20:21], v[5:6]
	v_ldexp_f64 v[12:13], v[12:13], 2
	v_add_f64 v[16:17], v[10:11], v[14:15]
	v_cndmask_b32_e32 v13, 0, v13, vcc_lo
	v_cndmask_b32_e32 v12, 0, v12, vcc_lo
	v_add_f64 v[22:23], v[16:17], v[12:13]
	v_add_f64 v[10:11], v[16:17], -v[10:11]
	v_cmp_gt_f64_e32 vcc_lo, 0, v[22:23]
	v_add_f64 v[22:23], v[20:21], -v[24:25]
	v_cndmask_b32_e64 v27, 0, 0x40100000, vcc_lo
	v_add_f64 v[31:32], v[20:21], -v[22:23]
	v_add_f64 v[8:9], v[8:9], -v[22:23]
	v_add_f64 v[12:13], v[12:13], v[26:27]
	v_add_f64 v[27:28], v[14:15], -v[20:21]
	v_add_f64 v[22:23], v[24:25], -v[31:32]
	v_add_f64 v[29:30], v[16:17], v[12:13]
	;; [unrolled: 3-line block ×3, first 2 shown]
	v_cvt_i32_f64_e32 v29, v[29:30]
	v_add_f64 v[20:21], v[20:21], -v[33:34]
	v_cvt_f64_i32_e32 v[27:28], v29
	v_add_f64 v[5:6], v[5:6], v[20:21]
	v_add_f64 v[12:13], v[12:13], -v[27:28]
	v_add_f64 v[5:6], v[8:9], v[5:6]
	v_add_f64 v[8:9], v[14:15], -v[10:11]
	v_add_f64 v[18:19], v[16:17], v[12:13]
	v_add_f64 v[1:2], v[1:2], v[5:6]
	v_add_f64 v[5:6], v[18:19], -v[12:13]
	v_cmp_le_f64_e32 vcc_lo, 0.5, v[18:19]
	v_add_f64 v[1:2], v[8:9], v[1:2]
	v_add_f64 v[5:6], v[16:17], -v[5:6]
	v_cndmask_b32_e64 v27, 0, 0x3ff00000, vcc_lo
	v_add_co_ci_u32_e64 v8, null, 0, v29, vcc_lo
	v_add_f64 v[1:2], v[1:2], v[5:6]
	v_add_f64 v[5:6], v[18:19], -v[26:27]
	v_add_f64 v[9:10], v[5:6], v[1:2]
	v_mul_f64 v[11:12], v[9:10], s[22:23]
	v_add_f64 v[5:6], v[9:10], -v[5:6]
	v_fma_f64 v[13:14], v[9:10], s[22:23], -v[11:12]
	v_add_f64 v[1:2], v[1:2], -v[5:6]
	v_fma_f64 v[5:6], v[9:10], s[36:37], v[13:14]
	v_fma_f64 v[5:6], v[1:2], s[22:23], v[5:6]
	v_add_f64 v[1:2], v[11:12], v[5:6]
	v_add_f64 v[9:10], v[1:2], -v[11:12]
	v_add_f64 v[5:6], v[5:6], -v[9:10]
.LBB7_27:
	s_andn2_saveexec_b32 s0, s0
	s_cbranch_execz .LBB7_29
; %bb.28:
	s_mov_b32 s22, 0x6dc9c883
	s_mov_b32 s23, 0x3fe45f30
	;; [unrolled: 1-line block ×3, first 2 shown]
	v_mul_f64 v[1:2], |v[3:4]|, s[22:23]
	s_mov_b32 s22, 0x54442d18
	s_mov_b32 s23, 0xbff921fb
	;; [unrolled: 1-line block ×3, first 2 shown]
	v_rndne_f64_e32 v[8:9], v[1:2]
	v_fma_f64 v[1:2], v[8:9], s[22:23], |v[3:4]|
	v_mul_f64 v[5:6], v[8:9], s[36:37]
	s_mov_b32 s22, 0x252049c0
	s_mov_b32 s23, 0xb97b839a
	v_fma_f64 v[12:13], v[8:9], s[36:37], v[1:2]
	v_add_f64 v[10:11], v[1:2], v[5:6]
	s_mov_b32 s37, 0x3c91a626
	v_add_f64 v[1:2], v[1:2], -v[10:11]
	v_add_f64 v[10:11], v[10:11], -v[12:13]
	v_add_f64 v[1:2], v[1:2], v[5:6]
	v_fma_f64 v[5:6], v[8:9], s[36:37], v[5:6]
	v_add_f64 v[1:2], v[10:11], v[1:2]
	v_add_f64 v[1:2], v[1:2], -v[5:6]
	v_fma_f64 v[5:6], v[8:9], s[22:23], v[1:2]
	v_cvt_i32_f64_e32 v8, v[8:9]
	v_add_f64 v[1:2], v[12:13], v[5:6]
	v_add_f64 v[10:11], v[1:2], -v[12:13]
	v_add_f64 v[5:6], v[5:6], -v[10:11]
.LBB7_29:
	s_or_b32 exec_lo, exec_lo, s0
	v_mul_f64 v[9:10], v[1:2], v[1:2]
	s_mov_b32 s22, 0xb42fdfa7
	s_mov_b32 s36, 0xf9a43bb8
	;; [unrolled: 1-line block ×6, first 2 shown]
	v_mul_f64 v[19:20], v[5:6], 0.5
	v_cmp_class_f64_e64 s0, v[3:4], 0x1f8
	v_lshlrev_b32_e32 v3, 30, v8
	v_xor_b32_e32 v3, v3, v4
	v_and_b32_e32 v3, 0x80000000, v3
	v_fma_f64 v[11:12], v[9:10], s[36:37], s[22:23]
	s_mov_b32 s22, 0x9037ab78
	s_mov_b32 s36, 0x46cc5e42
	;; [unrolled: 1-line block ×4, first 2 shown]
	v_mul_f64 v[15:16], v[9:10], 0.5
	v_fma_f64 v[13:14], v[9:10], s[36:37], s[22:23]
	s_mov_b32 s22, 0xa17f65f6
	s_mov_b32 s36, 0x19e83e5c
	;; [unrolled: 1-line block ×4, first 2 shown]
	v_mul_f64 v[21:22], v[1:2], -v[9:10]
	v_fma_f64 v[11:12], v[9:10], v[11:12], s[40:41]
	v_add_f64 v[17:18], -v[15:16], 1.0
	v_fma_f64 v[13:14], v[9:10], v[13:14], s[22:23]
	s_mov_b32 s22, 0x19f4ec90
	s_mov_b32 s23, 0x3efa01a0
	v_fma_f64 v[11:12], v[9:10], v[11:12], s[36:37]
	s_mov_b32 s36, 0x11110bb3
	s_mov_b32 s37, 0x3f811111
	v_add_f64 v[23:24], -v[17:18], 1.0
	v_fma_f64 v[13:14], v[9:10], v[13:14], s[22:23]
	s_mov_b32 s22, 0x16c16967
	s_mov_b32 s23, 0xbf56c16c
	v_fma_f64 v[11:12], v[9:10], v[11:12], s[36:37]
	s_mov_b32 s36, -1
	v_add_f64 v[15:16], v[23:24], -v[15:16]
	v_fma_f64 v[13:14], v[9:10], v[13:14], s[22:23]
	s_mov_b32 s23, 0x3fa55555
	s_mov_b32 s22, 0x55555555
	v_fma_f64 v[11:12], v[21:22], v[11:12], v[19:20]
	v_mul_f64 v[19:20], v[9:10], v[9:10]
	v_fma_f64 v[15:16], v[1:2], -v[5:6], v[15:16]
	v_fma_f64 v[13:14], v[9:10], v[13:14], s[22:23]
	s_mov_b32 s23, 0xbfc55555
	v_fma_f64 v[5:6], v[9:10], v[11:12], -v[5:6]
	v_fma_f64 v[9:10], v[19:20], v[13:14], v[15:16]
	v_fma_f64 v[5:6], v[21:22], s[22:23], v[5:6]
	v_add_co_u32 v4, s23, s8, v0
	s_mov_b32 s22, 0
	v_add_f64 v[9:10], v[17:18], v[9:10]
	v_add_f64 v[1:2], v[1:2], -v[5:6]
	v_and_b32_e32 v5, 1, v8
	v_cmp_eq_u32_e32 vcc_lo, 0, v5
	v_add_co_ci_u32_e64 v5, null, s9, 0, s23
	s_and_b32 s23, s29, 0xff
	s_cmp_lt_i32 s23, 11
	v_cndmask_b32_e32 v2, v10, v2, vcc_lo
	v_cndmask_b32_e32 v1, v9, v1, vcc_lo
	v_xor_b32_e32 v2, v2, v3
	v_cndmask_b32_e64 v0, 0, v1, s0
	v_cndmask_b32_e64 v1, 0x7ff80000, v2, s0
	s_mov_b32 s0, 0
	s_cbranch_scc1 .LBB7_36
; %bb.30:
	s_and_b32 s36, 0xffff, s23
	s_cmp_gt_i32 s36, 25
	s_cbranch_scc0 .LBB7_77
; %bb.31:
	s_cmp_gt_i32 s36, 28
	s_cbranch_scc0 .LBB7_79
; %bb.32:
	;; [unrolled: 3-line block ×4, first 2 shown]
	s_mov_b32 s37, 0
	s_mov_b32 s22, -1
	s_cmp_eq_u32 s36, 46
	s_cbranch_scc0 .LBB7_88
; %bb.35:
	v_cvt_f32_f64_e32 v2, v[0:1]
	s_mov_b32 s0, -1
	s_mov_b32 s22, 0
	v_bfe_u32 v3, v2, 16, 1
	v_cmp_o_f32_e32 vcc_lo, v2, v2
	v_add3_u32 v2, v2, v3, 0x7fff
	v_mov_b32_e32 v3, 0x7fc0
	v_cndmask_b32_sdwa v2, v3, v2, vcc_lo dst_sel:DWORD dst_unused:UNUSED_PAD src0_sel:DWORD src1_sel:WORD_1
	global_store_dword v[4:5], v2, off
	s_branch .LBB7_88
.LBB7_36:
	s_and_b32 vcc_lo, exec_lo, s36
	s_cbranch_vccz .LBB7_157
; %bb.37:
	s_and_b32 s0, 0xffff, s23
	s_mov_b32 s23, -1
	s_cmp_lt_i32 s0, 5
	s_cbranch_scc1 .LBB7_58
; %bb.38:
	s_cmp_lt_i32 s0, 8
	s_cbranch_scc1 .LBB7_48
; %bb.39:
	;; [unrolled: 3-line block ×3, first 2 shown]
	s_cmp_gt_i32 s0, 9
	s_cbranch_scc0 .LBB7_42
; %bb.41:
	v_mov_b32_e32 v2, 0
	s_mov_b32 s23, 0
	v_mov_b32_e32 v3, v2
	global_store_dwordx4 v[4:5], v[0:3], off
.LBB7_42:
	s_andn2_b32 vcc_lo, exec_lo, s23
	s_cbranch_vccnz .LBB7_44
; %bb.43:
	v_cvt_f32_f64_e32 v2, v[0:1]
	v_mov_b32_e32 v3, 0
	global_store_dwordx2 v[4:5], v[2:3], off
.LBB7_44:
	s_mov_b32 s23, 0
.LBB7_45:
	s_andn2_b32 vcc_lo, exec_lo, s23
	s_cbranch_vccnz .LBB7_47
; %bb.46:
	v_and_or_b32 v2, 0x1ff, v1, v0
	v_lshrrev_b32_e32 v3, 8, v1
	v_bfe_u32 v6, v1, 20, 11
	v_cmp_ne_u32_e32 vcc_lo, 0, v2
	v_sub_nc_u32_e32 v8, 0x3f1, v6
	v_add_nc_u32_e32 v6, 0xfffffc10, v6
	v_cndmask_b32_e64 v2, 0, 1, vcc_lo
	v_and_or_b32 v2, 0xffe, v3, v2
	v_med3_i32 v3, v8, 0, 13
	v_or_b32_e32 v8, 0x1000, v2
	v_lshrrev_b32_e32 v9, v3, v8
	v_lshlrev_b32_e32 v3, v3, v9
	v_cmp_ne_u32_e32 vcc_lo, v3, v8
	v_lshl_or_b32 v8, v6, 12, v2
	v_cndmask_b32_e64 v3, 0, 1, vcc_lo
	v_cmp_gt_i32_e32 vcc_lo, 1, v6
	v_or_b32_e32 v3, v9, v3
	v_cndmask_b32_e32 v3, v8, v3, vcc_lo
	v_and_b32_e32 v8, 7, v3
	v_lshrrev_b32_e32 v3, 2, v3
	v_cmp_lt_i32_e32 vcc_lo, 5, v8
	v_cndmask_b32_e64 v9, 0, 1, vcc_lo
	v_cmp_eq_u32_e32 vcc_lo, 3, v8
	v_cndmask_b32_e64 v8, 0, 1, vcc_lo
	v_cmp_ne_u32_e32 vcc_lo, 0, v2
	v_or_b32_e32 v8, v8, v9
	v_mov_b32_e32 v9, 0x7e00
	v_add_nc_u32_e32 v3, v3, v8
	v_cndmask_b32_e32 v2, 0x7c00, v9, vcc_lo
	v_cmp_gt_i32_e32 vcc_lo, 31, v6
	v_cndmask_b32_e32 v3, 0x7c00, v3, vcc_lo
	v_cmp_eq_u32_e32 vcc_lo, 0x40f, v6
	v_cndmask_b32_e32 v2, v3, v2, vcc_lo
	v_lshrrev_b32_e32 v3, 16, v1
	v_and_or_b32 v2, 0x8000, v3, v2
	v_and_b32_e32 v2, 0xffff, v2
	global_store_dword v[4:5], v2, off
.LBB7_47:
	s_mov_b32 s23, 0
.LBB7_48:
	s_andn2_b32 vcc_lo, exec_lo, s23
	s_cbranch_vccnz .LBB7_57
; %bb.49:
	s_cmp_lt_i32 s0, 6
	s_mov_b32 s23, -1
	s_cbranch_scc1 .LBB7_55
; %bb.50:
	s_cmp_gt_i32 s0, 6
	s_cbranch_scc0 .LBB7_52
; %bb.51:
	s_mov_b32 s23, 0
	global_store_dwordx2 v[4:5], v[0:1], off
.LBB7_52:
	s_andn2_b32 vcc_lo, exec_lo, s23
	s_cbranch_vccnz .LBB7_54
; %bb.53:
	v_cvt_f32_f64_e32 v2, v[0:1]
	global_store_dword v[4:5], v2, off
.LBB7_54:
	s_mov_b32 s23, 0
.LBB7_55:
	s_andn2_b32 vcc_lo, exec_lo, s23
	s_cbranch_vccnz .LBB7_57
; %bb.56:
	v_and_or_b32 v2, 0x1ff, v1, v0
	v_lshrrev_b32_e32 v3, 8, v1
	v_bfe_u32 v6, v1, 20, 11
	v_cmp_ne_u32_e32 vcc_lo, 0, v2
	v_sub_nc_u32_e32 v8, 0x3f1, v6
	v_add_nc_u32_e32 v6, 0xfffffc10, v6
	v_cndmask_b32_e64 v2, 0, 1, vcc_lo
	v_and_or_b32 v2, 0xffe, v3, v2
	v_med3_i32 v3, v8, 0, 13
	v_or_b32_e32 v8, 0x1000, v2
	v_lshrrev_b32_e32 v9, v3, v8
	v_lshlrev_b32_e32 v3, v3, v9
	v_cmp_ne_u32_e32 vcc_lo, v3, v8
	v_lshl_or_b32 v8, v6, 12, v2
	v_cndmask_b32_e64 v3, 0, 1, vcc_lo
	v_cmp_gt_i32_e32 vcc_lo, 1, v6
	v_or_b32_e32 v3, v9, v3
	v_cndmask_b32_e32 v3, v8, v3, vcc_lo
	v_and_b32_e32 v8, 7, v3
	v_lshrrev_b32_e32 v3, 2, v3
	v_cmp_lt_i32_e32 vcc_lo, 5, v8
	v_cndmask_b32_e64 v9, 0, 1, vcc_lo
	v_cmp_eq_u32_e32 vcc_lo, 3, v8
	v_cndmask_b32_e64 v8, 0, 1, vcc_lo
	v_cmp_ne_u32_e32 vcc_lo, 0, v2
	v_or_b32_e32 v8, v8, v9
	v_mov_b32_e32 v9, 0x7e00
	v_add_nc_u32_e32 v3, v3, v8
	v_cndmask_b32_e32 v2, 0x7c00, v9, vcc_lo
	v_cmp_gt_i32_e32 vcc_lo, 31, v6
	v_cndmask_b32_e32 v3, 0x7c00, v3, vcc_lo
	v_cmp_eq_u32_e32 vcc_lo, 0x40f, v6
	v_cndmask_b32_e32 v2, v3, v2, vcc_lo
	v_lshrrev_b32_e32 v3, 16, v1
	v_and_or_b32 v2, 0x8000, v3, v2
	global_store_short v[4:5], v2, off
.LBB7_57:
	s_mov_b32 s23, 0
.LBB7_58:
	s_andn2_b32 vcc_lo, exec_lo, s23
	s_cbranch_vccnz .LBB7_74
; %bb.59:
	s_cmp_lt_i32 s0, 2
	s_mov_b32 s23, -1
	s_cbranch_scc1 .LBB7_69
; %bb.60:
	s_cmp_lt_i32 s0, 3
	s_cbranch_scc1 .LBB7_66
; %bb.61:
	s_cmp_gt_i32 s0, 3
	s_cbranch_scc0 .LBB7_63
; %bb.62:
	v_trunc_f64_e32 v[2:3], v[0:1]
	s_mov_b32 s23, 0
	v_ldexp_f64 v[8:9], v[2:3], 0xffffffe0
	v_floor_f64_e32 v[8:9], v[8:9]
	v_fma_f64 v[2:3], 0xc1f00000, v[8:9], v[2:3]
	v_cvt_i32_f64_e32 v9, v[8:9]
	v_cvt_u32_f64_e32 v8, v[2:3]
	global_store_dwordx2 v[4:5], v[8:9], off
.LBB7_63:
	s_andn2_b32 vcc_lo, exec_lo, s23
	s_cbranch_vccnz .LBB7_65
; %bb.64:
	v_cvt_i32_f64_e32 v2, v[0:1]
	global_store_dword v[4:5], v2, off
.LBB7_65:
	s_mov_b32 s23, 0
.LBB7_66:
	s_andn2_b32 vcc_lo, exec_lo, s23
	s_cbranch_vccnz .LBB7_68
; %bb.67:
	v_cvt_i32_f64_e32 v2, v[0:1]
	global_store_short v[4:5], v2, off
.LBB7_68:
	s_mov_b32 s23, 0
.LBB7_69:
	s_andn2_b32 vcc_lo, exec_lo, s23
	s_cbranch_vccnz .LBB7_74
; %bb.70:
	s_cmp_gt_i32 s0, 0
	s_mov_b32 s0, -1
	s_cbranch_scc0 .LBB7_72
; %bb.71:
	v_cvt_i32_f64_e32 v2, v[0:1]
	s_mov_b32 s0, 0
	global_store_byte v[4:5], v2, off
.LBB7_72:
	s_andn2_b32 vcc_lo, exec_lo, s0
	s_cbranch_vccnz .LBB7_74
; %bb.73:
	v_trunc_f64_e32 v[0:1], v[0:1]
	v_ldexp_f64 v[2:3], v[0:1], 0xffffffe0
	v_floor_f64_e32 v[2:3], v[2:3]
	v_fma_f64 v[0:1], 0xc1f00000, v[2:3], v[0:1]
	v_cvt_u32_f64_e32 v0, v[0:1]
	global_store_byte v[4:5], v0, off
.LBB7_74:
	s_branch .LBB7_158
.LBB7_75:
	s_mov_b32 s1, 0
	s_mov_b32 s22, 0
                                        ; implicit-def: $vgpr3_vgpr4
	s_cbranch_execnz .LBB7_187
	s_branch .LBB7_219
.LBB7_76:
	s_mov_b32 s23, -1
	s_mov_b32 s1, 0
	s_mov_b32 s22, 0
                                        ; implicit-def: $vgpr3_vgpr4
	s_branch .LBB7_166
.LBB7_77:
	s_mov_b32 s37, -1
	s_branch .LBB7_115
.LBB7_78:
	s_mov_b32 s23, -1
	s_mov_b32 s1, 0
	s_mov_b32 s22, 0
                                        ; implicit-def: $vgpr3_vgpr4
	s_branch .LBB7_161
.LBB7_79:
	s_mov_b32 s37, -1
	s_branch .LBB7_98
.LBB7_80:
	s_mov_b32 s23, -1
	s_mov_b32 s1, 0
	s_branch .LBB7_83
.LBB7_81:
	s_mov_b32 s37, -1
	s_branch .LBB7_94
.LBB7_82:
	s_mov_b32 s1, -1
.LBB7_83:
	s_mov_b32 s22, 0
                                        ; implicit-def: $vgpr3_vgpr4
.LBB7_84:
	s_and_b32 vcc_lo, exec_lo, s23
	s_cbranch_vccz .LBB7_160
; %bb.85:
	s_cmp_eq_u32 s0, 44
	s_cbranch_scc0 .LBB7_159
; %bb.86:
	global_load_ubyte v5, v[1:2], off
	s_mov_b32 s1, 0
	s_mov_b32 s22, -1
	s_waitcnt vmcnt(0)
	v_lshlrev_b32_e32 v3, 23, v5
	v_cmp_ne_u32_e32 vcc_lo, 0xff, v5
	v_cvt_f64_f32_e32 v[3:4], v3
	v_cndmask_b32_e32 v3, 0x20000000, v3, vcc_lo
	v_cndmask_b32_e32 v4, 0x7ff80000, v4, vcc_lo
	v_cmp_ne_u32_e32 vcc_lo, 0, v5
	v_cndmask_b32_e32 v4, 0x38000000, v4, vcc_lo
	v_cndmask_b32_e32 v3, 0, v3, vcc_lo
	s_branch .LBB7_160
.LBB7_87:
	s_mov_b32 s37, -1
.LBB7_88:
	s_and_b32 vcc_lo, exec_lo, s37
	s_cbranch_vccz .LBB7_93
; %bb.89:
	s_cmp_eq_u32 s36, 44
	s_mov_b32 s22, -1
	s_cbranch_scc0 .LBB7_93
; %bb.90:
	v_cvt_f32_f64_e32 v2, v[0:1]
	v_mov_b32_e32 v3, 0xff
	s_mov_b32 s22, exec_lo
	v_bfe_u32 v6, v2, 23, 8
	v_cmpx_ne_u32_e32 0xff, v6
	s_cbranch_execz .LBB7_92
; %bb.91:
	v_and_b32_e32 v3, 0x400000, v2
	v_and_or_b32 v6, 0x3fffff, v2, v6
	v_lshrrev_b32_e32 v2, 23, v2
	v_cmp_ne_u32_e32 vcc_lo, 0, v3
	v_cmp_ne_u32_e64 s0, 0, v6
	s_and_b32 s0, vcc_lo, s0
	v_cndmask_b32_e64 v3, 0, 1, s0
	v_add_nc_u32_e32 v3, v2, v3
.LBB7_92:
	s_or_b32 exec_lo, exec_lo, s22
	s_mov_b32 s0, -1
	s_mov_b32 s22, 0
	global_store_byte v[4:5], v3, off
.LBB7_93:
	s_mov_b32 s37, 0
.LBB7_94:
	s_and_b32 vcc_lo, exec_lo, s37
	s_cbranch_vccz .LBB7_97
; %bb.95:
	s_cmp_eq_u32 s36, 29
	s_mov_b32 s22, -1
	s_cbranch_scc0 .LBB7_97
; %bb.96:
	v_trunc_f64_e32 v[2:3], v[0:1]
	s_mov_b32 s0, -1
	s_mov_b32 s22, 0
	s_mov_b32 s37, 0
	v_ldexp_f64 v[8:9], v[2:3], 0xffffffe0
	v_floor_f64_e32 v[8:9], v[8:9]
	v_fma_f64 v[2:3], 0xc1f00000, v[8:9], v[2:3]
	v_cvt_u32_f64_e32 v9, v[8:9]
	v_cvt_u32_f64_e32 v8, v[2:3]
	global_store_dwordx2 v[4:5], v[8:9], off
	s_branch .LBB7_98
.LBB7_97:
	s_mov_b32 s37, 0
.LBB7_98:
	s_and_b32 vcc_lo, exec_lo, s37
	s_cbranch_vccz .LBB7_114
; %bb.99:
	s_cmp_lt_i32 s36, 27
	s_mov_b32 s0, -1
	s_cbranch_scc1 .LBB7_105
; %bb.100:
	v_cvt_u32_f64_e32 v2, v[0:1]
	s_cmp_gt_i32 s36, 27
	s_cbranch_scc0 .LBB7_102
; %bb.101:
	s_mov_b32 s0, 0
	global_store_dword v[4:5], v2, off
.LBB7_102:
	s_andn2_b32 vcc_lo, exec_lo, s0
	s_cbranch_vccnz .LBB7_104
; %bb.103:
	global_store_short v[4:5], v2, off
.LBB7_104:
	s_mov_b32 s0, 0
.LBB7_105:
	s_andn2_b32 vcc_lo, exec_lo, s0
	s_cbranch_vccnz .LBB7_113
; %bb.106:
	v_cvt_f32_f64_e32 v2, v[0:1]
	v_mov_b32_e32 v6, 0x80
	s_mov_b32 s0, exec_lo
	v_and_b32_e32 v3, 0x7fffffff, v2
	v_cmpx_gt_u32_e32 0x43800000, v3
	s_cbranch_execz .LBB7_112
; %bb.107:
	v_cmp_lt_u32_e32 vcc_lo, 0x3bffffff, v3
	s_mov_b32 s37, 0
                                        ; implicit-def: $vgpr3
	s_and_saveexec_b32 s40, vcc_lo
	s_xor_b32 s40, exec_lo, s40
	s_cbranch_execz .LBB7_354
; %bb.108:
	v_bfe_u32 v3, v2, 20, 1
	s_mov_b32 s37, exec_lo
	v_add3_u32 v3, v2, v3, 0x487ffff
	v_lshrrev_b32_e32 v3, 20, v3
	s_andn2_saveexec_b32 s40, s40
	s_cbranch_execnz .LBB7_355
.LBB7_109:
	s_or_b32 exec_lo, exec_lo, s40
	v_mov_b32_e32 v6, 0
	s_and_saveexec_b32 s40, s37
.LBB7_110:
	v_lshrrev_b32_e32 v2, 24, v2
	v_and_or_b32 v6, 0x80, v2, v3
.LBB7_111:
	s_or_b32 exec_lo, exec_lo, s40
.LBB7_112:
	s_or_b32 exec_lo, exec_lo, s0
	global_store_byte v[4:5], v6, off
.LBB7_113:
	s_mov_b32 s0, -1
.LBB7_114:
	s_mov_b32 s37, 0
.LBB7_115:
	s_and_b32 vcc_lo, exec_lo, s37
	s_cbranch_vccz .LBB7_156
; %bb.116:
	s_cmp_gt_i32 s36, 22
	s_mov_b32 s37, -1
	s_cbranch_scc0 .LBB7_148
; %bb.117:
	s_cmp_lt_i32 s36, 24
	s_mov_b32 s0, -1
	s_cbranch_scc1 .LBB7_137
; %bb.118:
	s_cmp_gt_i32 s36, 24
	s_cbranch_scc0 .LBB7_126
; %bb.119:
	v_cvt_f32_f64_e32 v2, v[0:1]
	v_mov_b32_e32 v6, 0x80
	s_mov_b32 s0, exec_lo
	v_and_b32_e32 v3, 0x7fffffff, v2
	v_cmpx_gt_u32_e32 0x47800000, v3
	s_cbranch_execz .LBB7_125
; %bb.120:
	v_cmp_lt_u32_e32 vcc_lo, 0x37ffffff, v3
	s_mov_b32 s37, 0
                                        ; implicit-def: $vgpr3
	s_and_saveexec_b32 s40, vcc_lo
	s_xor_b32 s40, exec_lo, s40
	s_cbranch_execz .LBB7_358
; %bb.121:
	v_bfe_u32 v3, v2, 21, 1
	s_mov_b32 s37, exec_lo
	v_add3_u32 v3, v2, v3, 0x88fffff
	v_lshrrev_b32_e32 v3, 21, v3
	s_andn2_saveexec_b32 s40, s40
	s_cbranch_execnz .LBB7_359
.LBB7_122:
	s_or_b32 exec_lo, exec_lo, s40
	v_mov_b32_e32 v6, 0
	s_and_saveexec_b32 s40, s37
.LBB7_123:
	v_lshrrev_b32_e32 v2, 24, v2
	v_and_or_b32 v6, 0x80, v2, v3
.LBB7_124:
	s_or_b32 exec_lo, exec_lo, s40
.LBB7_125:
	s_or_b32 exec_lo, exec_lo, s0
	s_mov_b32 s0, 0
	global_store_byte v[4:5], v6, off
.LBB7_126:
	s_and_b32 vcc_lo, exec_lo, s0
	s_cbranch_vccz .LBB7_136
; %bb.127:
	v_cvt_f32_f64_e32 v2, v[0:1]
	s_mov_b32 s0, exec_lo
                                        ; implicit-def: $vgpr3
	v_and_b32_e32 v6, 0x7fffffff, v2
	v_cmpx_gt_u32_e32 0x43f00000, v6
	s_xor_b32 s0, exec_lo, s0
	s_cbranch_execz .LBB7_133
; %bb.128:
	s_mov_b32 s37, exec_lo
                                        ; implicit-def: $vgpr3
	v_cmpx_lt_u32_e32 0x3c7fffff, v6
	s_xor_b32 s37, exec_lo, s37
; %bb.129:
	v_bfe_u32 v3, v2, 20, 1
	v_add3_u32 v3, v2, v3, 0x407ffff
	v_and_b32_e32 v6, 0xff00000, v3
	v_lshrrev_b32_e32 v3, 20, v3
	v_cmp_ne_u32_e32 vcc_lo, 0x7f00000, v6
	v_cndmask_b32_e32 v3, 0x7e, v3, vcc_lo
; %bb.130:
	s_andn2_saveexec_b32 s37, s37
; %bb.131:
	v_add_f32_e64 v3, 0x46800000, |v2|
; %bb.132:
	s_or_b32 exec_lo, exec_lo, s37
                                        ; implicit-def: $vgpr6
.LBB7_133:
	s_andn2_saveexec_b32 s0, s0
; %bb.134:
	v_mov_b32_e32 v3, 0x7f
	v_cmp_lt_u32_e32 vcc_lo, 0x7f800000, v6
	v_cndmask_b32_e32 v3, 0x7e, v3, vcc_lo
; %bb.135:
	s_or_b32 exec_lo, exec_lo, s0
	v_lshrrev_b32_e32 v2, 24, v2
	v_and_or_b32 v2, 0x80, v2, v3
	global_store_byte v[4:5], v2, off
.LBB7_136:
	s_mov_b32 s0, 0
.LBB7_137:
	s_andn2_b32 vcc_lo, exec_lo, s0
	s_cbranch_vccnz .LBB7_147
; %bb.138:
	v_cvt_f32_f64_e32 v2, v[0:1]
	s_mov_b32 s0, exec_lo
                                        ; implicit-def: $vgpr3
	v_and_b32_e32 v6, 0x7fffffff, v2
	v_cmpx_gt_u32_e32 0x47800000, v6
	s_xor_b32 s0, exec_lo, s0
	s_cbranch_execz .LBB7_144
; %bb.139:
	s_mov_b32 s37, exec_lo
                                        ; implicit-def: $vgpr3
	v_cmpx_lt_u32_e32 0x387fffff, v6
	s_xor_b32 s37, exec_lo, s37
; %bb.140:
	v_bfe_u32 v3, v2, 21, 1
	v_add3_u32 v3, v2, v3, 0x80fffff
	v_lshrrev_b32_e32 v3, 21, v3
; %bb.141:
	s_andn2_saveexec_b32 s37, s37
; %bb.142:
	v_add_f32_e64 v3, 0x43000000, |v2|
; %bb.143:
	s_or_b32 exec_lo, exec_lo, s37
                                        ; implicit-def: $vgpr6
.LBB7_144:
	s_andn2_saveexec_b32 s0, s0
; %bb.145:
	v_mov_b32_e32 v3, 0x7f
	v_cmp_lt_u32_e32 vcc_lo, 0x7f800000, v6
	v_cndmask_b32_e32 v3, 0x7c, v3, vcc_lo
; %bb.146:
	s_or_b32 exec_lo, exec_lo, s0
	v_lshrrev_b32_e32 v2, 24, v2
	v_and_or_b32 v2, 0x80, v2, v3
	global_store_byte v[4:5], v2, off
.LBB7_147:
	s_mov_b32 s37, 0
	s_mov_b32 s0, -1
.LBB7_148:
	s_andn2_b32 vcc_lo, exec_lo, s37
	s_cbranch_vccnz .LBB7_156
; %bb.149:
	s_cmp_gt_i32 s36, 14
	s_mov_b32 s37, -1
	s_cbranch_scc0 .LBB7_153
; %bb.150:
	s_cmp_eq_u32 s36, 15
	s_mov_b32 s22, -1
	s_cbranch_scc0 .LBB7_152
; %bb.151:
	v_cvt_f32_f64_e32 v2, v[0:1]
	s_mov_b32 s0, -1
	s_mov_b32 s22, 0
	v_bfe_u32 v3, v2, 16, 1
	v_cmp_o_f32_e32 vcc_lo, v2, v2
	v_add3_u32 v2, v2, v3, 0x7fff
	v_mov_b32_e32 v3, 0x7fc0
	v_cndmask_b32_sdwa v2, v3, v2, vcc_lo dst_sel:DWORD dst_unused:UNUSED_PAD src0_sel:DWORD src1_sel:WORD_1
	global_store_short v[4:5], v2, off
.LBB7_152:
	s_mov_b32 s37, 0
.LBB7_153:
	s_and_b32 vcc_lo, exec_lo, s37
	s_cbranch_vccz .LBB7_156
; %bb.154:
	s_cmp_eq_u32 s36, 11
	s_mov_b32 s22, -1
	s_cbranch_scc0 .LBB7_156
; %bb.155:
	v_cmp_neq_f64_e32 vcc_lo, 0, v[0:1]
	s_mov_b32 s0, -1
	s_mov_b32 s22, 0
	v_cndmask_b32_e64 v2, 0, 1, vcc_lo
	global_store_byte v[4:5], v2, off
.LBB7_156:
.LBB7_157:
	s_andn2_b32 vcc_lo, exec_lo, s0
	s_cbranch_vccnz .LBB7_268
.LBB7_158:
	v_add_nc_u32_e32 v7, 0x80, v7
	s_mov_b32 s0, -1
	s_branch .LBB7_269
.LBB7_159:
	s_mov_b32 s1, -1
                                        ; implicit-def: $vgpr3_vgpr4
.LBB7_160:
	s_mov_b32 s23, 0
.LBB7_161:
	s_and_b32 vcc_lo, exec_lo, s23
	s_cbranch_vccz .LBB7_165
; %bb.162:
	s_cmp_eq_u32 s0, 29
	s_cbranch_scc0 .LBB7_164
; %bb.163:
	global_load_dwordx2 v[3:4], v[1:2], off
	s_mov_b32 s22, -1
	s_mov_b32 s1, 0
	s_mov_b32 s23, 0
	s_waitcnt vmcnt(0)
	v_cvt_f64_u32_e32 v[4:5], v4
	v_cvt_f64_u32_e32 v[8:9], v3
	v_ldexp_f64 v[4:5], v[4:5], 32
	v_add_f64 v[3:4], v[4:5], v[8:9]
	s_branch .LBB7_166
.LBB7_164:
	s_mov_b32 s1, -1
                                        ; implicit-def: $vgpr3_vgpr4
.LBB7_165:
	s_mov_b32 s23, 0
.LBB7_166:
	s_and_b32 vcc_lo, exec_lo, s23
	s_cbranch_vccz .LBB7_186
; %bb.167:
	s_cmp_lt_i32 s0, 27
	s_cbranch_scc1 .LBB7_170
; %bb.168:
	s_cmp_gt_i32 s0, 27
	s_cbranch_scc0 .LBB7_171
; %bb.169:
	global_load_dword v3, v[1:2], off
	s_mov_b32 s22, 0
	s_waitcnt vmcnt(0)
	v_cvt_f64_u32_e32 v[3:4], v3
	s_branch .LBB7_172
.LBB7_170:
	s_mov_b32 s22, -1
                                        ; implicit-def: $vgpr3_vgpr4
	s_branch .LBB7_175
.LBB7_171:
	s_mov_b32 s22, -1
                                        ; implicit-def: $vgpr3_vgpr4
.LBB7_172:
	s_andn2_b32 vcc_lo, exec_lo, s22
	s_cbranch_vccnz .LBB7_174
; %bb.173:
	global_load_ushort v3, v[1:2], off
	s_waitcnt vmcnt(0)
	v_cvt_f64_u32_e32 v[3:4], v3
.LBB7_174:
	s_mov_b32 s22, 0
.LBB7_175:
	s_andn2_b32 vcc_lo, exec_lo, s22
	s_cbranch_vccnz .LBB7_185
; %bb.176:
	global_load_ubyte v5, v[1:2], off
	s_mov_b32 s22, 0
	s_mov_b32 s23, exec_lo
	s_waitcnt vmcnt(0)
	v_cmpx_lt_i16_e32 0x7f, v5
	s_xor_b32 s23, exec_lo, s23
	s_cbranch_execz .LBB7_180
; %bb.177:
	s_mov_b32 s22, -1
	s_mov_b32 s36, exec_lo
	v_cmpx_eq_u16_e32 0x80, v5
; %bb.178:
	s_xor_b32 s22, exec_lo, -1
; %bb.179:
	s_or_b32 exec_lo, exec_lo, s36
	s_and_b32 s22, s22, exec_lo
.LBB7_180:
	s_or_saveexec_b32 s23, s23
	v_bfrev_b32_e32 v3, 4
	v_mov_b32_e32 v4, 0x7ff80000
	s_xor_b32 exec_lo, exec_lo, s23
; %bb.181:
	v_cmp_ne_u16_e32 vcc_lo, 0, v5
	v_mov_b32_e32 v3, 0
	v_mov_b32_e32 v4, 0
	s_andn2_b32 s22, s22, exec_lo
	s_and_b32 s36, vcc_lo, exec_lo
	s_or_b32 s22, s22, s36
; %bb.182:
	s_or_b32 exec_lo, exec_lo, s23
	s_and_saveexec_b32 s23, s22
	s_cbranch_execz .LBB7_184
; %bb.183:
	v_and_b32_e32 v3, 0xffff, v5
	v_lshlrev_b32_e32 v5, 24, v5
	v_and_b32_e32 v4, 7, v3
	v_bfe_u32 v9, v3, 3, 4
	v_ffbh_u32_e32 v6, v4
	v_cmp_eq_u32_e32 vcc_lo, 0, v9
	v_min_u32_e32 v6, 32, v6
	v_subrev_nc_u32_e32 v8, 28, v6
	v_sub_nc_u32_e32 v6, 29, v6
	v_lshlrev_b32_e32 v3, v8, v3
	v_cndmask_b32_e32 v6, v9, v6, vcc_lo
	v_and_b32_e32 v3, 7, v3
	v_cndmask_b32_e32 v3, v4, v3, vcc_lo
	v_and_b32_e32 v4, 0x80000000, v5
	v_lshl_add_u32 v5, v6, 23, 0x3b800000
	v_lshlrev_b32_e32 v3, 20, v3
	v_or3_b32 v3, v4, v5, v3
	v_cvt_f64_f32_e32 v[3:4], v3
.LBB7_184:
	s_or_b32 exec_lo, exec_lo, s23
.LBB7_185:
	s_mov_b32 s22, -1
.LBB7_186:
	s_branch .LBB7_219
.LBB7_187:
	s_cmp_gt_i32 s0, 22
	s_cbranch_scc0 .LBB7_199
; %bb.188:
	s_cmp_lt_i32 s0, 24
	s_cbranch_scc1 .LBB7_200
; %bb.189:
	s_cmp_gt_i32 s0, 24
	s_cbranch_scc0 .LBB7_201
; %bb.190:
	global_load_ubyte v5, v[1:2], off
	s_mov_b32 s22, 0
	s_mov_b32 s23, exec_lo
	s_waitcnt vmcnt(0)
	v_cmpx_lt_i16_e32 0x7f, v5
	s_xor_b32 s23, exec_lo, s23
	s_cbranch_execz .LBB7_194
; %bb.191:
	s_mov_b32 s22, -1
	s_mov_b32 s36, exec_lo
	v_cmpx_eq_u16_e32 0x80, v5
; %bb.192:
	s_xor_b32 s22, exec_lo, -1
; %bb.193:
	s_or_b32 exec_lo, exec_lo, s36
	s_and_b32 s22, s22, exec_lo
.LBB7_194:
	s_or_saveexec_b32 s23, s23
	v_bfrev_b32_e32 v3, 4
	v_mov_b32_e32 v4, 0x7ff80000
	s_xor_b32 exec_lo, exec_lo, s23
; %bb.195:
	v_cmp_ne_u16_e32 vcc_lo, 0, v5
	v_mov_b32_e32 v3, 0
	v_mov_b32_e32 v4, 0
	s_andn2_b32 s22, s22, exec_lo
	s_and_b32 s36, vcc_lo, exec_lo
	s_or_b32 s22, s22, s36
; %bb.196:
	s_or_b32 exec_lo, exec_lo, s23
	s_and_saveexec_b32 s23, s22
	s_cbranch_execz .LBB7_198
; %bb.197:
	v_and_b32_e32 v3, 0xffff, v5
	v_lshlrev_b32_e32 v5, 24, v5
	v_and_b32_e32 v4, 3, v3
	v_bfe_u32 v9, v3, 2, 5
	v_ffbh_u32_e32 v6, v4
	v_cmp_eq_u32_e32 vcc_lo, 0, v9
	v_min_u32_e32 v6, 32, v6
	v_subrev_nc_u32_e32 v8, 29, v6
	v_sub_nc_u32_e32 v6, 30, v6
	v_lshlrev_b32_e32 v3, v8, v3
	v_cndmask_b32_e32 v6, v9, v6, vcc_lo
	v_and_b32_e32 v3, 3, v3
	v_cndmask_b32_e32 v3, v4, v3, vcc_lo
	v_and_b32_e32 v4, 0x80000000, v5
	v_lshl_add_u32 v5, v6, 23, 0x37800000
	v_lshlrev_b32_e32 v3, 21, v3
	v_or3_b32 v3, v4, v5, v3
	v_cvt_f64_f32_e32 v[3:4], v3
.LBB7_198:
	s_or_b32 exec_lo, exec_lo, s23
	s_mov_b32 s22, 0
	s_branch .LBB7_202
.LBB7_199:
	s_mov_b32 s23, -1
                                        ; implicit-def: $vgpr3_vgpr4
	s_branch .LBB7_208
.LBB7_200:
	s_mov_b32 s22, -1
                                        ; implicit-def: $vgpr3_vgpr4
	s_branch .LBB7_205
.LBB7_201:
	s_mov_b32 s22, -1
                                        ; implicit-def: $vgpr3_vgpr4
.LBB7_202:
	s_and_b32 vcc_lo, exec_lo, s22
	s_cbranch_vccz .LBB7_204
; %bb.203:
	global_load_ubyte v3, v[1:2], off
	s_waitcnt vmcnt(0)
	v_lshlrev_b32_e32 v3, 24, v3
	v_and_b32_e32 v4, 0x7f000000, v3
	v_ffbh_u32_e32 v5, v4
	v_add_nc_u32_e32 v8, 0x1000000, v4
	v_cmp_ne_u32_e32 vcc_lo, 0, v4
	v_min_u32_e32 v5, 32, v5
	v_sub_nc_u32_e64 v5, v5, 4 clamp
	v_lshlrev_b32_e32 v6, v5, v4
	v_lshlrev_b32_e32 v5, 23, v5
	v_lshrrev_b32_e32 v6, 4, v6
	v_sub_nc_u32_e32 v5, v6, v5
	v_ashrrev_i32_e32 v6, 8, v8
	v_add_nc_u32_e32 v5, 0x3c000000, v5
	v_and_or_b32 v5, 0x7f800000, v6, v5
	v_cndmask_b32_e32 v4, 0, v5, vcc_lo
	v_and_or_b32 v3, 0x80000000, v3, v4
	v_cvt_f64_f32_e32 v[3:4], v3
.LBB7_204:
	s_mov_b32 s22, 0
.LBB7_205:
	s_andn2_b32 vcc_lo, exec_lo, s22
	s_cbranch_vccnz .LBB7_207
; %bb.206:
	global_load_ubyte v3, v[1:2], off
	s_waitcnt vmcnt(0)
	v_lshlrev_b32_e32 v4, 25, v3
	v_lshlrev_b16 v3, 8, v3
	v_lshrrev_b32_e32 v5, 4, v4
	v_and_or_b32 v6, 0x7f00, v3, 0.5
	v_cmp_gt_u32_e32 vcc_lo, 0x8000000, v4
	v_bfe_i32 v3, v3, 0, 16
	v_or_b32_e32 v5, 0x70000000, v5
	v_add_f32_e32 v6, -0.5, v6
	v_mul_f32_e32 v5, 0x7800000, v5
	v_cndmask_b32_e32 v4, v5, v6, vcc_lo
	v_and_or_b32 v3, 0x80000000, v3, v4
	v_cvt_f64_f32_e32 v[3:4], v3
.LBB7_207:
	s_mov_b32 s23, 0
	s_mov_b32 s22, -1
.LBB7_208:
	s_andn2_b32 vcc_lo, exec_lo, s23
	s_cbranch_vccnz .LBB7_219
; %bb.209:
	s_cmp_gt_i32 s0, 14
	s_cbranch_scc0 .LBB7_212
; %bb.210:
	s_cmp_eq_u32 s0, 15
	s_cbranch_scc0 .LBB7_213
; %bb.211:
	global_load_ushort v3, v[1:2], off
	s_mov_b32 s22, -1
	s_mov_b32 s1, 0
	s_waitcnt vmcnt(0)
	v_lshlrev_b32_e32 v3, 16, v3
	v_cvt_f64_f32_e32 v[3:4], v3
	s_branch .LBB7_214
.LBB7_212:
	s_mov_b32 s23, -1
                                        ; implicit-def: $vgpr3_vgpr4
	s_branch .LBB7_215
.LBB7_213:
	s_mov_b32 s1, -1
                                        ; implicit-def: $vgpr3_vgpr4
.LBB7_214:
	s_mov_b32 s23, 0
.LBB7_215:
	s_and_b32 vcc_lo, exec_lo, s23
	s_cbranch_vccz .LBB7_219
; %bb.216:
	s_cmp_eq_u32 s0, 11
	s_cbranch_scc0 .LBB7_218
; %bb.217:
	global_load_ubyte v3, v[1:2], off
	s_mov_b32 s1, 0
	s_mov_b32 s22, -1
	s_waitcnt vmcnt(0)
	v_cmp_ne_u16_e32 vcc_lo, 0, v3
	v_mov_b32_e32 v3, 0
	v_cndmask_b32_e64 v4, 0, 0x3ff00000, vcc_lo
	s_branch .LBB7_219
.LBB7_218:
	s_mov_b32 s1, -1
                                        ; implicit-def: $vgpr3_vgpr4
.LBB7_219:
	s_branch .LBB7_24
.LBB7_220:
	s_cmp_lt_i32 s0, 5
	s_cbranch_scc1 .LBB7_225
; %bb.221:
	s_cmp_lt_i32 s0, 8
	s_cbranch_scc1 .LBB7_226
; %bb.222:
	;; [unrolled: 3-line block ×3, first 2 shown]
	s_cmp_gt_i32 s0, 9
	s_cbranch_scc0 .LBB7_228
; %bb.224:
	global_load_dwordx2 v[3:4], v[1:2], off
	s_mov_b32 s22, 0
	s_branch .LBB7_229
.LBB7_225:
                                        ; implicit-def: $vgpr3_vgpr4
	s_branch .LBB7_247
.LBB7_226:
	s_mov_b32 s22, -1
                                        ; implicit-def: $vgpr3_vgpr4
	s_branch .LBB7_235
.LBB7_227:
	s_mov_b32 s22, -1
                                        ; implicit-def: $vgpr3_vgpr4
	s_branch .LBB7_232
.LBB7_228:
	s_mov_b32 s22, -1
                                        ; implicit-def: $vgpr3_vgpr4
.LBB7_229:
	s_andn2_b32 vcc_lo, exec_lo, s22
	s_cbranch_vccnz .LBB7_231
; %bb.230:
	global_load_dword v3, v[1:2], off
	s_waitcnt vmcnt(0)
	v_cvt_f64_f32_e32 v[3:4], v3
.LBB7_231:
	s_mov_b32 s22, 0
.LBB7_232:
	s_andn2_b32 vcc_lo, exec_lo, s22
	s_cbranch_vccnz .LBB7_234
; %bb.233:
	global_load_dword v3, v[1:2], off
	s_waitcnt vmcnt(0)
	v_cvt_f32_f16_e32 v3, v3
	v_cvt_f64_f32_e32 v[3:4], v3
.LBB7_234:
	s_mov_b32 s22, 0
.LBB7_235:
	s_andn2_b32 vcc_lo, exec_lo, s22
	s_cbranch_vccnz .LBB7_246
; %bb.236:
	s_cmp_lt_i32 s0, 6
	s_cbranch_scc1 .LBB7_239
; %bb.237:
	s_cmp_gt_i32 s0, 6
	s_cbranch_scc0 .LBB7_240
; %bb.238:
	global_load_dwordx2 v[3:4], v[1:2], off
	s_mov_b32 s22, 0
	s_branch .LBB7_241
.LBB7_239:
	s_mov_b32 s22, -1
                                        ; implicit-def: $vgpr3_vgpr4
	s_branch .LBB7_244
.LBB7_240:
	s_mov_b32 s22, -1
                                        ; implicit-def: $vgpr3_vgpr4
.LBB7_241:
	s_andn2_b32 vcc_lo, exec_lo, s22
	s_cbranch_vccnz .LBB7_243
; %bb.242:
	global_load_dword v3, v[1:2], off
	s_waitcnt vmcnt(0)
	v_cvt_f64_f32_e32 v[3:4], v3
.LBB7_243:
	s_mov_b32 s22, 0
.LBB7_244:
	s_andn2_b32 vcc_lo, exec_lo, s22
	s_cbranch_vccnz .LBB7_246
; %bb.245:
	global_load_ushort v3, v[1:2], off
	s_waitcnt vmcnt(0)
	v_cvt_f32_f16_e32 v3, v3
	v_cvt_f64_f32_e32 v[3:4], v3
.LBB7_246:
	s_cbranch_execnz .LBB7_266
.LBB7_247:
	s_cmp_lt_i32 s0, 2
	s_cbranch_scc1 .LBB7_251
; %bb.248:
	s_cmp_lt_i32 s0, 3
	s_cbranch_scc1 .LBB7_252
; %bb.249:
	s_cmp_gt_i32 s0, 3
	s_cbranch_scc0 .LBB7_253
; %bb.250:
	global_load_dwordx2 v[3:4], v[1:2], off
	s_mov_b32 s22, 0
	s_waitcnt vmcnt(0)
	v_cvt_f64_i32_e32 v[4:5], v4
	v_cvt_f64_u32_e32 v[8:9], v3
	v_ldexp_f64 v[4:5], v[4:5], 32
	v_add_f64 v[3:4], v[4:5], v[8:9]
	s_branch .LBB7_254
.LBB7_251:
	s_mov_b32 s22, -1
                                        ; implicit-def: $vgpr3_vgpr4
	s_branch .LBB7_260
.LBB7_252:
	s_mov_b32 s22, -1
                                        ; implicit-def: $vgpr3_vgpr4
	s_branch .LBB7_257
.LBB7_253:
	s_mov_b32 s22, -1
                                        ; implicit-def: $vgpr3_vgpr4
.LBB7_254:
	s_andn2_b32 vcc_lo, exec_lo, s22
	s_cbranch_vccnz .LBB7_256
; %bb.255:
	global_load_dword v3, v[1:2], off
	s_waitcnt vmcnt(0)
	v_cvt_f64_i32_e32 v[3:4], v3
.LBB7_256:
	s_mov_b32 s22, 0
.LBB7_257:
	s_andn2_b32 vcc_lo, exec_lo, s22
	s_cbranch_vccnz .LBB7_259
; %bb.258:
	global_load_sshort v3, v[1:2], off
	s_waitcnt vmcnt(0)
	v_cvt_f64_i32_e32 v[3:4], v3
.LBB7_259:
	s_mov_b32 s22, 0
.LBB7_260:
	s_andn2_b32 vcc_lo, exec_lo, s22
	s_cbranch_vccnz .LBB7_266
; %bb.261:
	s_cmp_gt_i32 s0, 0
	s_mov_b32 s0, 0
	s_cbranch_scc0 .LBB7_263
; %bb.262:
	global_load_sbyte v3, v[1:2], off
	s_waitcnt vmcnt(0)
	v_cvt_f64_i32_e32 v[3:4], v3
	s_branch .LBB7_264
.LBB7_263:
	s_mov_b32 s0, -1
                                        ; implicit-def: $vgpr3_vgpr4
.LBB7_264:
	s_andn2_b32 vcc_lo, exec_lo, s0
	s_cbranch_vccnz .LBB7_266
; %bb.265:
	global_load_ubyte v1, v[1:2], off
	s_waitcnt vmcnt(0)
	v_cvt_f64_u32_e32 v[3:4], v1
.LBB7_266:
	s_branch .LBB7_25
.LBB7_267:
	s_mov_b32 s22, 0
.LBB7_268:
	s_mov_b32 s0, 0
                                        ; implicit-def: $vgpr7
.LBB7_269:
	s_and_b32 s36, s22, exec_lo
	s_and_b32 s37, s1, exec_lo
	s_orn2_b32 s1, s0, exec_lo
.LBB7_270:
	s_or_b32 exec_lo, exec_lo, s38
	s_mov_b32 s22, 0
	s_mov_b32 s0, 0
                                        ; implicit-def: $vgpr0_vgpr1
                                        ; implicit-def: $vgpr2
                                        ; implicit-def: $vgpr3_vgpr4
	s_and_saveexec_b32 s38, s1
	s_cbranch_execz .LBB7_277
; %bb.271:
	s_mov_b32 s0, -1
	s_mov_b32 s39, s37
	s_mov_b32 s40, s36
	s_mov_b32 s41, exec_lo
	v_cmpx_gt_i32_e64 s33, v7
	s_cbranch_execz .LBB7_550
; %bb.272:
	s_andn2_b32 vcc_lo, exec_lo, s27
	s_cbranch_vccnz .LBB7_280
; %bb.273:
	s_andn2_b32 vcc_lo, exec_lo, s34
	s_cbranch_vccnz .LBB7_281
; %bb.274:
	s_add_i32 s40, s35, 1
	s_cmp_eq_u32 s25, 2
	s_cbranch_scc1 .LBB7_282
; %bb.275:
	v_mov_b32_e32 v2, 0
	v_mov_b32_e32 v0, 0
	;; [unrolled: 1-line block ×3, first 2 shown]
	s_and_b32 s39, s40, 28
	s_mov_b32 s42, 0
	s_mov_b64 s[0:1], s[2:3]
	s_mov_b64 s[22:23], s[20:21]
.LBB7_276:                              ; =>This Inner Loop Header: Depth=1
	s_clause 0x1
	s_load_dwordx8 s[44:51], s[0:1], 0x4
	s_load_dwordx4 s[60:63], s[0:1], 0x24
	s_load_dwordx8 s[52:59], s[22:23], 0x0
	s_add_u32 s0, s0, 48
	s_addc_u32 s1, s1, 0
	s_add_i32 s42, s42, 4
	s_add_u32 s22, s22, 32
	s_addc_u32 s23, s23, 0
	s_cmp_eq_u32 s39, s42
	s_waitcnt vmcnt(0) lgkmcnt(0)
	v_mul_hi_u32 v3, s45, v1
	v_add_nc_u32_e32 v3, v1, v3
	v_lshrrev_b32_e32 v3, s46, v3
	v_mul_hi_u32 v4, s48, v3
	v_mul_lo_u32 v6, v3, s44
	v_add_nc_u32_e32 v4, v3, v4
	v_sub_nc_u32_e32 v1, v1, v6
	v_lshrrev_b32_e32 v4, s49, v4
	v_mul_lo_u32 v6, v1, s52
	v_mul_lo_u32 v9, v1, s53
	v_mul_hi_u32 v5, s51, v4
	v_add_nc_u32_e32 v5, v4, v5
	v_lshrrev_b32_e32 v5, s60, v5
	v_mul_hi_u32 v8, s62, v5
	v_mul_lo_u32 v10, v5, s50
	v_add_nc_u32_e32 v1, v5, v8
	v_mul_lo_u32 v8, v4, s47
	v_sub_nc_u32_e32 v4, v4, v10
	v_lshrrev_b32_e32 v1, s63, v1
	v_mul_lo_u32 v10, v4, s56
	v_mul_lo_u32 v4, v4, s57
	v_sub_nc_u32_e32 v3, v3, v8
	v_mul_lo_u32 v11, v1, s61
	v_mul_lo_u32 v8, v3, s54
	;; [unrolled: 1-line block ×3, first 2 shown]
	v_sub_nc_u32_e32 v5, v5, v11
	v_add3_u32 v0, v6, v0, v8
	v_mul_lo_u32 v11, v5, s58
	v_mul_lo_u32 v5, v5, s59
	v_add3_u32 v2, v9, v2, v3
	v_add3_u32 v0, v10, v0, v11
	;; [unrolled: 1-line block ×3, first 2 shown]
	s_cbranch_scc0 .LBB7_276
	s_branch .LBB7_283
.LBB7_277:
	s_or_b32 exec_lo, exec_lo, s38
	s_mov_b32 s1, 0
	s_waitcnt lgkmcnt(0)
	s_and_saveexec_b32 s6, s37
	s_cbranch_execnz .LBB7_931
.LBB7_278:
	s_or_b32 exec_lo, exec_lo, s6
	s_and_saveexec_b32 s6, s39
	s_xor_b32 s6, exec_lo, s6
	s_cbranch_execz .LBB7_932
.LBB7_279:
	global_load_ubyte v3, v[0:1], off
	s_or_b32 s0, s0, exec_lo
	s_waitcnt vmcnt(0)
	v_cmp_ne_u16_e32 vcc_lo, 0, v3
	v_mov_b32_e32 v3, 0
	v_cndmask_b32_e64 v4, 0, 0x3ff00000, vcc_lo
	s_or_b32 exec_lo, exec_lo, s6
	s_and_saveexec_b32 s6, s22
	s_cbranch_execz .LBB7_978
	s_branch .LBB7_933
.LBB7_280:
                                        ; implicit-def: $vgpr0
                                        ; implicit-def: $vgpr2
	s_andn2_b32 vcc_lo, exec_lo, s0
	s_cbranch_vccz .LBB7_287
	s_branch .LBB7_289
.LBB7_281:
	v_mov_b32_e32 v0, 0
	v_mov_b32_e32 v2, 0
	s_branch .LBB7_286
.LBB7_282:
	v_mov_b32_e32 v0, 0
	v_mov_b32_e32 v2, 0
	;; [unrolled: 1-line block ×3, first 2 shown]
	s_mov_b32 s39, 0
.LBB7_283:
	s_and_b32 s40, s40, 3
	s_cmp_eq_u32 s40, 0
	s_cbranch_scc1 .LBB7_286
; %bb.284:
	s_lshl_b32 s0, s39, 3
	s_mul_i32 s22, s39, 12
	s_add_u32 s0, s2, s0
	s_addc_u32 s1, s3, 0
	s_add_u32 s0, s0, 0xc4
	s_addc_u32 s1, s1, 0
	;; [unrolled: 2-line block ×3, first 2 shown]
	.p2align	6
.LBB7_285:                              ; =>This Inner Loop Header: Depth=1
	s_clause 0x1
	s_load_dwordx2 s[42:43], s[22:23], 0x4
	s_load_dword s39, s[22:23], 0xc
	s_load_dwordx2 s[44:45], s[0:1], 0x0
	s_add_u32 s22, s22, 12
	s_addc_u32 s23, s23, 0
	s_add_u32 s0, s0, 8
	s_addc_u32 s1, s1, 0
	s_add_i32 s40, s40, -1
	s_cmp_lg_u32 s40, 0
	s_waitcnt vmcnt(0) lgkmcnt(0)
	v_mul_hi_u32 v3, s43, v1
	v_add_nc_u32_e32 v3, v1, v3
	v_lshrrev_b32_e32 v4, s39, v3
	v_mul_lo_u32 v3, v4, s42
	v_sub_nc_u32_e32 v3, v1, v3
	v_mad_u64_u32 v[0:1], null, v3, s44, v[0:1]
	v_mad_u64_u32 v[2:3], null, v3, s45, v[2:3]
	v_mov_b32_e32 v1, v4
	s_cbranch_scc1 .LBB7_285
.LBB7_286:
	s_cbranch_execnz .LBB7_289
.LBB7_287:
	s_waitcnt lgkmcnt(0)
	v_mul_hi_u32 v0, s17, v7
	s_andn2_b32 vcc_lo, exec_lo, s31
	v_add_nc_u32_e32 v0, v7, v0
	v_lshrrev_b32_e32 v1, s18, v0
	v_mul_lo_u32 v0, v1, s16
	v_sub_nc_u32_e32 v2, v7, v0
	v_mul_lo_u32 v0, v2, s12
	v_mul_lo_u32 v2, v2, s13
	s_cbranch_vccnz .LBB7_289
; %bb.288:
	s_waitcnt vmcnt(0)
	v_mul_hi_u32 v3, s6, v1
	v_add_nc_u32_e32 v3, v1, v3
	v_lshrrev_b32_e32 v3, s7, v3
	v_mul_lo_u32 v3, v3, s19
	v_sub_nc_u32_e32 v3, v1, v3
	v_mad_u64_u32 v[0:1], null, v3, s14, v[0:1]
	v_mad_u64_u32 v[2:3], null, v3, s15, v[2:3]
.LBB7_289:
	s_waitcnt lgkmcnt(0)
	v_add_co_u32 v1, s0, s10, v2
	v_add_co_ci_u32_e64 v2, null, s11, 0, s0
	s_and_b32 s0, 0xffff, s30
	s_cmp_lt_i32 s0, 11
	s_cbranch_scc1 .LBB7_296
; %bb.290:
	s_cmp_gt_i32 s0, 25
	s_cbranch_scc0 .LBB7_349
; %bb.291:
	s_cmp_gt_i32 s0, 28
	s_cbranch_scc0 .LBB7_350
	;; [unrolled: 3-line block ×4, first 2 shown]
; %bb.294:
	s_cmp_eq_u32 s0, 46
	s_mov_b32 s23, 0
	s_cbranch_scc0 .LBB7_360
; %bb.295:
	global_load_dword v3, v[1:2], off
	s_mov_b32 s22, -1
	s_mov_b32 s1, 0
	s_waitcnt vmcnt(0)
	v_lshlrev_b32_e32 v3, 16, v3
	v_cvt_f64_f32_e32 v[3:4], v3
	s_branch .LBB7_362
.LBB7_296:
	s_mov_b32 s22, 0
	s_mov_b32 s1, s37
                                        ; implicit-def: $vgpr3_vgpr4
	s_cbranch_execnz .LBB7_499
.LBB7_297:
	s_andn2_b32 vcc_lo, exec_lo, s22
	s_cbranch_vccnz .LBB7_547
.LBB7_298:
	s_waitcnt vmcnt(0)
	v_cmp_ngt_f64_e64 s0, 0x41d00000, |v[3:4]|
                                        ; implicit-def: $vgpr8
                                        ; implicit-def: $vgpr1_vgpr2
                                        ; implicit-def: $vgpr5_vgpr6
	s_and_saveexec_b32 s22, s0
	s_xor_b32 s0, exec_lo, s22
	s_cbranch_execz .LBB7_300
; %bb.299:
	v_ldexp_f64 v[1:2], |v[3:4]|, 0xffffff80
	v_cmp_le_f64_e64 vcc_lo, 0x7b000000, |v[3:4]|
	v_trig_preop_f64 v[5:6], |v[3:4]|, 0
	v_and_b32_e32 v8, 0x7fffffff, v4
	v_trig_preop_f64 v[18:19], |v[3:4]|, 2
	v_mov_b32_e32 v26, 0
	s_mov_b32 s22, 0x54442d18
	s_mov_b32 s23, 0x3ff921fb
	s_mov_b32 s42, 0x33145c07
	s_mov_b32 s43, 0x3c91a626
	v_cndmask_b32_e32 v2, v8, v2, vcc_lo
	v_cndmask_b32_e32 v1, v3, v1, vcc_lo
	v_trig_preop_f64 v[8:9], |v[3:4]|, 1
	v_mul_f64 v[10:11], v[5:6], v[1:2]
	v_mul_f64 v[24:25], v[18:19], v[1:2]
	;; [unrolled: 1-line block ×3, first 2 shown]
	v_fma_f64 v[5:6], v[5:6], v[1:2], -v[10:11]
	v_fma_f64 v[8:9], v[8:9], v[1:2], -v[12:13]
	v_fma_f64 v[1:2], v[18:19], v[1:2], -v[24:25]
	v_add_f64 v[14:15], v[12:13], v[5:6]
	v_add_f64 v[16:17], v[14:15], -v[12:13]
	v_add_f64 v[22:23], v[10:11], v[14:15]
	v_add_f64 v[20:21], v[14:15], -v[16:17]
	v_add_f64 v[5:6], v[5:6], -v[16:17]
	v_ldexp_f64 v[16:17], v[22:23], -2
	v_add_f64 v[10:11], v[22:23], -v[10:11]
	v_add_f64 v[12:13], v[12:13], -v[20:21]
	v_add_f64 v[20:21], v[24:25], v[8:9]
	v_cmp_neq_f64_e64 vcc_lo, 0x7ff00000, |v[16:17]|
	v_add_f64 v[10:11], v[14:15], -v[10:11]
	v_add_f64 v[5:6], v[5:6], v[12:13]
	v_fract_f64_e32 v[12:13], v[16:17]
	v_add_f64 v[14:15], v[20:21], v[5:6]
	v_ldexp_f64 v[12:13], v[12:13], 2
	v_add_f64 v[16:17], v[10:11], v[14:15]
	v_cndmask_b32_e32 v13, 0, v13, vcc_lo
	v_cndmask_b32_e32 v12, 0, v12, vcc_lo
	v_add_f64 v[22:23], v[16:17], v[12:13]
	v_add_f64 v[10:11], v[16:17], -v[10:11]
	v_cmp_gt_f64_e32 vcc_lo, 0, v[22:23]
	v_add_f64 v[22:23], v[20:21], -v[24:25]
	v_cndmask_b32_e64 v27, 0, 0x40100000, vcc_lo
	v_add_f64 v[31:32], v[20:21], -v[22:23]
	v_add_f64 v[8:9], v[8:9], -v[22:23]
	v_add_f64 v[12:13], v[12:13], v[26:27]
	v_add_f64 v[27:28], v[14:15], -v[20:21]
	v_add_f64 v[22:23], v[24:25], -v[31:32]
	v_add_f64 v[29:30], v[16:17], v[12:13]
	;; [unrolled: 3-line block ×3, first 2 shown]
	v_cvt_i32_f64_e32 v29, v[29:30]
	v_add_f64 v[20:21], v[20:21], -v[33:34]
	v_cvt_f64_i32_e32 v[27:28], v29
	v_add_f64 v[5:6], v[5:6], v[20:21]
	v_add_f64 v[12:13], v[12:13], -v[27:28]
	v_add_f64 v[5:6], v[8:9], v[5:6]
	v_add_f64 v[8:9], v[14:15], -v[10:11]
	v_add_f64 v[18:19], v[16:17], v[12:13]
	v_add_f64 v[1:2], v[1:2], v[5:6]
	v_add_f64 v[5:6], v[18:19], -v[12:13]
	v_cmp_le_f64_e32 vcc_lo, 0.5, v[18:19]
	v_add_f64 v[1:2], v[8:9], v[1:2]
	v_add_f64 v[5:6], v[16:17], -v[5:6]
	v_cndmask_b32_e64 v27, 0, 0x3ff00000, vcc_lo
	v_add_co_ci_u32_e64 v8, null, 0, v29, vcc_lo
	v_add_f64 v[1:2], v[1:2], v[5:6]
	v_add_f64 v[5:6], v[18:19], -v[26:27]
	v_add_f64 v[9:10], v[5:6], v[1:2]
	v_mul_f64 v[11:12], v[9:10], s[22:23]
	v_add_f64 v[5:6], v[9:10], -v[5:6]
	v_fma_f64 v[13:14], v[9:10], s[22:23], -v[11:12]
	v_add_f64 v[1:2], v[1:2], -v[5:6]
	v_fma_f64 v[5:6], v[9:10], s[42:43], v[13:14]
	v_fma_f64 v[5:6], v[1:2], s[22:23], v[5:6]
	v_add_f64 v[1:2], v[11:12], v[5:6]
	v_add_f64 v[9:10], v[1:2], -v[11:12]
	v_add_f64 v[5:6], v[5:6], -v[9:10]
.LBB7_300:
	s_andn2_saveexec_b32 s0, s0
	s_cbranch_execz .LBB7_302
; %bb.301:
	s_mov_b32 s22, 0x6dc9c883
	s_mov_b32 s23, 0x3fe45f30
	;; [unrolled: 1-line block ×3, first 2 shown]
	v_mul_f64 v[1:2], |v[3:4]|, s[22:23]
	s_mov_b32 s22, 0x54442d18
	s_mov_b32 s23, 0xbff921fb
	s_mov_b32 s42, 0x33145c00
	v_rndne_f64_e32 v[8:9], v[1:2]
	v_fma_f64 v[1:2], v[8:9], s[22:23], |v[3:4]|
	v_mul_f64 v[5:6], v[8:9], s[42:43]
	s_mov_b32 s22, 0x252049c0
	s_mov_b32 s23, 0xb97b839a
	v_fma_f64 v[12:13], v[8:9], s[42:43], v[1:2]
	v_add_f64 v[10:11], v[1:2], v[5:6]
	s_mov_b32 s43, 0x3c91a626
	v_add_f64 v[1:2], v[1:2], -v[10:11]
	v_add_f64 v[10:11], v[10:11], -v[12:13]
	v_add_f64 v[1:2], v[1:2], v[5:6]
	v_fma_f64 v[5:6], v[8:9], s[42:43], v[5:6]
	v_add_f64 v[1:2], v[10:11], v[1:2]
	v_add_f64 v[1:2], v[1:2], -v[5:6]
	v_fma_f64 v[5:6], v[8:9], s[22:23], v[1:2]
	v_cvt_i32_f64_e32 v8, v[8:9]
	v_add_f64 v[1:2], v[12:13], v[5:6]
	v_add_f64 v[10:11], v[1:2], -v[12:13]
	v_add_f64 v[5:6], v[5:6], -v[10:11]
.LBB7_302:
	s_or_b32 exec_lo, exec_lo, s0
	v_mul_f64 v[9:10], v[1:2], v[1:2]
	s_mov_b32 s22, 0xb42fdfa7
	s_mov_b32 s42, 0xf9a43bb8
	;; [unrolled: 1-line block ×6, first 2 shown]
	v_mul_f64 v[19:20], v[5:6], 0.5
	v_cmp_class_f64_e64 s0, v[3:4], 0x1f8
	v_lshlrev_b32_e32 v3, 30, v8
	s_mov_b32 s39, 0
	v_xor_b32_e32 v3, v3, v4
	v_and_b32_e32 v3, 0x80000000, v3
	v_fma_f64 v[11:12], v[9:10], s[42:43], s[22:23]
	s_mov_b32 s22, 0x9037ab78
	s_mov_b32 s42, 0x46cc5e42
	;; [unrolled: 1-line block ×4, first 2 shown]
	v_mul_f64 v[15:16], v[9:10], 0.5
	v_fma_f64 v[13:14], v[9:10], s[42:43], s[22:23]
	s_mov_b32 s22, 0xa17f65f6
	s_mov_b32 s42, 0x19e83e5c
	;; [unrolled: 1-line block ×4, first 2 shown]
	v_mul_f64 v[21:22], v[1:2], -v[9:10]
	v_fma_f64 v[11:12], v[9:10], v[11:12], s[44:45]
	v_add_f64 v[17:18], -v[15:16], 1.0
	v_fma_f64 v[13:14], v[9:10], v[13:14], s[22:23]
	s_mov_b32 s22, 0x19f4ec90
	s_mov_b32 s23, 0x3efa01a0
	v_fma_f64 v[11:12], v[9:10], v[11:12], s[42:43]
	s_mov_b32 s42, 0x11110bb3
	s_mov_b32 s43, 0x3f811111
	v_add_f64 v[23:24], -v[17:18], 1.0
	v_fma_f64 v[13:14], v[9:10], v[13:14], s[22:23]
	s_mov_b32 s22, 0x16c16967
	s_mov_b32 s23, 0xbf56c16c
	v_fma_f64 v[11:12], v[9:10], v[11:12], s[42:43]
	v_add_f64 v[15:16], v[23:24], -v[15:16]
	v_fma_f64 v[13:14], v[9:10], v[13:14], s[22:23]
	s_mov_b32 s23, 0x3fa55555
	s_mov_b32 s22, 0x55555555
	v_fma_f64 v[11:12], v[21:22], v[11:12], v[19:20]
	v_mul_f64 v[19:20], v[9:10], v[9:10]
	v_fma_f64 v[15:16], v[1:2], -v[5:6], v[15:16]
	v_fma_f64 v[13:14], v[9:10], v[13:14], s[22:23]
	s_mov_b32 s23, 0xbfc55555
	v_fma_f64 v[5:6], v[9:10], v[11:12], -v[5:6]
	v_fma_f64 v[9:10], v[19:20], v[13:14], v[15:16]
	v_fma_f64 v[5:6], v[21:22], s[22:23], v[5:6]
	v_add_co_u32 v4, s22, s8, v0
	s_mov_b32 s23, -1
	v_add_f64 v[9:10], v[17:18], v[9:10]
	v_add_f64 v[1:2], v[1:2], -v[5:6]
	v_and_b32_e32 v5, 1, v8
	v_cmp_eq_u32_e32 vcc_lo, 0, v5
	v_add_co_ci_u32_e64 v5, null, s9, 0, s22
	s_and_b32 s22, s29, 0xff
	s_cmp_lt_i32 s22, 11
	v_cndmask_b32_e32 v2, v10, v2, vcc_lo
	v_cndmask_b32_e32 v1, v9, v1, vcc_lo
	v_xor_b32_e32 v2, v2, v3
	v_cndmask_b32_e64 v0, 0, v1, s0
	v_cndmask_b32_e64 v1, 0x7ff80000, v2, s0
	s_mov_b32 s0, s36
	s_cbranch_scc1 .LBB7_309
; %bb.303:
	s_and_b32 s23, 0xffff, s22
	s_cmp_gt_i32 s23, 25
	s_cbranch_scc0 .LBB7_351
; %bb.304:
	s_cmp_gt_i32 s23, 28
	s_cbranch_scc0 .LBB7_353
; %bb.305:
	;; [unrolled: 3-line block ×4, first 2 shown]
	s_mov_b32 s40, 0
	s_mov_b32 s0, -1
	s_cmp_eq_u32 s23, 46
	s_cbranch_scc0 .LBB7_366
; %bb.308:
	v_cvt_f32_f64_e32 v2, v[0:1]
	s_mov_b32 s39, -1
	s_mov_b32 s0, 0
	v_bfe_u32 v3, v2, 16, 1
	v_cmp_o_f32_e32 vcc_lo, v2, v2
	v_add3_u32 v2, v2, v3, 0x7fff
	v_mov_b32_e32 v3, 0x7fc0
	v_cndmask_b32_sdwa v2, v3, v2, vcc_lo dst_sel:DWORD dst_unused:UNUSED_PAD src0_sel:DWORD src1_sel:WORD_1
	global_store_dword v[4:5], v2, off
	s_branch .LBB7_366
.LBB7_309:
	s_and_b32 vcc_lo, exec_lo, s23
	s_cbranch_vccz .LBB7_435
; %bb.310:
	s_and_b32 s22, 0xffff, s22
	s_mov_b32 s23, -1
	s_cmp_lt_i32 s22, 5
	s_cbranch_scc1 .LBB7_331
; %bb.311:
	s_cmp_lt_i32 s22, 8
	s_cbranch_scc1 .LBB7_321
; %bb.312:
	;; [unrolled: 3-line block ×3, first 2 shown]
	s_cmp_gt_i32 s22, 9
	s_cbranch_scc0 .LBB7_315
; %bb.314:
	v_mov_b32_e32 v2, 0
	s_mov_b32 s23, 0
	v_mov_b32_e32 v3, v2
	global_store_dwordx4 v[4:5], v[0:3], off
.LBB7_315:
	s_andn2_b32 vcc_lo, exec_lo, s23
	s_cbranch_vccnz .LBB7_317
; %bb.316:
	v_cvt_f32_f64_e32 v2, v[0:1]
	v_mov_b32_e32 v3, 0
	global_store_dwordx2 v[4:5], v[2:3], off
.LBB7_317:
	s_mov_b32 s23, 0
.LBB7_318:
	s_andn2_b32 vcc_lo, exec_lo, s23
	s_cbranch_vccnz .LBB7_320
; %bb.319:
	v_and_or_b32 v2, 0x1ff, v1, v0
	v_lshrrev_b32_e32 v3, 8, v1
	v_bfe_u32 v6, v1, 20, 11
	v_cmp_ne_u32_e32 vcc_lo, 0, v2
	v_sub_nc_u32_e32 v8, 0x3f1, v6
	v_add_nc_u32_e32 v6, 0xfffffc10, v6
	v_cndmask_b32_e64 v2, 0, 1, vcc_lo
	v_and_or_b32 v2, 0xffe, v3, v2
	v_med3_i32 v3, v8, 0, 13
	v_or_b32_e32 v8, 0x1000, v2
	v_lshrrev_b32_e32 v9, v3, v8
	v_lshlrev_b32_e32 v3, v3, v9
	v_cmp_ne_u32_e32 vcc_lo, v3, v8
	v_lshl_or_b32 v8, v6, 12, v2
	v_cndmask_b32_e64 v3, 0, 1, vcc_lo
	v_cmp_gt_i32_e32 vcc_lo, 1, v6
	v_or_b32_e32 v3, v9, v3
	v_cndmask_b32_e32 v3, v8, v3, vcc_lo
	v_and_b32_e32 v8, 7, v3
	v_lshrrev_b32_e32 v3, 2, v3
	v_cmp_lt_i32_e32 vcc_lo, 5, v8
	v_cndmask_b32_e64 v9, 0, 1, vcc_lo
	v_cmp_eq_u32_e32 vcc_lo, 3, v8
	v_cndmask_b32_e64 v8, 0, 1, vcc_lo
	v_cmp_ne_u32_e32 vcc_lo, 0, v2
	v_or_b32_e32 v8, v8, v9
	v_mov_b32_e32 v9, 0x7e00
	v_add_nc_u32_e32 v3, v3, v8
	v_cndmask_b32_e32 v2, 0x7c00, v9, vcc_lo
	v_cmp_gt_i32_e32 vcc_lo, 31, v6
	v_cndmask_b32_e32 v3, 0x7c00, v3, vcc_lo
	v_cmp_eq_u32_e32 vcc_lo, 0x40f, v6
	v_cndmask_b32_e32 v2, v3, v2, vcc_lo
	v_lshrrev_b32_e32 v3, 16, v1
	v_and_or_b32 v2, 0x8000, v3, v2
	v_and_b32_e32 v2, 0xffff, v2
	global_store_dword v[4:5], v2, off
.LBB7_320:
	s_mov_b32 s23, 0
.LBB7_321:
	s_andn2_b32 vcc_lo, exec_lo, s23
	s_cbranch_vccnz .LBB7_330
; %bb.322:
	s_cmp_lt_i32 s22, 6
	s_mov_b32 s23, -1
	s_cbranch_scc1 .LBB7_328
; %bb.323:
	s_cmp_gt_i32 s22, 6
	s_cbranch_scc0 .LBB7_325
; %bb.324:
	s_mov_b32 s23, 0
	global_store_dwordx2 v[4:5], v[0:1], off
.LBB7_325:
	s_andn2_b32 vcc_lo, exec_lo, s23
	s_cbranch_vccnz .LBB7_327
; %bb.326:
	v_cvt_f32_f64_e32 v2, v[0:1]
	global_store_dword v[4:5], v2, off
.LBB7_327:
	s_mov_b32 s23, 0
.LBB7_328:
	s_andn2_b32 vcc_lo, exec_lo, s23
	s_cbranch_vccnz .LBB7_330
; %bb.329:
	v_and_or_b32 v2, 0x1ff, v1, v0
	v_lshrrev_b32_e32 v3, 8, v1
	v_bfe_u32 v6, v1, 20, 11
	v_cmp_ne_u32_e32 vcc_lo, 0, v2
	v_sub_nc_u32_e32 v8, 0x3f1, v6
	v_add_nc_u32_e32 v6, 0xfffffc10, v6
	v_cndmask_b32_e64 v2, 0, 1, vcc_lo
	v_and_or_b32 v2, 0xffe, v3, v2
	v_med3_i32 v3, v8, 0, 13
	v_or_b32_e32 v8, 0x1000, v2
	v_lshrrev_b32_e32 v9, v3, v8
	v_lshlrev_b32_e32 v3, v3, v9
	v_cmp_ne_u32_e32 vcc_lo, v3, v8
	v_lshl_or_b32 v8, v6, 12, v2
	v_cndmask_b32_e64 v3, 0, 1, vcc_lo
	v_cmp_gt_i32_e32 vcc_lo, 1, v6
	v_or_b32_e32 v3, v9, v3
	v_cndmask_b32_e32 v3, v8, v3, vcc_lo
	v_and_b32_e32 v8, 7, v3
	v_lshrrev_b32_e32 v3, 2, v3
	v_cmp_lt_i32_e32 vcc_lo, 5, v8
	v_cndmask_b32_e64 v9, 0, 1, vcc_lo
	v_cmp_eq_u32_e32 vcc_lo, 3, v8
	v_cndmask_b32_e64 v8, 0, 1, vcc_lo
	v_cmp_ne_u32_e32 vcc_lo, 0, v2
	v_or_b32_e32 v8, v8, v9
	v_mov_b32_e32 v9, 0x7e00
	v_add_nc_u32_e32 v3, v3, v8
	v_cndmask_b32_e32 v2, 0x7c00, v9, vcc_lo
	v_cmp_gt_i32_e32 vcc_lo, 31, v6
	v_cndmask_b32_e32 v3, 0x7c00, v3, vcc_lo
	v_cmp_eq_u32_e32 vcc_lo, 0x40f, v6
	v_cndmask_b32_e32 v2, v3, v2, vcc_lo
	v_lshrrev_b32_e32 v3, 16, v1
	v_and_or_b32 v2, 0x8000, v3, v2
	global_store_short v[4:5], v2, off
.LBB7_330:
	s_mov_b32 s23, 0
.LBB7_331:
	s_andn2_b32 vcc_lo, exec_lo, s23
	s_cbranch_vccnz .LBB7_347
; %bb.332:
	s_cmp_lt_i32 s22, 2
	s_mov_b32 s23, -1
	s_cbranch_scc1 .LBB7_342
; %bb.333:
	s_cmp_lt_i32 s22, 3
	s_cbranch_scc1 .LBB7_339
; %bb.334:
	s_cmp_gt_i32 s22, 3
	s_cbranch_scc0 .LBB7_336
; %bb.335:
	v_trunc_f64_e32 v[2:3], v[0:1]
	s_mov_b32 s23, 0
	v_ldexp_f64 v[8:9], v[2:3], 0xffffffe0
	v_floor_f64_e32 v[8:9], v[8:9]
	v_fma_f64 v[2:3], 0xc1f00000, v[8:9], v[2:3]
	v_cvt_i32_f64_e32 v9, v[8:9]
	v_cvt_u32_f64_e32 v8, v[2:3]
	global_store_dwordx2 v[4:5], v[8:9], off
.LBB7_336:
	s_andn2_b32 vcc_lo, exec_lo, s23
	s_cbranch_vccnz .LBB7_338
; %bb.337:
	v_cvt_i32_f64_e32 v2, v[0:1]
	global_store_dword v[4:5], v2, off
.LBB7_338:
	s_mov_b32 s23, 0
.LBB7_339:
	s_andn2_b32 vcc_lo, exec_lo, s23
	s_cbranch_vccnz .LBB7_341
; %bb.340:
	v_cvt_i32_f64_e32 v2, v[0:1]
	global_store_short v[4:5], v2, off
.LBB7_341:
	s_mov_b32 s23, 0
.LBB7_342:
	s_andn2_b32 vcc_lo, exec_lo, s23
	s_cbranch_vccnz .LBB7_347
; %bb.343:
	s_cmp_gt_i32 s22, 0
	s_mov_b32 s22, -1
	s_cbranch_scc0 .LBB7_345
; %bb.344:
	v_cvt_i32_f64_e32 v2, v[0:1]
	s_mov_b32 s22, 0
	global_store_byte v[4:5], v2, off
.LBB7_345:
	s_andn2_b32 vcc_lo, exec_lo, s22
	s_cbranch_vccnz .LBB7_347
; %bb.346:
	v_trunc_f64_e32 v[0:1], v[0:1]
	v_ldexp_f64 v[2:3], v[0:1], 0xffffffe0
	v_floor_f64_e32 v[2:3], v[2:3]
	v_fma_f64 v[0:1], 0xc1f00000, v[2:3], v[0:1]
	v_cvt_u32_f64_e32 v0, v[0:1]
	global_store_byte v[4:5], v0, off
.LBB7_347:
	s_branch .LBB7_436
.LBB7_348:
	s_mov_b32 s22, 0
	s_branch .LBB7_548
.LBB7_349:
	s_mov_b32 s23, -1
	s_mov_b32 s22, 0
	s_mov_b32 s1, s37
                                        ; implicit-def: $vgpr3_vgpr4
	s_branch .LBB7_465
.LBB7_350:
	s_mov_b32 s23, -1
	s_mov_b32 s22, 0
	s_mov_b32 s1, s37
                                        ; implicit-def: $vgpr3_vgpr4
	s_branch .LBB7_444
.LBB7_351:
	s_mov_b32 s40, -1
	s_mov_b32 s0, s36
	s_branch .LBB7_393
.LBB7_352:
	s_mov_b32 s23, -1
	s_mov_b32 s22, 0
	s_mov_b32 s1, s37
                                        ; implicit-def: $vgpr3_vgpr4
	s_branch .LBB7_439
.LBB7_353:
	s_mov_b32 s40, -1
	s_mov_b32 s0, s36
	s_branch .LBB7_376
.LBB7_354:
	s_andn2_saveexec_b32 s40, s40
	s_cbranch_execz .LBB7_109
.LBB7_355:
	v_add_f32_e64 v3, 0x46000000, |v2|
	s_andn2_b32 s37, s37, exec_lo
	v_and_b32_e32 v3, 0xff, v3
	v_cmp_ne_u32_e32 vcc_lo, 0, v3
	s_and_b32 s41, vcc_lo, exec_lo
	s_or_b32 s37, s37, s41
	s_or_b32 exec_lo, exec_lo, s40
	v_mov_b32_e32 v6, 0
	s_and_saveexec_b32 s40, s37
	s_cbranch_execnz .LBB7_110
	s_branch .LBB7_111
.LBB7_356:
	s_mov_b32 s23, -1
	s_mov_b32 s22, 0
	s_mov_b32 s1, s37
	s_branch .LBB7_361
.LBB7_357:
	s_mov_b32 s40, -1
	s_mov_b32 s0, s36
	s_branch .LBB7_372
.LBB7_358:
	s_andn2_saveexec_b32 s40, s40
	s_cbranch_execz .LBB7_122
.LBB7_359:
	v_add_f32_e64 v3, 0x42800000, |v2|
	s_andn2_b32 s37, s37, exec_lo
	v_and_b32_e32 v3, 0xff, v3
	v_cmp_ne_u32_e32 vcc_lo, 0, v3
	s_and_b32 s41, vcc_lo, exec_lo
	s_or_b32 s37, s37, s41
	s_or_b32 exec_lo, exec_lo, s40
	v_mov_b32_e32 v6, 0
	s_and_saveexec_b32 s40, s37
	s_cbranch_execnz .LBB7_123
	s_branch .LBB7_124
.LBB7_360:
	s_mov_b32 s1, -1
	s_mov_b32 s22, 0
.LBB7_361:
                                        ; implicit-def: $vgpr3_vgpr4
.LBB7_362:
	s_and_b32 vcc_lo, exec_lo, s23
	s_cbranch_vccz .LBB7_438
; %bb.363:
	s_cmp_eq_u32 s0, 44
	s_cbranch_scc0 .LBB7_437
; %bb.364:
	global_load_ubyte v5, v[1:2], off
	s_mov_b32 s1, 0
	s_mov_b32 s22, -1
	s_waitcnt vmcnt(0)
	v_lshlrev_b32_e32 v3, 23, v5
	v_cmp_ne_u32_e32 vcc_lo, 0xff, v5
	v_cvt_f64_f32_e32 v[3:4], v3
	v_cndmask_b32_e32 v3, 0x20000000, v3, vcc_lo
	v_cndmask_b32_e32 v4, 0x7ff80000, v4, vcc_lo
	v_cmp_ne_u32_e32 vcc_lo, 0, v5
	v_cndmask_b32_e32 v4, 0x38000000, v4, vcc_lo
	v_cndmask_b32_e32 v3, 0, v3, vcc_lo
	s_branch .LBB7_438
.LBB7_365:
	s_mov_b32 s40, -1
	s_mov_b32 s0, s36
.LBB7_366:
	s_and_b32 vcc_lo, exec_lo, s40
	s_cbranch_vccz .LBB7_371
; %bb.367:
	s_cmp_eq_u32 s23, 44
	s_mov_b32 s0, -1
	s_cbranch_scc0 .LBB7_371
; %bb.368:
	v_cvt_f32_f64_e32 v2, v[0:1]
	v_mov_b32_e32 v3, 0xff
	s_mov_b32 s39, exec_lo
	v_bfe_u32 v6, v2, 23, 8
	v_cmpx_ne_u32_e32 0xff, v6
	s_cbranch_execz .LBB7_370
; %bb.369:
	v_and_b32_e32 v3, 0x400000, v2
	v_and_or_b32 v6, 0x3fffff, v2, v6
	v_lshrrev_b32_e32 v2, 23, v2
	v_cmp_ne_u32_e32 vcc_lo, 0, v3
	v_cmp_ne_u32_e64 s0, 0, v6
	s_and_b32 s0, vcc_lo, s0
	v_cndmask_b32_e64 v3, 0, 1, s0
	v_add_nc_u32_e32 v3, v2, v3
.LBB7_370:
	s_or_b32 exec_lo, exec_lo, s39
	s_mov_b32 s39, -1
	s_mov_b32 s0, 0
	global_store_byte v[4:5], v3, off
.LBB7_371:
	s_mov_b32 s40, 0
.LBB7_372:
	s_and_b32 vcc_lo, exec_lo, s40
	s_cbranch_vccz .LBB7_375
; %bb.373:
	s_cmp_eq_u32 s23, 29
	s_mov_b32 s0, -1
	s_cbranch_scc0 .LBB7_375
; %bb.374:
	v_trunc_f64_e32 v[2:3], v[0:1]
	s_mov_b32 s39, -1
	s_mov_b32 s0, 0
	s_mov_b32 s40, 0
	v_ldexp_f64 v[8:9], v[2:3], 0xffffffe0
	v_floor_f64_e32 v[8:9], v[8:9]
	v_fma_f64 v[2:3], 0xc1f00000, v[8:9], v[2:3]
	v_cvt_u32_f64_e32 v9, v[8:9]
	v_cvt_u32_f64_e32 v8, v[2:3]
	global_store_dwordx2 v[4:5], v[8:9], off
	s_branch .LBB7_376
.LBB7_375:
	s_mov_b32 s40, 0
.LBB7_376:
	s_and_b32 vcc_lo, exec_lo, s40
	s_cbranch_vccz .LBB7_392
; %bb.377:
	s_cmp_lt_i32 s23, 27
	s_mov_b32 s39, -1
	s_cbranch_scc1 .LBB7_383
; %bb.378:
	v_cvt_u32_f64_e32 v2, v[0:1]
	s_cmp_gt_i32 s23, 27
	s_cbranch_scc0 .LBB7_380
; %bb.379:
	s_mov_b32 s39, 0
	global_store_dword v[4:5], v2, off
.LBB7_380:
	s_andn2_b32 vcc_lo, exec_lo, s39
	s_cbranch_vccnz .LBB7_382
; %bb.381:
	global_store_short v[4:5], v2, off
.LBB7_382:
	s_mov_b32 s39, 0
.LBB7_383:
	s_andn2_b32 vcc_lo, exec_lo, s39
	s_cbranch_vccnz .LBB7_391
; %bb.384:
	v_cvt_f32_f64_e32 v2, v[0:1]
	v_mov_b32_e32 v6, 0x80
	s_mov_b32 s39, exec_lo
	v_and_b32_e32 v3, 0x7fffffff, v2
	v_cmpx_gt_u32_e32 0x43800000, v3
	s_cbranch_execz .LBB7_390
; %bb.385:
	v_cmp_lt_u32_e32 vcc_lo, 0x3bffffff, v3
	s_mov_b32 s40, 0
                                        ; implicit-def: $vgpr3
	s_and_saveexec_b32 s42, vcc_lo
	s_xor_b32 s42, exec_lo, s42
	s_cbranch_execz .LBB7_578
; %bb.386:
	v_bfe_u32 v3, v2, 20, 1
	s_mov_b32 s40, exec_lo
	v_add3_u32 v3, v2, v3, 0x487ffff
	v_lshrrev_b32_e32 v3, 20, v3
	s_andn2_saveexec_b32 s42, s42
	s_cbranch_execnz .LBB7_579
.LBB7_387:
	s_or_b32 exec_lo, exec_lo, s42
	v_mov_b32_e32 v6, 0
	s_and_saveexec_b32 s42, s40
.LBB7_388:
	v_lshrrev_b32_e32 v2, 24, v2
	v_and_or_b32 v6, 0x80, v2, v3
.LBB7_389:
	s_or_b32 exec_lo, exec_lo, s42
.LBB7_390:
	s_or_b32 exec_lo, exec_lo, s39
	global_store_byte v[4:5], v6, off
.LBB7_391:
	s_mov_b32 s39, -1
.LBB7_392:
	s_mov_b32 s40, 0
.LBB7_393:
	s_and_b32 vcc_lo, exec_lo, s40
	s_cbranch_vccz .LBB7_434
; %bb.394:
	s_cmp_gt_i32 s23, 22
	s_mov_b32 s40, -1
	s_cbranch_scc0 .LBB7_426
; %bb.395:
	s_cmp_lt_i32 s23, 24
	s_mov_b32 s39, -1
	s_cbranch_scc1 .LBB7_415
; %bb.396:
	s_cmp_gt_i32 s23, 24
	s_cbranch_scc0 .LBB7_404
; %bb.397:
	v_cvt_f32_f64_e32 v2, v[0:1]
	v_mov_b32_e32 v6, 0x80
	s_mov_b32 s39, exec_lo
	v_and_b32_e32 v3, 0x7fffffff, v2
	v_cmpx_gt_u32_e32 0x47800000, v3
	s_cbranch_execz .LBB7_403
; %bb.398:
	v_cmp_lt_u32_e32 vcc_lo, 0x37ffffff, v3
	s_mov_b32 s40, 0
                                        ; implicit-def: $vgpr3
	s_and_saveexec_b32 s42, vcc_lo
	s_xor_b32 s42, exec_lo, s42
	s_cbranch_execz .LBB7_581
; %bb.399:
	v_bfe_u32 v3, v2, 21, 1
	s_mov_b32 s40, exec_lo
	v_add3_u32 v3, v2, v3, 0x88fffff
	v_lshrrev_b32_e32 v3, 21, v3
	s_andn2_saveexec_b32 s42, s42
	s_cbranch_execnz .LBB7_582
.LBB7_400:
	s_or_b32 exec_lo, exec_lo, s42
	v_mov_b32_e32 v6, 0
	s_and_saveexec_b32 s42, s40
.LBB7_401:
	v_lshrrev_b32_e32 v2, 24, v2
	v_and_or_b32 v6, 0x80, v2, v3
.LBB7_402:
	s_or_b32 exec_lo, exec_lo, s42
.LBB7_403:
	s_or_b32 exec_lo, exec_lo, s39
	s_mov_b32 s39, 0
	global_store_byte v[4:5], v6, off
.LBB7_404:
	s_and_b32 vcc_lo, exec_lo, s39
	s_cbranch_vccz .LBB7_414
; %bb.405:
	v_cvt_f32_f64_e32 v2, v[0:1]
	s_mov_b32 s39, exec_lo
                                        ; implicit-def: $vgpr3
	v_and_b32_e32 v6, 0x7fffffff, v2
	v_cmpx_gt_u32_e32 0x43f00000, v6
	s_xor_b32 s39, exec_lo, s39
	s_cbranch_execz .LBB7_411
; %bb.406:
	s_mov_b32 s40, exec_lo
                                        ; implicit-def: $vgpr3
	v_cmpx_lt_u32_e32 0x3c7fffff, v6
	s_xor_b32 s40, exec_lo, s40
; %bb.407:
	v_bfe_u32 v3, v2, 20, 1
	v_add3_u32 v3, v2, v3, 0x407ffff
	v_and_b32_e32 v6, 0xff00000, v3
	v_lshrrev_b32_e32 v3, 20, v3
	v_cmp_ne_u32_e32 vcc_lo, 0x7f00000, v6
	v_cndmask_b32_e32 v3, 0x7e, v3, vcc_lo
; %bb.408:
	s_andn2_saveexec_b32 s40, s40
; %bb.409:
	v_add_f32_e64 v3, 0x46800000, |v2|
; %bb.410:
	s_or_b32 exec_lo, exec_lo, s40
                                        ; implicit-def: $vgpr6
.LBB7_411:
	s_andn2_saveexec_b32 s39, s39
; %bb.412:
	v_mov_b32_e32 v3, 0x7f
	v_cmp_lt_u32_e32 vcc_lo, 0x7f800000, v6
	v_cndmask_b32_e32 v3, 0x7e, v3, vcc_lo
; %bb.413:
	s_or_b32 exec_lo, exec_lo, s39
	v_lshrrev_b32_e32 v2, 24, v2
	v_and_or_b32 v2, 0x80, v2, v3
	global_store_byte v[4:5], v2, off
.LBB7_414:
	s_mov_b32 s39, 0
.LBB7_415:
	s_andn2_b32 vcc_lo, exec_lo, s39
	s_cbranch_vccnz .LBB7_425
; %bb.416:
	v_cvt_f32_f64_e32 v2, v[0:1]
	s_mov_b32 s39, exec_lo
                                        ; implicit-def: $vgpr3
	v_and_b32_e32 v6, 0x7fffffff, v2
	v_cmpx_gt_u32_e32 0x47800000, v6
	s_xor_b32 s39, exec_lo, s39
	s_cbranch_execz .LBB7_422
; %bb.417:
	s_mov_b32 s40, exec_lo
                                        ; implicit-def: $vgpr3
	v_cmpx_lt_u32_e32 0x387fffff, v6
	s_xor_b32 s40, exec_lo, s40
; %bb.418:
	v_bfe_u32 v3, v2, 21, 1
	v_add3_u32 v3, v2, v3, 0x80fffff
	v_lshrrev_b32_e32 v3, 21, v3
; %bb.419:
	s_andn2_saveexec_b32 s40, s40
; %bb.420:
	v_add_f32_e64 v3, 0x43000000, |v2|
; %bb.421:
	s_or_b32 exec_lo, exec_lo, s40
                                        ; implicit-def: $vgpr6
.LBB7_422:
	s_andn2_saveexec_b32 s39, s39
; %bb.423:
	v_mov_b32_e32 v3, 0x7f
	v_cmp_lt_u32_e32 vcc_lo, 0x7f800000, v6
	v_cndmask_b32_e32 v3, 0x7c, v3, vcc_lo
; %bb.424:
	s_or_b32 exec_lo, exec_lo, s39
	v_lshrrev_b32_e32 v2, 24, v2
	v_and_or_b32 v2, 0x80, v2, v3
	global_store_byte v[4:5], v2, off
.LBB7_425:
	s_mov_b32 s40, 0
	s_mov_b32 s39, -1
.LBB7_426:
	s_andn2_b32 vcc_lo, exec_lo, s40
	s_cbranch_vccnz .LBB7_434
; %bb.427:
	s_cmp_gt_i32 s23, 14
	s_mov_b32 s40, -1
	s_cbranch_scc0 .LBB7_431
; %bb.428:
	s_cmp_eq_u32 s23, 15
	s_mov_b32 s0, -1
	s_cbranch_scc0 .LBB7_430
; %bb.429:
	v_cvt_f32_f64_e32 v2, v[0:1]
	s_mov_b32 s39, -1
	s_mov_b32 s0, 0
	v_bfe_u32 v3, v2, 16, 1
	v_cmp_o_f32_e32 vcc_lo, v2, v2
	v_add3_u32 v2, v2, v3, 0x7fff
	v_mov_b32_e32 v3, 0x7fc0
	v_cndmask_b32_sdwa v2, v3, v2, vcc_lo dst_sel:DWORD dst_unused:UNUSED_PAD src0_sel:DWORD src1_sel:WORD_1
	global_store_short v[4:5], v2, off
.LBB7_430:
	s_mov_b32 s40, 0
.LBB7_431:
	s_and_b32 vcc_lo, exec_lo, s40
	s_cbranch_vccz .LBB7_434
; %bb.432:
	s_cmp_eq_u32 s23, 11
	s_mov_b32 s0, -1
	s_cbranch_scc0 .LBB7_434
; %bb.433:
	v_cmp_neq_f64_e32 vcc_lo, 0, v[0:1]
	s_mov_b32 s39, -1
	s_mov_b32 s0, 0
	v_cndmask_b32_e64 v2, 0, 1, vcc_lo
	global_store_byte v[4:5], v2, off
.LBB7_434:
.LBB7_435:
	s_andn2_b32 vcc_lo, exec_lo, s39
	s_cbranch_vccnz .LBB7_348
.LBB7_436:
	v_add_nc_u32_e32 v7, 0x80, v7
	s_mov_b32 s22, -1
	s_branch .LBB7_549
.LBB7_437:
	s_mov_b32 s1, -1
                                        ; implicit-def: $vgpr3_vgpr4
.LBB7_438:
	s_mov_b32 s23, 0
.LBB7_439:
	s_and_b32 vcc_lo, exec_lo, s23
	s_cbranch_vccz .LBB7_443
; %bb.440:
	s_cmp_eq_u32 s0, 29
	s_cbranch_scc0 .LBB7_442
; %bb.441:
	global_load_dwordx2 v[3:4], v[1:2], off
	s_mov_b32 s22, -1
	s_mov_b32 s1, 0
	s_mov_b32 s23, 0
	s_waitcnt vmcnt(0)
	v_cvt_f64_u32_e32 v[4:5], v4
	v_cvt_f64_u32_e32 v[8:9], v3
	v_ldexp_f64 v[4:5], v[4:5], 32
	v_add_f64 v[3:4], v[4:5], v[8:9]
	s_branch .LBB7_444
.LBB7_442:
	s_mov_b32 s1, -1
                                        ; implicit-def: $vgpr3_vgpr4
.LBB7_443:
	s_mov_b32 s23, 0
.LBB7_444:
	s_and_b32 vcc_lo, exec_lo, s23
	s_cbranch_vccz .LBB7_464
; %bb.445:
	s_cmp_lt_i32 s0, 27
	s_cbranch_scc1 .LBB7_448
; %bb.446:
	s_cmp_gt_i32 s0, 27
	s_cbranch_scc0 .LBB7_449
; %bb.447:
	global_load_dword v3, v[1:2], off
	s_mov_b32 s22, 0
	s_waitcnt vmcnt(0)
	v_cvt_f64_u32_e32 v[3:4], v3
	s_branch .LBB7_450
.LBB7_448:
	s_mov_b32 s22, -1
                                        ; implicit-def: $vgpr3_vgpr4
	s_branch .LBB7_453
.LBB7_449:
	s_mov_b32 s22, -1
                                        ; implicit-def: $vgpr3_vgpr4
.LBB7_450:
	s_andn2_b32 vcc_lo, exec_lo, s22
	s_cbranch_vccnz .LBB7_452
; %bb.451:
	global_load_ushort v3, v[1:2], off
	s_waitcnt vmcnt(0)
	v_cvt_f64_u32_e32 v[3:4], v3
.LBB7_452:
	s_mov_b32 s22, 0
.LBB7_453:
	s_andn2_b32 vcc_lo, exec_lo, s22
	s_cbranch_vccnz .LBB7_463
; %bb.454:
	global_load_ubyte v5, v[1:2], off
	s_mov_b32 s22, 0
	s_mov_b32 s23, exec_lo
	s_waitcnt vmcnt(0)
	v_cmpx_lt_i16_e32 0x7f, v5
	s_xor_b32 s23, exec_lo, s23
	s_cbranch_execz .LBB7_458
; %bb.455:
	s_mov_b32 s22, -1
	s_mov_b32 s39, exec_lo
	v_cmpx_eq_u16_e32 0x80, v5
; %bb.456:
	s_xor_b32 s22, exec_lo, -1
; %bb.457:
	s_or_b32 exec_lo, exec_lo, s39
	s_and_b32 s22, s22, exec_lo
.LBB7_458:
	s_or_saveexec_b32 s23, s23
	v_bfrev_b32_e32 v3, 4
	v_mov_b32_e32 v4, 0x7ff80000
	s_xor_b32 exec_lo, exec_lo, s23
; %bb.459:
	v_cmp_ne_u16_e32 vcc_lo, 0, v5
	v_mov_b32_e32 v3, 0
	v_mov_b32_e32 v4, 0
	s_andn2_b32 s22, s22, exec_lo
	s_and_b32 s39, vcc_lo, exec_lo
	s_or_b32 s22, s22, s39
; %bb.460:
	s_or_b32 exec_lo, exec_lo, s23
	s_and_saveexec_b32 s23, s22
	s_cbranch_execz .LBB7_462
; %bb.461:
	v_and_b32_e32 v3, 0xffff, v5
	v_lshlrev_b32_e32 v5, 24, v5
	v_and_b32_e32 v4, 7, v3
	v_bfe_u32 v9, v3, 3, 4
	v_ffbh_u32_e32 v6, v4
	v_cmp_eq_u32_e32 vcc_lo, 0, v9
	v_min_u32_e32 v6, 32, v6
	v_subrev_nc_u32_e32 v8, 28, v6
	v_sub_nc_u32_e32 v6, 29, v6
	v_lshlrev_b32_e32 v3, v8, v3
	v_cndmask_b32_e32 v6, v9, v6, vcc_lo
	v_and_b32_e32 v3, 7, v3
	v_cndmask_b32_e32 v3, v4, v3, vcc_lo
	v_and_b32_e32 v4, 0x80000000, v5
	v_lshl_add_u32 v5, v6, 23, 0x3b800000
	v_lshlrev_b32_e32 v3, 20, v3
	v_or3_b32 v3, v4, v5, v3
	v_cvt_f64_f32_e32 v[3:4], v3
.LBB7_462:
	s_or_b32 exec_lo, exec_lo, s23
.LBB7_463:
	s_mov_b32 s22, -1
.LBB7_464:
	s_mov_b32 s23, 0
.LBB7_465:
	s_and_b32 vcc_lo, exec_lo, s23
	s_cbranch_vccz .LBB7_498
; %bb.466:
	s_cmp_gt_i32 s0, 22
	s_cbranch_scc0 .LBB7_478
; %bb.467:
	s_cmp_lt_i32 s0, 24
	s_cbranch_scc1 .LBB7_479
; %bb.468:
	s_cmp_gt_i32 s0, 24
	s_cbranch_scc0 .LBB7_480
; %bb.469:
	global_load_ubyte v5, v[1:2], off
	s_mov_b32 s22, 0
	s_mov_b32 s23, exec_lo
	s_waitcnt vmcnt(0)
	v_cmpx_lt_i16_e32 0x7f, v5
	s_xor_b32 s23, exec_lo, s23
	s_cbranch_execz .LBB7_473
; %bb.470:
	s_mov_b32 s22, -1
	s_mov_b32 s39, exec_lo
	v_cmpx_eq_u16_e32 0x80, v5
; %bb.471:
	s_xor_b32 s22, exec_lo, -1
; %bb.472:
	s_or_b32 exec_lo, exec_lo, s39
	s_and_b32 s22, s22, exec_lo
.LBB7_473:
	s_or_saveexec_b32 s23, s23
	v_bfrev_b32_e32 v3, 4
	v_mov_b32_e32 v4, 0x7ff80000
	s_xor_b32 exec_lo, exec_lo, s23
; %bb.474:
	v_cmp_ne_u16_e32 vcc_lo, 0, v5
	v_mov_b32_e32 v3, 0
	v_mov_b32_e32 v4, 0
	s_andn2_b32 s22, s22, exec_lo
	s_and_b32 s39, vcc_lo, exec_lo
	s_or_b32 s22, s22, s39
; %bb.475:
	s_or_b32 exec_lo, exec_lo, s23
	s_and_saveexec_b32 s23, s22
	s_cbranch_execz .LBB7_477
; %bb.476:
	v_and_b32_e32 v3, 0xffff, v5
	v_lshlrev_b32_e32 v5, 24, v5
	v_and_b32_e32 v4, 3, v3
	v_bfe_u32 v9, v3, 2, 5
	v_ffbh_u32_e32 v6, v4
	v_cmp_eq_u32_e32 vcc_lo, 0, v9
	v_min_u32_e32 v6, 32, v6
	v_subrev_nc_u32_e32 v8, 29, v6
	v_sub_nc_u32_e32 v6, 30, v6
	v_lshlrev_b32_e32 v3, v8, v3
	v_cndmask_b32_e32 v6, v9, v6, vcc_lo
	v_and_b32_e32 v3, 3, v3
	v_cndmask_b32_e32 v3, v4, v3, vcc_lo
	v_and_b32_e32 v4, 0x80000000, v5
	v_lshl_add_u32 v5, v6, 23, 0x37800000
	v_lshlrev_b32_e32 v3, 21, v3
	v_or3_b32 v3, v4, v5, v3
	v_cvt_f64_f32_e32 v[3:4], v3
.LBB7_477:
	s_or_b32 exec_lo, exec_lo, s23
	s_mov_b32 s22, 0
	s_branch .LBB7_481
.LBB7_478:
	s_mov_b32 s23, -1
                                        ; implicit-def: $vgpr3_vgpr4
	s_branch .LBB7_487
.LBB7_479:
	s_mov_b32 s22, -1
                                        ; implicit-def: $vgpr3_vgpr4
	s_branch .LBB7_484
.LBB7_480:
	s_mov_b32 s22, -1
                                        ; implicit-def: $vgpr3_vgpr4
.LBB7_481:
	s_and_b32 vcc_lo, exec_lo, s22
	s_cbranch_vccz .LBB7_483
; %bb.482:
	global_load_ubyte v3, v[1:2], off
	s_waitcnt vmcnt(0)
	v_lshlrev_b32_e32 v3, 24, v3
	v_and_b32_e32 v4, 0x7f000000, v3
	v_ffbh_u32_e32 v5, v4
	v_add_nc_u32_e32 v8, 0x1000000, v4
	v_cmp_ne_u32_e32 vcc_lo, 0, v4
	v_min_u32_e32 v5, 32, v5
	v_sub_nc_u32_e64 v5, v5, 4 clamp
	v_lshlrev_b32_e32 v6, v5, v4
	v_lshlrev_b32_e32 v5, 23, v5
	v_lshrrev_b32_e32 v6, 4, v6
	v_sub_nc_u32_e32 v5, v6, v5
	v_ashrrev_i32_e32 v6, 8, v8
	v_add_nc_u32_e32 v5, 0x3c000000, v5
	v_and_or_b32 v5, 0x7f800000, v6, v5
	v_cndmask_b32_e32 v4, 0, v5, vcc_lo
	v_and_or_b32 v3, 0x80000000, v3, v4
	v_cvt_f64_f32_e32 v[3:4], v3
.LBB7_483:
	s_mov_b32 s22, 0
.LBB7_484:
	s_andn2_b32 vcc_lo, exec_lo, s22
	s_cbranch_vccnz .LBB7_486
; %bb.485:
	global_load_ubyte v3, v[1:2], off
	s_waitcnt vmcnt(0)
	v_lshlrev_b32_e32 v4, 25, v3
	v_lshlrev_b16 v3, 8, v3
	v_lshrrev_b32_e32 v5, 4, v4
	v_and_or_b32 v6, 0x7f00, v3, 0.5
	v_cmp_gt_u32_e32 vcc_lo, 0x8000000, v4
	v_bfe_i32 v3, v3, 0, 16
	v_or_b32_e32 v5, 0x70000000, v5
	v_add_f32_e32 v6, -0.5, v6
	v_mul_f32_e32 v5, 0x7800000, v5
	v_cndmask_b32_e32 v4, v5, v6, vcc_lo
	v_and_or_b32 v3, 0x80000000, v3, v4
	v_cvt_f64_f32_e32 v[3:4], v3
.LBB7_486:
	s_mov_b32 s23, 0
	s_mov_b32 s22, -1
.LBB7_487:
	s_andn2_b32 vcc_lo, exec_lo, s23
	s_cbranch_vccnz .LBB7_498
; %bb.488:
	s_cmp_gt_i32 s0, 14
	s_cbranch_scc0 .LBB7_491
; %bb.489:
	s_cmp_eq_u32 s0, 15
	s_cbranch_scc0 .LBB7_492
; %bb.490:
	global_load_ushort v3, v[1:2], off
	s_mov_b32 s22, -1
	s_mov_b32 s1, 0
	s_waitcnt vmcnt(0)
	v_lshlrev_b32_e32 v3, 16, v3
	v_cvt_f64_f32_e32 v[3:4], v3
	s_branch .LBB7_493
.LBB7_491:
	s_mov_b32 s23, -1
                                        ; implicit-def: $vgpr3_vgpr4
	s_branch .LBB7_494
.LBB7_492:
	s_mov_b32 s1, -1
                                        ; implicit-def: $vgpr3_vgpr4
.LBB7_493:
	s_mov_b32 s23, 0
.LBB7_494:
	s_and_b32 vcc_lo, exec_lo, s23
	s_cbranch_vccz .LBB7_498
; %bb.495:
	s_cmp_eq_u32 s0, 11
	s_cbranch_scc0 .LBB7_497
; %bb.496:
	global_load_ubyte v3, v[1:2], off
	s_mov_b32 s1, 0
	s_mov_b32 s22, -1
	s_waitcnt vmcnt(0)
	v_cmp_ne_u16_e32 vcc_lo, 0, v3
	v_mov_b32_e32 v3, 0
	v_cndmask_b32_e64 v4, 0, 0x3ff00000, vcc_lo
	s_branch .LBB7_498
.LBB7_497:
	s_mov_b32 s1, -1
                                        ; implicit-def: $vgpr3_vgpr4
.LBB7_498:
	s_branch .LBB7_297
.LBB7_499:
	s_cmp_lt_i32 s0, 5
	s_cbranch_scc1 .LBB7_504
; %bb.500:
	s_cmp_lt_i32 s0, 8
	s_cbranch_scc1 .LBB7_505
; %bb.501:
	;; [unrolled: 3-line block ×3, first 2 shown]
	s_cmp_gt_i32 s0, 9
	s_cbranch_scc0 .LBB7_507
; %bb.503:
	global_load_dwordx2 v[3:4], v[1:2], off
	s_mov_b32 s22, 0
	s_branch .LBB7_508
.LBB7_504:
	s_mov_b32 s22, -1
                                        ; implicit-def: $vgpr3_vgpr4
	s_branch .LBB7_526
.LBB7_505:
	s_mov_b32 s22, -1
                                        ; implicit-def: $vgpr3_vgpr4
	s_branch .LBB7_514
.LBB7_506:
	s_mov_b32 s22, -1
                                        ; implicit-def: $vgpr3_vgpr4
	s_branch .LBB7_511
.LBB7_507:
	s_mov_b32 s22, -1
                                        ; implicit-def: $vgpr3_vgpr4
.LBB7_508:
	s_andn2_b32 vcc_lo, exec_lo, s22
	s_cbranch_vccnz .LBB7_510
; %bb.509:
	global_load_dword v3, v[1:2], off
	s_waitcnt vmcnt(0)
	v_cvt_f64_f32_e32 v[3:4], v3
.LBB7_510:
	s_mov_b32 s22, 0
.LBB7_511:
	s_andn2_b32 vcc_lo, exec_lo, s22
	s_cbranch_vccnz .LBB7_513
; %bb.512:
	global_load_dword v3, v[1:2], off
	s_waitcnt vmcnt(0)
	v_cvt_f32_f16_e32 v3, v3
	v_cvt_f64_f32_e32 v[3:4], v3
.LBB7_513:
	s_mov_b32 s22, 0
.LBB7_514:
	s_andn2_b32 vcc_lo, exec_lo, s22
	s_cbranch_vccnz .LBB7_525
; %bb.515:
	s_cmp_lt_i32 s0, 6
	s_cbranch_scc1 .LBB7_518
; %bb.516:
	s_cmp_gt_i32 s0, 6
	s_cbranch_scc0 .LBB7_519
; %bb.517:
	global_load_dwordx2 v[3:4], v[1:2], off
	s_mov_b32 s22, 0
	s_branch .LBB7_520
.LBB7_518:
	s_mov_b32 s22, -1
                                        ; implicit-def: $vgpr3_vgpr4
	s_branch .LBB7_523
.LBB7_519:
	s_mov_b32 s22, -1
                                        ; implicit-def: $vgpr3_vgpr4
.LBB7_520:
	s_andn2_b32 vcc_lo, exec_lo, s22
	s_cbranch_vccnz .LBB7_522
; %bb.521:
	global_load_dword v3, v[1:2], off
	s_waitcnt vmcnt(0)
	v_cvt_f64_f32_e32 v[3:4], v3
.LBB7_522:
	s_mov_b32 s22, 0
.LBB7_523:
	s_andn2_b32 vcc_lo, exec_lo, s22
	s_cbranch_vccnz .LBB7_525
; %bb.524:
	global_load_ushort v3, v[1:2], off
	s_waitcnt vmcnt(0)
	v_cvt_f32_f16_e32 v3, v3
	v_cvt_f64_f32_e32 v[3:4], v3
.LBB7_525:
	s_mov_b32 s22, 0
.LBB7_526:
	s_andn2_b32 vcc_lo, exec_lo, s22
	s_cbranch_vccnz .LBB7_546
; %bb.527:
	s_cmp_lt_i32 s0, 2
	s_cbranch_scc1 .LBB7_531
; %bb.528:
	s_cmp_lt_i32 s0, 3
	s_cbranch_scc1 .LBB7_532
; %bb.529:
	s_cmp_gt_i32 s0, 3
	s_cbranch_scc0 .LBB7_533
; %bb.530:
	global_load_dwordx2 v[3:4], v[1:2], off
	s_mov_b32 s22, 0
	s_waitcnt vmcnt(0)
	v_cvt_f64_i32_e32 v[4:5], v4
	v_cvt_f64_u32_e32 v[8:9], v3
	v_ldexp_f64 v[4:5], v[4:5], 32
	v_add_f64 v[3:4], v[4:5], v[8:9]
	s_branch .LBB7_534
.LBB7_531:
	s_mov_b32 s22, -1
                                        ; implicit-def: $vgpr3_vgpr4
	s_branch .LBB7_540
.LBB7_532:
	s_mov_b32 s22, -1
                                        ; implicit-def: $vgpr3_vgpr4
	s_branch .LBB7_537
.LBB7_533:
	s_mov_b32 s22, -1
                                        ; implicit-def: $vgpr3_vgpr4
.LBB7_534:
	s_andn2_b32 vcc_lo, exec_lo, s22
	s_cbranch_vccnz .LBB7_536
; %bb.535:
	global_load_dword v3, v[1:2], off
	s_waitcnt vmcnt(0)
	v_cvt_f64_i32_e32 v[3:4], v3
.LBB7_536:
	s_mov_b32 s22, 0
.LBB7_537:
	s_andn2_b32 vcc_lo, exec_lo, s22
	s_cbranch_vccnz .LBB7_539
; %bb.538:
	global_load_sshort v3, v[1:2], off
	s_waitcnt vmcnt(0)
	v_cvt_f64_i32_e32 v[3:4], v3
.LBB7_539:
	s_mov_b32 s22, 0
.LBB7_540:
	s_andn2_b32 vcc_lo, exec_lo, s22
	s_cbranch_vccnz .LBB7_546
; %bb.541:
	s_cmp_gt_i32 s0, 0
	s_mov_b32 s0, 0
	s_cbranch_scc0 .LBB7_543
; %bb.542:
	global_load_sbyte v3, v[1:2], off
	s_waitcnt vmcnt(0)
	v_cvt_f64_i32_e32 v[3:4], v3
	s_branch .LBB7_544
.LBB7_543:
	s_mov_b32 s0, -1
                                        ; implicit-def: $vgpr3_vgpr4
.LBB7_544:
	s_andn2_b32 vcc_lo, exec_lo, s0
	s_cbranch_vccnz .LBB7_546
; %bb.545:
	global_load_ubyte v1, v[1:2], off
	s_waitcnt vmcnt(0)
	v_cvt_f64_u32_e32 v[3:4], v1
.LBB7_546:
	s_branch .LBB7_298
.LBB7_547:
	s_mov_b32 s22, 0
	s_mov_b32 s0, s36
.LBB7_548:
                                        ; implicit-def: $vgpr7
.LBB7_549:
	s_andn2_b32 s23, s36, exec_lo
	s_and_b32 s0, s0, exec_lo
	s_andn2_b32 s39, s37, exec_lo
	s_and_b32 s1, s1, exec_lo
	s_or_b32 s40, s23, s0
	s_or_b32 s39, s39, s1
	s_orn2_b32 s0, s22, exec_lo
.LBB7_550:
	s_or_b32 exec_lo, exec_lo, s41
	s_mov_b32 s1, 0
	s_mov_b32 s23, 0
	;; [unrolled: 1-line block ×3, first 2 shown]
                                        ; implicit-def: $vgpr0_vgpr1
                                        ; implicit-def: $vgpr2
                                        ; implicit-def: $vgpr3_vgpr4
	s_and_saveexec_b32 s41, s0
	s_cbranch_execz .LBB7_930
; %bb.551:
	s_mov_b32 s44, -1
	s_mov_b32 s22, s39
	s_mov_b32 s23, s40
	s_mov_b32 s42, exec_lo
	v_cmpx_gt_i32_e64 s33, v7
	s_cbranch_execz .LBB7_829
; %bb.552:
	s_andn2_b32 vcc_lo, exec_lo, s27
	s_cbranch_vccnz .LBB7_557
; %bb.553:
	s_andn2_b32 vcc_lo, exec_lo, s34
	s_cbranch_vccnz .LBB7_558
; %bb.554:
	s_add_i32 s44, s35, 1
	s_cmp_eq_u32 s25, 2
	s_cbranch_scc1 .LBB7_559
; %bb.555:
	v_mov_b32_e32 v2, 0
	v_mov_b32_e32 v0, 0
	;; [unrolled: 1-line block ×3, first 2 shown]
	s_and_b32 s43, s44, 28
	s_mov_b32 s45, 0
	s_mov_b64 s[0:1], s[2:3]
	s_mov_b64 s[22:23], s[20:21]
.LBB7_556:                              ; =>This Inner Loop Header: Depth=1
	s_clause 0x1
	s_load_dwordx8 s[48:55], s[0:1], 0x4
	s_load_dwordx4 s[64:67], s[0:1], 0x24
	s_load_dwordx8 s[56:63], s[22:23], 0x0
	s_add_u32 s0, s0, 48
	s_addc_u32 s1, s1, 0
	s_add_i32 s45, s45, 4
	s_add_u32 s22, s22, 32
	s_addc_u32 s23, s23, 0
	s_cmp_eq_u32 s43, s45
	s_waitcnt vmcnt(0) lgkmcnt(0)
	v_mul_hi_u32 v3, s49, v1
	v_add_nc_u32_e32 v3, v1, v3
	v_lshrrev_b32_e32 v3, s50, v3
	v_mul_hi_u32 v4, s52, v3
	v_mul_lo_u32 v6, v3, s48
	v_add_nc_u32_e32 v4, v3, v4
	v_sub_nc_u32_e32 v1, v1, v6
	v_lshrrev_b32_e32 v4, s53, v4
	v_mul_lo_u32 v6, v1, s56
	v_mul_lo_u32 v9, v1, s57
	v_mul_hi_u32 v5, s55, v4
	v_add_nc_u32_e32 v5, v4, v5
	v_lshrrev_b32_e32 v5, s64, v5
	v_mul_hi_u32 v8, s66, v5
	v_mul_lo_u32 v10, v5, s54
	v_add_nc_u32_e32 v1, v5, v8
	v_mul_lo_u32 v8, v4, s51
	v_sub_nc_u32_e32 v4, v4, v10
	v_lshrrev_b32_e32 v1, s67, v1
	v_mul_lo_u32 v10, v4, s60
	v_mul_lo_u32 v4, v4, s61
	v_sub_nc_u32_e32 v3, v3, v8
	v_mul_lo_u32 v11, v1, s65
	v_mul_lo_u32 v8, v3, s58
	;; [unrolled: 1-line block ×3, first 2 shown]
	v_sub_nc_u32_e32 v5, v5, v11
	v_add3_u32 v0, v6, v0, v8
	v_mul_lo_u32 v11, v5, s62
	v_mul_lo_u32 v5, v5, s63
	v_add3_u32 v2, v9, v2, v3
	v_add3_u32 v0, v10, v0, v11
	v_add3_u32 v2, v4, v2, v5
	s_cbranch_scc0 .LBB7_556
	s_branch .LBB7_560
.LBB7_557:
	s_mov_b32 s0, -1
                                        ; implicit-def: $vgpr0
                                        ; implicit-def: $vgpr2
	s_branch .LBB7_564
.LBB7_558:
	v_mov_b32_e32 v0, 0
	v_mov_b32_e32 v2, 0
	s_branch .LBB7_563
.LBB7_559:
	v_mov_b32_e32 v0, 0
	v_mov_b32_e32 v2, 0
	;; [unrolled: 1-line block ×3, first 2 shown]
	s_mov_b32 s43, 0
.LBB7_560:
	s_and_b32 s44, s44, 3
	s_cmp_eq_u32 s44, 0
	s_cbranch_scc1 .LBB7_563
; %bb.561:
	s_lshl_b32 s0, s43, 3
	s_mul_i32 s22, s43, 12
	s_add_u32 s0, s2, s0
	s_addc_u32 s1, s3, 0
	s_add_u32 s0, s0, 0xc4
	s_addc_u32 s1, s1, 0
	;; [unrolled: 2-line block ×3, first 2 shown]
	.p2align	6
.LBB7_562:                              ; =>This Inner Loop Header: Depth=1
	s_clause 0x1
	s_load_dwordx2 s[46:47], s[22:23], 0x4
	s_load_dword s43, s[22:23], 0xc
	s_load_dwordx2 s[48:49], s[0:1], 0x0
	s_add_u32 s22, s22, 12
	s_addc_u32 s23, s23, 0
	s_add_u32 s0, s0, 8
	s_addc_u32 s1, s1, 0
	s_add_i32 s44, s44, -1
	s_cmp_lg_u32 s44, 0
	s_waitcnt vmcnt(0) lgkmcnt(0)
	v_mul_hi_u32 v3, s47, v1
	v_add_nc_u32_e32 v3, v1, v3
	v_lshrrev_b32_e32 v4, s43, v3
	v_mul_lo_u32 v3, v4, s46
	v_sub_nc_u32_e32 v3, v1, v3
	v_mad_u64_u32 v[0:1], null, v3, s48, v[0:1]
	v_mad_u64_u32 v[2:3], null, v3, s49, v[2:3]
	v_mov_b32_e32 v1, v4
	s_cbranch_scc1 .LBB7_562
.LBB7_563:
	s_mov_b32 s0, 0
.LBB7_564:
	s_andn2_b32 vcc_lo, exec_lo, s0
	s_cbranch_vccnz .LBB7_567
; %bb.565:
	s_waitcnt lgkmcnt(0)
	v_mul_hi_u32 v0, s17, v7
	s_andn2_b32 vcc_lo, exec_lo, s31
	v_add_nc_u32_e32 v0, v7, v0
	v_lshrrev_b32_e32 v1, s18, v0
	v_mul_lo_u32 v0, v1, s16
	v_sub_nc_u32_e32 v2, v7, v0
	v_mul_lo_u32 v0, v2, s12
	v_mul_lo_u32 v2, v2, s13
	s_cbranch_vccnz .LBB7_567
; %bb.566:
	s_waitcnt vmcnt(0)
	v_mul_hi_u32 v3, s6, v1
	v_add_nc_u32_e32 v3, v1, v3
	v_lshrrev_b32_e32 v3, s7, v3
	v_mul_lo_u32 v3, v3, s19
	v_sub_nc_u32_e32 v3, v1, v3
	v_mad_u64_u32 v[0:1], null, v3, s14, v[0:1]
	v_mad_u64_u32 v[2:3], null, v3, s15, v[2:3]
.LBB7_567:
	s_waitcnt lgkmcnt(0)
	v_add_co_u32 v1, s0, s10, v2
	v_add_co_ci_u32_e64 v2, null, s11, 0, s0
	s_and_b32 s0, 0xffff, s30
	s_cmp_lt_i32 s0, 11
	s_cbranch_scc1 .LBB7_574
; %bb.568:
	s_cmp_gt_i32 s0, 25
	s_cbranch_scc0 .LBB7_575
; %bb.569:
	s_cmp_gt_i32 s0, 28
	s_cbranch_scc0 .LBB7_576
	;; [unrolled: 3-line block ×4, first 2 shown]
; %bb.572:
	s_cmp_eq_u32 s0, 46
	s_mov_b32 s23, 0
	s_cbranch_scc0 .LBB7_583
; %bb.573:
	global_load_dword v3, v[1:2], off
	s_mov_b32 s22, -1
	s_mov_b32 s1, 0
	s_waitcnt vmcnt(0)
	v_lshlrev_b32_e32 v3, 16, v3
	v_cvt_f64_f32_e32 v[3:4], v3
	s_branch .LBB7_585
.LBB7_574:
	s_mov_b32 s23, -1
	s_mov_b32 s22, 0
	s_mov_b32 s1, s39
                                        ; implicit-def: $vgpr3_vgpr4
	s_branch .LBB7_650
.LBB7_575:
	s_mov_b32 s23, -1
	s_mov_b32 s22, 0
	s_mov_b32 s1, s39
                                        ; implicit-def: $vgpr3_vgpr4
	s_branch .LBB7_616
.LBB7_576:
	s_mov_b32 s23, -1
	s_mov_b32 s22, 0
	s_mov_b32 s1, s39
                                        ; implicit-def: $vgpr3_vgpr4
	s_branch .LBB7_595
.LBB7_577:
	s_mov_b32 s23, -1
	s_mov_b32 s22, 0
	s_mov_b32 s1, s39
                                        ; implicit-def: $vgpr3_vgpr4
	s_branch .LBB7_590
.LBB7_578:
	s_andn2_saveexec_b32 s42, s42
	s_cbranch_execz .LBB7_387
.LBB7_579:
	v_add_f32_e64 v3, 0x46000000, |v2|
	s_andn2_b32 s40, s40, exec_lo
	v_and_b32_e32 v3, 0xff, v3
	v_cmp_ne_u32_e32 vcc_lo, 0, v3
	s_and_b32 s43, vcc_lo, exec_lo
	s_or_b32 s40, s40, s43
	s_or_b32 exec_lo, exec_lo, s42
	v_mov_b32_e32 v6, 0
	s_and_saveexec_b32 s42, s40
	s_cbranch_execnz .LBB7_388
	s_branch .LBB7_389
.LBB7_580:
	s_mov_b32 s23, -1
	s_mov_b32 s22, 0
	s_mov_b32 s1, s39
	s_branch .LBB7_584
.LBB7_581:
	s_andn2_saveexec_b32 s42, s42
	s_cbranch_execz .LBB7_400
.LBB7_582:
	v_add_f32_e64 v3, 0x42800000, |v2|
	s_andn2_b32 s40, s40, exec_lo
	v_and_b32_e32 v3, 0xff, v3
	v_cmp_ne_u32_e32 vcc_lo, 0, v3
	s_and_b32 s43, vcc_lo, exec_lo
	s_or_b32 s40, s40, s43
	s_or_b32 exec_lo, exec_lo, s42
	v_mov_b32_e32 v6, 0
	s_and_saveexec_b32 s42, s40
	s_cbranch_execnz .LBB7_401
	s_branch .LBB7_402
.LBB7_583:
	s_mov_b32 s1, -1
	s_mov_b32 s22, 0
.LBB7_584:
                                        ; implicit-def: $vgpr3_vgpr4
.LBB7_585:
	s_and_b32 vcc_lo, exec_lo, s23
	s_cbranch_vccz .LBB7_589
; %bb.586:
	s_cmp_eq_u32 s0, 44
	s_cbranch_scc0 .LBB7_588
; %bb.587:
	global_load_ubyte v5, v[1:2], off
	s_mov_b32 s1, 0
	s_mov_b32 s22, -1
	s_waitcnt vmcnt(0)
	v_lshlrev_b32_e32 v3, 23, v5
	v_cmp_ne_u32_e32 vcc_lo, 0xff, v5
	v_cvt_f64_f32_e32 v[3:4], v3
	v_cndmask_b32_e32 v3, 0x20000000, v3, vcc_lo
	v_cndmask_b32_e32 v4, 0x7ff80000, v4, vcc_lo
	v_cmp_ne_u32_e32 vcc_lo, 0, v5
	v_cndmask_b32_e32 v4, 0x38000000, v4, vcc_lo
	v_cndmask_b32_e32 v3, 0, v3, vcc_lo
	s_branch .LBB7_589
.LBB7_588:
	s_mov_b32 s1, -1
                                        ; implicit-def: $vgpr3_vgpr4
.LBB7_589:
	s_mov_b32 s23, 0
.LBB7_590:
	s_and_b32 vcc_lo, exec_lo, s23
	s_cbranch_vccz .LBB7_594
; %bb.591:
	s_cmp_eq_u32 s0, 29
	s_cbranch_scc0 .LBB7_593
; %bb.592:
	global_load_dwordx2 v[3:4], v[1:2], off
	s_mov_b32 s22, -1
	s_mov_b32 s1, 0
	s_mov_b32 s23, 0
	s_waitcnt vmcnt(0)
	v_cvt_f64_u32_e32 v[4:5], v4
	v_cvt_f64_u32_e32 v[8:9], v3
	v_ldexp_f64 v[4:5], v[4:5], 32
	v_add_f64 v[3:4], v[4:5], v[8:9]
	s_branch .LBB7_595
.LBB7_593:
	s_mov_b32 s1, -1
                                        ; implicit-def: $vgpr3_vgpr4
.LBB7_594:
	s_mov_b32 s23, 0
.LBB7_595:
	s_and_b32 vcc_lo, exec_lo, s23
	s_cbranch_vccz .LBB7_615
; %bb.596:
	s_cmp_lt_i32 s0, 27
	s_cbranch_scc1 .LBB7_599
; %bb.597:
	s_cmp_gt_i32 s0, 27
	s_cbranch_scc0 .LBB7_600
; %bb.598:
	global_load_dword v3, v[1:2], off
	s_mov_b32 s22, 0
	s_waitcnt vmcnt(0)
	v_cvt_f64_u32_e32 v[3:4], v3
	s_branch .LBB7_601
.LBB7_599:
	s_mov_b32 s22, -1
                                        ; implicit-def: $vgpr3_vgpr4
	s_branch .LBB7_604
.LBB7_600:
	s_mov_b32 s22, -1
                                        ; implicit-def: $vgpr3_vgpr4
.LBB7_601:
	s_andn2_b32 vcc_lo, exec_lo, s22
	s_cbranch_vccnz .LBB7_603
; %bb.602:
	global_load_ushort v3, v[1:2], off
	s_waitcnt vmcnt(0)
	v_cvt_f64_u32_e32 v[3:4], v3
.LBB7_603:
	s_mov_b32 s22, 0
.LBB7_604:
	s_andn2_b32 vcc_lo, exec_lo, s22
	s_cbranch_vccnz .LBB7_614
; %bb.605:
	global_load_ubyte v5, v[1:2], off
	s_mov_b32 s22, 0
	s_mov_b32 s23, exec_lo
	s_waitcnt vmcnt(0)
	v_cmpx_lt_i16_e32 0x7f, v5
	s_xor_b32 s23, exec_lo, s23
	s_cbranch_execz .LBB7_609
; %bb.606:
	s_mov_b32 s22, -1
	s_mov_b32 s43, exec_lo
	v_cmpx_eq_u16_e32 0x80, v5
; %bb.607:
	s_xor_b32 s22, exec_lo, -1
; %bb.608:
	s_or_b32 exec_lo, exec_lo, s43
	s_and_b32 s22, s22, exec_lo
.LBB7_609:
	s_or_saveexec_b32 s23, s23
	v_bfrev_b32_e32 v3, 4
	v_mov_b32_e32 v4, 0x7ff80000
	s_xor_b32 exec_lo, exec_lo, s23
; %bb.610:
	v_cmp_ne_u16_e32 vcc_lo, 0, v5
	v_mov_b32_e32 v3, 0
	v_mov_b32_e32 v4, 0
	s_andn2_b32 s22, s22, exec_lo
	s_and_b32 s43, vcc_lo, exec_lo
	s_or_b32 s22, s22, s43
; %bb.611:
	s_or_b32 exec_lo, exec_lo, s23
	s_and_saveexec_b32 s23, s22
	s_cbranch_execz .LBB7_613
; %bb.612:
	v_and_b32_e32 v3, 0xffff, v5
	v_lshlrev_b32_e32 v5, 24, v5
	v_and_b32_e32 v4, 7, v3
	v_bfe_u32 v9, v3, 3, 4
	v_ffbh_u32_e32 v6, v4
	v_cmp_eq_u32_e32 vcc_lo, 0, v9
	v_min_u32_e32 v6, 32, v6
	v_subrev_nc_u32_e32 v8, 28, v6
	v_sub_nc_u32_e32 v6, 29, v6
	v_lshlrev_b32_e32 v3, v8, v3
	v_cndmask_b32_e32 v6, v9, v6, vcc_lo
	v_and_b32_e32 v3, 7, v3
	v_cndmask_b32_e32 v3, v4, v3, vcc_lo
	v_and_b32_e32 v4, 0x80000000, v5
	v_lshl_add_u32 v5, v6, 23, 0x3b800000
	v_lshlrev_b32_e32 v3, 20, v3
	v_or3_b32 v3, v4, v5, v3
	v_cvt_f64_f32_e32 v[3:4], v3
.LBB7_613:
	s_or_b32 exec_lo, exec_lo, s23
.LBB7_614:
	s_mov_b32 s22, -1
.LBB7_615:
	s_mov_b32 s23, 0
.LBB7_616:
	s_and_b32 vcc_lo, exec_lo, s23
	s_cbranch_vccz .LBB7_649
; %bb.617:
	s_cmp_gt_i32 s0, 22
	s_cbranch_scc0 .LBB7_629
; %bb.618:
	s_cmp_lt_i32 s0, 24
	s_cbranch_scc1 .LBB7_630
; %bb.619:
	s_cmp_gt_i32 s0, 24
	s_cbranch_scc0 .LBB7_631
; %bb.620:
	global_load_ubyte v5, v[1:2], off
	s_mov_b32 s22, 0
	s_mov_b32 s23, exec_lo
	s_waitcnt vmcnt(0)
	v_cmpx_lt_i16_e32 0x7f, v5
	s_xor_b32 s23, exec_lo, s23
	s_cbranch_execz .LBB7_624
; %bb.621:
	s_mov_b32 s22, -1
	s_mov_b32 s43, exec_lo
	v_cmpx_eq_u16_e32 0x80, v5
; %bb.622:
	s_xor_b32 s22, exec_lo, -1
; %bb.623:
	s_or_b32 exec_lo, exec_lo, s43
	s_and_b32 s22, s22, exec_lo
.LBB7_624:
	s_or_saveexec_b32 s23, s23
	v_bfrev_b32_e32 v3, 4
	v_mov_b32_e32 v4, 0x7ff80000
	s_xor_b32 exec_lo, exec_lo, s23
; %bb.625:
	v_cmp_ne_u16_e32 vcc_lo, 0, v5
	v_mov_b32_e32 v3, 0
	v_mov_b32_e32 v4, 0
	s_andn2_b32 s22, s22, exec_lo
	s_and_b32 s43, vcc_lo, exec_lo
	s_or_b32 s22, s22, s43
; %bb.626:
	s_or_b32 exec_lo, exec_lo, s23
	s_and_saveexec_b32 s23, s22
	s_cbranch_execz .LBB7_628
; %bb.627:
	v_and_b32_e32 v3, 0xffff, v5
	v_lshlrev_b32_e32 v5, 24, v5
	v_and_b32_e32 v4, 3, v3
	v_bfe_u32 v9, v3, 2, 5
	v_ffbh_u32_e32 v6, v4
	v_cmp_eq_u32_e32 vcc_lo, 0, v9
	v_min_u32_e32 v6, 32, v6
	v_subrev_nc_u32_e32 v8, 29, v6
	v_sub_nc_u32_e32 v6, 30, v6
	v_lshlrev_b32_e32 v3, v8, v3
	v_cndmask_b32_e32 v6, v9, v6, vcc_lo
	v_and_b32_e32 v3, 3, v3
	v_cndmask_b32_e32 v3, v4, v3, vcc_lo
	v_and_b32_e32 v4, 0x80000000, v5
	v_lshl_add_u32 v5, v6, 23, 0x37800000
	v_lshlrev_b32_e32 v3, 21, v3
	v_or3_b32 v3, v4, v5, v3
	v_cvt_f64_f32_e32 v[3:4], v3
.LBB7_628:
	s_or_b32 exec_lo, exec_lo, s23
	s_mov_b32 s22, 0
	s_branch .LBB7_632
.LBB7_629:
	s_mov_b32 s23, -1
                                        ; implicit-def: $vgpr3_vgpr4
	s_branch .LBB7_638
.LBB7_630:
	s_mov_b32 s22, -1
                                        ; implicit-def: $vgpr3_vgpr4
	s_branch .LBB7_635
.LBB7_631:
	s_mov_b32 s22, -1
                                        ; implicit-def: $vgpr3_vgpr4
.LBB7_632:
	s_and_b32 vcc_lo, exec_lo, s22
	s_cbranch_vccz .LBB7_634
; %bb.633:
	global_load_ubyte v3, v[1:2], off
	s_waitcnt vmcnt(0)
	v_lshlrev_b32_e32 v3, 24, v3
	v_and_b32_e32 v4, 0x7f000000, v3
	v_ffbh_u32_e32 v5, v4
	v_add_nc_u32_e32 v8, 0x1000000, v4
	v_cmp_ne_u32_e32 vcc_lo, 0, v4
	v_min_u32_e32 v5, 32, v5
	v_sub_nc_u32_e64 v5, v5, 4 clamp
	v_lshlrev_b32_e32 v6, v5, v4
	v_lshlrev_b32_e32 v5, 23, v5
	v_lshrrev_b32_e32 v6, 4, v6
	v_sub_nc_u32_e32 v5, v6, v5
	v_ashrrev_i32_e32 v6, 8, v8
	v_add_nc_u32_e32 v5, 0x3c000000, v5
	v_and_or_b32 v5, 0x7f800000, v6, v5
	v_cndmask_b32_e32 v4, 0, v5, vcc_lo
	v_and_or_b32 v3, 0x80000000, v3, v4
	v_cvt_f64_f32_e32 v[3:4], v3
.LBB7_634:
	s_mov_b32 s22, 0
.LBB7_635:
	s_andn2_b32 vcc_lo, exec_lo, s22
	s_cbranch_vccnz .LBB7_637
; %bb.636:
	global_load_ubyte v3, v[1:2], off
	s_waitcnt vmcnt(0)
	v_lshlrev_b32_e32 v4, 25, v3
	v_lshlrev_b16 v3, 8, v3
	v_lshrrev_b32_e32 v5, 4, v4
	v_and_or_b32 v6, 0x7f00, v3, 0.5
	v_cmp_gt_u32_e32 vcc_lo, 0x8000000, v4
	v_bfe_i32 v3, v3, 0, 16
	v_or_b32_e32 v5, 0x70000000, v5
	v_add_f32_e32 v6, -0.5, v6
	v_mul_f32_e32 v5, 0x7800000, v5
	v_cndmask_b32_e32 v4, v5, v6, vcc_lo
	v_and_or_b32 v3, 0x80000000, v3, v4
	v_cvt_f64_f32_e32 v[3:4], v3
.LBB7_637:
	s_mov_b32 s23, 0
	s_mov_b32 s22, -1
.LBB7_638:
	s_andn2_b32 vcc_lo, exec_lo, s23
	s_cbranch_vccnz .LBB7_649
; %bb.639:
	s_cmp_gt_i32 s0, 14
	s_cbranch_scc0 .LBB7_642
; %bb.640:
	s_cmp_eq_u32 s0, 15
	s_cbranch_scc0 .LBB7_643
; %bb.641:
	global_load_ushort v3, v[1:2], off
	s_mov_b32 s22, -1
	s_mov_b32 s1, 0
	s_waitcnt vmcnt(0)
	v_lshlrev_b32_e32 v3, 16, v3
	v_cvt_f64_f32_e32 v[3:4], v3
	s_branch .LBB7_644
.LBB7_642:
	s_mov_b32 s23, -1
                                        ; implicit-def: $vgpr3_vgpr4
	s_branch .LBB7_645
.LBB7_643:
	s_mov_b32 s1, -1
                                        ; implicit-def: $vgpr3_vgpr4
.LBB7_644:
	s_mov_b32 s23, 0
.LBB7_645:
	s_and_b32 vcc_lo, exec_lo, s23
	s_cbranch_vccz .LBB7_649
; %bb.646:
	s_cmp_eq_u32 s0, 11
	s_cbranch_scc0 .LBB7_648
; %bb.647:
	global_load_ubyte v3, v[1:2], off
	s_mov_b32 s1, 0
	s_mov_b32 s22, -1
	s_waitcnt vmcnt(0)
	v_cmp_ne_u16_e32 vcc_lo, 0, v3
	v_mov_b32_e32 v3, 0
	v_cndmask_b32_e64 v4, 0, 0x3ff00000, vcc_lo
	s_branch .LBB7_649
.LBB7_648:
	s_mov_b32 s1, -1
                                        ; implicit-def: $vgpr3_vgpr4
.LBB7_649:
	s_mov_b32 s23, 0
.LBB7_650:
	s_and_b32 vcc_lo, exec_lo, s23
	s_cbranch_vccz .LBB7_699
; %bb.651:
	s_cmp_lt_i32 s0, 5
	s_cbranch_scc1 .LBB7_656
; %bb.652:
	s_cmp_lt_i32 s0, 8
	s_cbranch_scc1 .LBB7_657
	;; [unrolled: 3-line block ×3, first 2 shown]
; %bb.654:
	s_cmp_gt_i32 s0, 9
	s_cbranch_scc0 .LBB7_659
; %bb.655:
	global_load_dwordx2 v[3:4], v[1:2], off
	s_mov_b32 s22, 0
	s_branch .LBB7_660
.LBB7_656:
	s_mov_b32 s22, -1
                                        ; implicit-def: $vgpr3_vgpr4
	s_branch .LBB7_678
.LBB7_657:
	s_mov_b32 s22, -1
                                        ; implicit-def: $vgpr3_vgpr4
	s_branch .LBB7_666
.LBB7_658:
	s_mov_b32 s22, -1
                                        ; implicit-def: $vgpr3_vgpr4
	s_branch .LBB7_663
.LBB7_659:
	s_mov_b32 s22, -1
                                        ; implicit-def: $vgpr3_vgpr4
.LBB7_660:
	s_andn2_b32 vcc_lo, exec_lo, s22
	s_cbranch_vccnz .LBB7_662
; %bb.661:
	global_load_dword v3, v[1:2], off
	s_waitcnt vmcnt(0)
	v_cvt_f64_f32_e32 v[3:4], v3
.LBB7_662:
	s_mov_b32 s22, 0
.LBB7_663:
	s_andn2_b32 vcc_lo, exec_lo, s22
	s_cbranch_vccnz .LBB7_665
; %bb.664:
	global_load_dword v3, v[1:2], off
	s_waitcnt vmcnt(0)
	v_cvt_f32_f16_e32 v3, v3
	v_cvt_f64_f32_e32 v[3:4], v3
.LBB7_665:
	s_mov_b32 s22, 0
.LBB7_666:
	s_andn2_b32 vcc_lo, exec_lo, s22
	s_cbranch_vccnz .LBB7_677
; %bb.667:
	s_cmp_lt_i32 s0, 6
	s_cbranch_scc1 .LBB7_670
; %bb.668:
	s_cmp_gt_i32 s0, 6
	s_cbranch_scc0 .LBB7_671
; %bb.669:
	global_load_dwordx2 v[3:4], v[1:2], off
	s_mov_b32 s22, 0
	s_branch .LBB7_672
.LBB7_670:
	s_mov_b32 s22, -1
                                        ; implicit-def: $vgpr3_vgpr4
	s_branch .LBB7_675
.LBB7_671:
	s_mov_b32 s22, -1
                                        ; implicit-def: $vgpr3_vgpr4
.LBB7_672:
	s_andn2_b32 vcc_lo, exec_lo, s22
	s_cbranch_vccnz .LBB7_674
; %bb.673:
	global_load_dword v3, v[1:2], off
	s_waitcnt vmcnt(0)
	v_cvt_f64_f32_e32 v[3:4], v3
.LBB7_674:
	s_mov_b32 s22, 0
.LBB7_675:
	s_andn2_b32 vcc_lo, exec_lo, s22
	s_cbranch_vccnz .LBB7_677
; %bb.676:
	global_load_ushort v3, v[1:2], off
	s_waitcnt vmcnt(0)
	v_cvt_f32_f16_e32 v3, v3
	v_cvt_f64_f32_e32 v[3:4], v3
.LBB7_677:
	s_mov_b32 s22, 0
.LBB7_678:
	s_andn2_b32 vcc_lo, exec_lo, s22
	s_cbranch_vccnz .LBB7_698
; %bb.679:
	s_cmp_lt_i32 s0, 2
	s_cbranch_scc1 .LBB7_683
; %bb.680:
	s_cmp_lt_i32 s0, 3
	s_cbranch_scc1 .LBB7_684
; %bb.681:
	s_cmp_gt_i32 s0, 3
	s_cbranch_scc0 .LBB7_685
; %bb.682:
	global_load_dwordx2 v[3:4], v[1:2], off
	s_mov_b32 s22, 0
	s_waitcnt vmcnt(0)
	v_cvt_f64_i32_e32 v[4:5], v4
	v_cvt_f64_u32_e32 v[8:9], v3
	v_ldexp_f64 v[4:5], v[4:5], 32
	v_add_f64 v[3:4], v[4:5], v[8:9]
	s_branch .LBB7_686
.LBB7_683:
	s_mov_b32 s22, -1
                                        ; implicit-def: $vgpr3_vgpr4
	s_branch .LBB7_692
.LBB7_684:
	s_mov_b32 s22, -1
                                        ; implicit-def: $vgpr3_vgpr4
	s_branch .LBB7_689
.LBB7_685:
	s_mov_b32 s22, -1
                                        ; implicit-def: $vgpr3_vgpr4
.LBB7_686:
	s_andn2_b32 vcc_lo, exec_lo, s22
	s_cbranch_vccnz .LBB7_688
; %bb.687:
	global_load_dword v3, v[1:2], off
	s_waitcnt vmcnt(0)
	v_cvt_f64_i32_e32 v[3:4], v3
.LBB7_688:
	s_mov_b32 s22, 0
.LBB7_689:
	s_andn2_b32 vcc_lo, exec_lo, s22
	s_cbranch_vccnz .LBB7_691
; %bb.690:
	global_load_sshort v3, v[1:2], off
	s_waitcnt vmcnt(0)
	v_cvt_f64_i32_e32 v[3:4], v3
.LBB7_691:
	s_mov_b32 s22, 0
.LBB7_692:
	s_andn2_b32 vcc_lo, exec_lo, s22
	s_cbranch_vccnz .LBB7_698
; %bb.693:
	s_cmp_gt_i32 s0, 0
	s_mov_b32 s0, 0
	s_cbranch_scc0 .LBB7_695
; %bb.694:
	global_load_sbyte v3, v[1:2], off
	s_waitcnt vmcnt(0)
	v_cvt_f64_i32_e32 v[3:4], v3
	s_branch .LBB7_696
.LBB7_695:
	s_mov_b32 s0, -1
                                        ; implicit-def: $vgpr3_vgpr4
.LBB7_696:
	s_andn2_b32 vcc_lo, exec_lo, s0
	s_cbranch_vccnz .LBB7_698
; %bb.697:
	global_load_ubyte v1, v[1:2], off
	s_waitcnt vmcnt(0)
	v_cvt_f64_u32_e32 v[3:4], v1
.LBB7_698:
	s_mov_b32 s22, -1
.LBB7_699:
	s_andn2_b32 vcc_lo, exec_lo, s22
	s_cbranch_vccnz .LBB7_711
; %bb.700:
	s_waitcnt vmcnt(0)
	v_cmp_ngt_f64_e64 s0, 0x41d00000, |v[3:4]|
                                        ; implicit-def: $vgpr8
                                        ; implicit-def: $vgpr1_vgpr2
                                        ; implicit-def: $vgpr5_vgpr6
	s_and_saveexec_b32 s22, s0
	s_xor_b32 s0, exec_lo, s22
	s_cbranch_execz .LBB7_702
; %bb.701:
	v_ldexp_f64 v[1:2], |v[3:4]|, 0xffffff80
	v_cmp_le_f64_e64 vcc_lo, 0x7b000000, |v[3:4]|
	v_trig_preop_f64 v[5:6], |v[3:4]|, 0
	v_and_b32_e32 v8, 0x7fffffff, v4
	v_trig_preop_f64 v[18:19], |v[3:4]|, 2
	v_mov_b32_e32 v26, 0
	s_mov_b32 s22, 0x54442d18
	s_mov_b32 s23, 0x3ff921fb
	;; [unrolled: 1-line block ×4, first 2 shown]
	v_cndmask_b32_e32 v2, v8, v2, vcc_lo
	v_cndmask_b32_e32 v1, v3, v1, vcc_lo
	v_trig_preop_f64 v[8:9], |v[3:4]|, 1
	v_mul_f64 v[10:11], v[5:6], v[1:2]
	v_mul_f64 v[24:25], v[18:19], v[1:2]
	;; [unrolled: 1-line block ×3, first 2 shown]
	v_fma_f64 v[5:6], v[5:6], v[1:2], -v[10:11]
	v_fma_f64 v[8:9], v[8:9], v[1:2], -v[12:13]
	;; [unrolled: 1-line block ×3, first 2 shown]
	v_add_f64 v[14:15], v[12:13], v[5:6]
	v_add_f64 v[16:17], v[14:15], -v[12:13]
	v_add_f64 v[22:23], v[10:11], v[14:15]
	v_add_f64 v[20:21], v[14:15], -v[16:17]
	v_add_f64 v[5:6], v[5:6], -v[16:17]
	v_ldexp_f64 v[16:17], v[22:23], -2
	v_add_f64 v[10:11], v[22:23], -v[10:11]
	v_add_f64 v[12:13], v[12:13], -v[20:21]
	v_add_f64 v[20:21], v[24:25], v[8:9]
	v_cmp_neq_f64_e64 vcc_lo, 0x7ff00000, |v[16:17]|
	v_add_f64 v[10:11], v[14:15], -v[10:11]
	v_add_f64 v[5:6], v[5:6], v[12:13]
	v_fract_f64_e32 v[12:13], v[16:17]
	v_add_f64 v[14:15], v[20:21], v[5:6]
	v_ldexp_f64 v[12:13], v[12:13], 2
	v_add_f64 v[16:17], v[10:11], v[14:15]
	v_cndmask_b32_e32 v13, 0, v13, vcc_lo
	v_cndmask_b32_e32 v12, 0, v12, vcc_lo
	v_add_f64 v[22:23], v[16:17], v[12:13]
	v_add_f64 v[10:11], v[16:17], -v[10:11]
	v_cmp_gt_f64_e32 vcc_lo, 0, v[22:23]
	v_add_f64 v[22:23], v[20:21], -v[24:25]
	v_cndmask_b32_e64 v27, 0, 0x40100000, vcc_lo
	v_add_f64 v[31:32], v[20:21], -v[22:23]
	v_add_f64 v[8:9], v[8:9], -v[22:23]
	v_add_f64 v[12:13], v[12:13], v[26:27]
	v_add_f64 v[27:28], v[14:15], -v[20:21]
	v_add_f64 v[22:23], v[24:25], -v[31:32]
	v_add_f64 v[29:30], v[16:17], v[12:13]
	;; [unrolled: 3-line block ×3, first 2 shown]
	v_cvt_i32_f64_e32 v29, v[29:30]
	v_add_f64 v[20:21], v[20:21], -v[33:34]
	v_cvt_f64_i32_e32 v[27:28], v29
	v_add_f64 v[5:6], v[5:6], v[20:21]
	v_add_f64 v[12:13], v[12:13], -v[27:28]
	v_add_f64 v[5:6], v[8:9], v[5:6]
	v_add_f64 v[8:9], v[14:15], -v[10:11]
	v_add_f64 v[18:19], v[16:17], v[12:13]
	v_add_f64 v[1:2], v[1:2], v[5:6]
	v_add_f64 v[5:6], v[18:19], -v[12:13]
	v_cmp_le_f64_e32 vcc_lo, 0.5, v[18:19]
	v_add_f64 v[1:2], v[8:9], v[1:2]
	v_add_f64 v[5:6], v[16:17], -v[5:6]
	v_cndmask_b32_e64 v27, 0, 0x3ff00000, vcc_lo
	v_add_co_ci_u32_e64 v8, null, 0, v29, vcc_lo
	v_add_f64 v[1:2], v[1:2], v[5:6]
	v_add_f64 v[5:6], v[18:19], -v[26:27]
	v_add_f64 v[9:10], v[5:6], v[1:2]
	v_mul_f64 v[11:12], v[9:10], s[22:23]
	v_add_f64 v[5:6], v[9:10], -v[5:6]
	v_fma_f64 v[13:14], v[9:10], s[22:23], -v[11:12]
	v_add_f64 v[1:2], v[1:2], -v[5:6]
	v_fma_f64 v[5:6], v[9:10], s[44:45], v[13:14]
	v_fma_f64 v[5:6], v[1:2], s[22:23], v[5:6]
	v_add_f64 v[1:2], v[11:12], v[5:6]
	v_add_f64 v[9:10], v[1:2], -v[11:12]
	v_add_f64 v[5:6], v[5:6], -v[9:10]
.LBB7_702:
	s_andn2_saveexec_b32 s0, s0
	s_cbranch_execz .LBB7_704
; %bb.703:
	s_mov_b32 s22, 0x6dc9c883
	s_mov_b32 s23, 0x3fe45f30
	;; [unrolled: 1-line block ×3, first 2 shown]
	v_mul_f64 v[1:2], |v[3:4]|, s[22:23]
	s_mov_b32 s22, 0x54442d18
	s_mov_b32 s23, 0xbff921fb
	;; [unrolled: 1-line block ×3, first 2 shown]
	v_rndne_f64_e32 v[8:9], v[1:2]
	v_fma_f64 v[1:2], v[8:9], s[22:23], |v[3:4]|
	v_mul_f64 v[5:6], v[8:9], s[44:45]
	s_mov_b32 s22, 0x252049c0
	s_mov_b32 s23, 0xb97b839a
	v_fma_f64 v[12:13], v[8:9], s[44:45], v[1:2]
	v_add_f64 v[10:11], v[1:2], v[5:6]
	s_mov_b32 s45, 0x3c91a626
	v_add_f64 v[1:2], v[1:2], -v[10:11]
	v_add_f64 v[10:11], v[10:11], -v[12:13]
	v_add_f64 v[1:2], v[1:2], v[5:6]
	v_fma_f64 v[5:6], v[8:9], s[44:45], v[5:6]
	v_add_f64 v[1:2], v[10:11], v[1:2]
	v_add_f64 v[1:2], v[1:2], -v[5:6]
	v_fma_f64 v[5:6], v[8:9], s[22:23], v[1:2]
	v_cvt_i32_f64_e32 v8, v[8:9]
	v_add_f64 v[1:2], v[12:13], v[5:6]
	v_add_f64 v[10:11], v[1:2], -v[12:13]
	v_add_f64 v[5:6], v[5:6], -v[10:11]
.LBB7_704:
	s_or_b32 exec_lo, exec_lo, s0
	v_mul_f64 v[9:10], v[1:2], v[1:2]
	s_mov_b32 s22, 0xb42fdfa7
	s_mov_b32 s44, 0xf9a43bb8
	s_mov_b32 s23, 0xbe5ae600
	s_mov_b32 s45, 0x3de5e0b2
	s_mov_b32 s46, 0x796cde01
	s_mov_b32 s47, 0x3ec71de3
	v_mul_f64 v[19:20], v[5:6], 0.5
	v_cmp_class_f64_e64 s0, v[3:4], 0x1f8
	v_lshlrev_b32_e32 v3, 30, v8
	s_mov_b32 s43, 0
	v_xor_b32_e32 v3, v3, v4
	v_and_b32_e32 v3, 0x80000000, v3
	v_fma_f64 v[11:12], v[9:10], s[44:45], s[22:23]
	s_mov_b32 s22, 0x9037ab78
	s_mov_b32 s44, 0x46cc5e42
	;; [unrolled: 1-line block ×4, first 2 shown]
	v_mul_f64 v[15:16], v[9:10], 0.5
	v_fma_f64 v[13:14], v[9:10], s[44:45], s[22:23]
	s_mov_b32 s22, 0xa17f65f6
	s_mov_b32 s44, 0x19e83e5c
	;; [unrolled: 1-line block ×4, first 2 shown]
	v_mul_f64 v[21:22], v[1:2], -v[9:10]
	v_fma_f64 v[11:12], v[9:10], v[11:12], s[46:47]
	v_add_f64 v[17:18], -v[15:16], 1.0
	v_fma_f64 v[13:14], v[9:10], v[13:14], s[22:23]
	s_mov_b32 s22, 0x19f4ec90
	s_mov_b32 s23, 0x3efa01a0
	v_fma_f64 v[11:12], v[9:10], v[11:12], s[44:45]
	s_mov_b32 s44, 0x11110bb3
	s_mov_b32 s45, 0x3f811111
	v_add_f64 v[23:24], -v[17:18], 1.0
	v_fma_f64 v[13:14], v[9:10], v[13:14], s[22:23]
	s_mov_b32 s22, 0x16c16967
	s_mov_b32 s23, 0xbf56c16c
	v_fma_f64 v[11:12], v[9:10], v[11:12], s[44:45]
	v_add_f64 v[15:16], v[23:24], -v[15:16]
	v_fma_f64 v[13:14], v[9:10], v[13:14], s[22:23]
	s_mov_b32 s23, 0x3fa55555
	s_mov_b32 s22, 0x55555555
	v_fma_f64 v[11:12], v[21:22], v[11:12], v[19:20]
	v_mul_f64 v[19:20], v[9:10], v[9:10]
	v_fma_f64 v[15:16], v[1:2], -v[5:6], v[15:16]
	v_fma_f64 v[13:14], v[9:10], v[13:14], s[22:23]
	s_mov_b32 s23, 0xbfc55555
	v_fma_f64 v[5:6], v[9:10], v[11:12], -v[5:6]
	v_fma_f64 v[9:10], v[19:20], v[13:14], v[15:16]
	v_fma_f64 v[5:6], v[21:22], s[22:23], v[5:6]
	v_add_co_u32 v4, s22, s8, v0
	s_mov_b32 s23, -1
	v_add_f64 v[9:10], v[17:18], v[9:10]
	v_add_f64 v[1:2], v[1:2], -v[5:6]
	v_and_b32_e32 v5, 1, v8
	v_cmp_eq_u32_e32 vcc_lo, 0, v5
	v_add_co_ci_u32_e64 v5, null, s9, 0, s22
	s_and_b32 s22, s29, 0xff
	s_cmp_lt_i32 s22, 11
	v_cndmask_b32_e32 v2, v10, v2, vcc_lo
	v_cndmask_b32_e32 v1, v9, v1, vcc_lo
	v_xor_b32_e32 v2, v2, v3
	v_cndmask_b32_e64 v0, 0, v1, s0
	v_cndmask_b32_e64 v1, 0x7ff80000, v2, s0
	s_mov_b32 s0, s40
	s_cbranch_scc1 .LBB7_712
; %bb.705:
	s_and_b32 s23, 0xffff, s22
	s_cmp_gt_i32 s23, 25
	s_cbranch_scc0 .LBB7_753
; %bb.706:
	s_cmp_gt_i32 s23, 28
	s_cbranch_scc0 .LBB7_754
; %bb.707:
	;; [unrolled: 3-line block ×4, first 2 shown]
	s_mov_b32 s44, 0
	s_mov_b32 s0, -1
	s_cmp_eq_u32 s23, 46
	s_cbranch_scc0 .LBB7_757
; %bb.710:
	v_cvt_f32_f64_e32 v2, v[0:1]
	s_mov_b32 s43, -1
	s_mov_b32 s0, 0
	v_bfe_u32 v3, v2, 16, 1
	v_cmp_o_f32_e32 vcc_lo, v2, v2
	v_add3_u32 v2, v2, v3, 0x7fff
	v_mov_b32_e32 v3, 0x7fc0
	v_cndmask_b32_sdwa v2, v3, v2, vcc_lo dst_sel:DWORD dst_unused:UNUSED_PAD src0_sel:DWORD src1_sel:WORD_1
	global_store_dword v[4:5], v2, off
	s_branch .LBB7_757
.LBB7_711:
	s_mov_b32 s43, 0
	s_mov_b32 s0, s40
	s_branch .LBB7_752
.LBB7_712:
	s_and_b32 vcc_lo, exec_lo, s23
	s_cbranch_vccz .LBB7_826
; %bb.713:
	s_and_b32 s22, 0xffff, s22
	s_mov_b32 s23, -1
	s_cmp_lt_i32 s22, 5
	s_cbranch_scc1 .LBB7_734
; %bb.714:
	s_cmp_lt_i32 s22, 8
	s_cbranch_scc1 .LBB7_724
; %bb.715:
	;; [unrolled: 3-line block ×3, first 2 shown]
	s_cmp_gt_i32 s22, 9
	s_cbranch_scc0 .LBB7_718
; %bb.717:
	v_mov_b32_e32 v2, 0
	s_mov_b32 s23, 0
	v_mov_b32_e32 v3, v2
	global_store_dwordx4 v[4:5], v[0:3], off
.LBB7_718:
	s_andn2_b32 vcc_lo, exec_lo, s23
	s_cbranch_vccnz .LBB7_720
; %bb.719:
	v_cvt_f32_f64_e32 v2, v[0:1]
	v_mov_b32_e32 v3, 0
	global_store_dwordx2 v[4:5], v[2:3], off
.LBB7_720:
	s_mov_b32 s23, 0
.LBB7_721:
	s_andn2_b32 vcc_lo, exec_lo, s23
	s_cbranch_vccnz .LBB7_723
; %bb.722:
	v_and_or_b32 v2, 0x1ff, v1, v0
	v_lshrrev_b32_e32 v3, 8, v1
	v_bfe_u32 v6, v1, 20, 11
	v_cmp_ne_u32_e32 vcc_lo, 0, v2
	v_sub_nc_u32_e32 v8, 0x3f1, v6
	v_add_nc_u32_e32 v6, 0xfffffc10, v6
	v_cndmask_b32_e64 v2, 0, 1, vcc_lo
	v_and_or_b32 v2, 0xffe, v3, v2
	v_med3_i32 v3, v8, 0, 13
	v_or_b32_e32 v8, 0x1000, v2
	v_lshrrev_b32_e32 v9, v3, v8
	v_lshlrev_b32_e32 v3, v3, v9
	v_cmp_ne_u32_e32 vcc_lo, v3, v8
	v_lshl_or_b32 v8, v6, 12, v2
	v_cndmask_b32_e64 v3, 0, 1, vcc_lo
	v_cmp_gt_i32_e32 vcc_lo, 1, v6
	v_or_b32_e32 v3, v9, v3
	v_cndmask_b32_e32 v3, v8, v3, vcc_lo
	v_and_b32_e32 v8, 7, v3
	v_lshrrev_b32_e32 v3, 2, v3
	v_cmp_lt_i32_e32 vcc_lo, 5, v8
	v_cndmask_b32_e64 v9, 0, 1, vcc_lo
	v_cmp_eq_u32_e32 vcc_lo, 3, v8
	v_cndmask_b32_e64 v8, 0, 1, vcc_lo
	v_cmp_ne_u32_e32 vcc_lo, 0, v2
	v_or_b32_e32 v8, v8, v9
	v_mov_b32_e32 v9, 0x7e00
	v_add_nc_u32_e32 v3, v3, v8
	v_cndmask_b32_e32 v2, 0x7c00, v9, vcc_lo
	v_cmp_gt_i32_e32 vcc_lo, 31, v6
	v_cndmask_b32_e32 v3, 0x7c00, v3, vcc_lo
	v_cmp_eq_u32_e32 vcc_lo, 0x40f, v6
	v_cndmask_b32_e32 v2, v3, v2, vcc_lo
	v_lshrrev_b32_e32 v3, 16, v1
	v_and_or_b32 v2, 0x8000, v3, v2
	v_and_b32_e32 v2, 0xffff, v2
	global_store_dword v[4:5], v2, off
.LBB7_723:
	s_mov_b32 s23, 0
.LBB7_724:
	s_andn2_b32 vcc_lo, exec_lo, s23
	s_cbranch_vccnz .LBB7_733
; %bb.725:
	s_cmp_lt_i32 s22, 6
	s_mov_b32 s23, -1
	s_cbranch_scc1 .LBB7_731
; %bb.726:
	s_cmp_gt_i32 s22, 6
	s_cbranch_scc0 .LBB7_728
; %bb.727:
	s_mov_b32 s23, 0
	global_store_dwordx2 v[4:5], v[0:1], off
.LBB7_728:
	s_andn2_b32 vcc_lo, exec_lo, s23
	s_cbranch_vccnz .LBB7_730
; %bb.729:
	v_cvt_f32_f64_e32 v2, v[0:1]
	global_store_dword v[4:5], v2, off
.LBB7_730:
	s_mov_b32 s23, 0
.LBB7_731:
	s_andn2_b32 vcc_lo, exec_lo, s23
	s_cbranch_vccnz .LBB7_733
; %bb.732:
	v_and_or_b32 v2, 0x1ff, v1, v0
	v_lshrrev_b32_e32 v3, 8, v1
	v_bfe_u32 v6, v1, 20, 11
	v_cmp_ne_u32_e32 vcc_lo, 0, v2
	v_sub_nc_u32_e32 v8, 0x3f1, v6
	v_add_nc_u32_e32 v6, 0xfffffc10, v6
	v_cndmask_b32_e64 v2, 0, 1, vcc_lo
	v_and_or_b32 v2, 0xffe, v3, v2
	v_med3_i32 v3, v8, 0, 13
	v_or_b32_e32 v8, 0x1000, v2
	v_lshrrev_b32_e32 v9, v3, v8
	v_lshlrev_b32_e32 v3, v3, v9
	v_cmp_ne_u32_e32 vcc_lo, v3, v8
	v_lshl_or_b32 v8, v6, 12, v2
	v_cndmask_b32_e64 v3, 0, 1, vcc_lo
	v_cmp_gt_i32_e32 vcc_lo, 1, v6
	v_or_b32_e32 v3, v9, v3
	v_cndmask_b32_e32 v3, v8, v3, vcc_lo
	v_and_b32_e32 v8, 7, v3
	v_lshrrev_b32_e32 v3, 2, v3
	v_cmp_lt_i32_e32 vcc_lo, 5, v8
	v_cndmask_b32_e64 v9, 0, 1, vcc_lo
	v_cmp_eq_u32_e32 vcc_lo, 3, v8
	v_cndmask_b32_e64 v8, 0, 1, vcc_lo
	v_cmp_ne_u32_e32 vcc_lo, 0, v2
	v_or_b32_e32 v8, v8, v9
	v_mov_b32_e32 v9, 0x7e00
	v_add_nc_u32_e32 v3, v3, v8
	v_cndmask_b32_e32 v2, 0x7c00, v9, vcc_lo
	v_cmp_gt_i32_e32 vcc_lo, 31, v6
	v_cndmask_b32_e32 v3, 0x7c00, v3, vcc_lo
	v_cmp_eq_u32_e32 vcc_lo, 0x40f, v6
	v_cndmask_b32_e32 v2, v3, v2, vcc_lo
	v_lshrrev_b32_e32 v3, 16, v1
	v_and_or_b32 v2, 0x8000, v3, v2
	global_store_short v[4:5], v2, off
.LBB7_733:
	s_mov_b32 s23, 0
.LBB7_734:
	s_andn2_b32 vcc_lo, exec_lo, s23
	s_cbranch_vccnz .LBB7_750
; %bb.735:
	s_cmp_lt_i32 s22, 2
	s_mov_b32 s23, -1
	s_cbranch_scc1 .LBB7_745
; %bb.736:
	s_cmp_lt_i32 s22, 3
	s_cbranch_scc1 .LBB7_742
; %bb.737:
	s_cmp_gt_i32 s22, 3
	s_cbranch_scc0 .LBB7_739
; %bb.738:
	v_trunc_f64_e32 v[2:3], v[0:1]
	s_mov_b32 s23, 0
	v_ldexp_f64 v[8:9], v[2:3], 0xffffffe0
	v_floor_f64_e32 v[8:9], v[8:9]
	v_fma_f64 v[2:3], 0xc1f00000, v[8:9], v[2:3]
	v_cvt_i32_f64_e32 v9, v[8:9]
	v_cvt_u32_f64_e32 v8, v[2:3]
	global_store_dwordx2 v[4:5], v[8:9], off
.LBB7_739:
	s_andn2_b32 vcc_lo, exec_lo, s23
	s_cbranch_vccnz .LBB7_741
; %bb.740:
	v_cvt_i32_f64_e32 v2, v[0:1]
	global_store_dword v[4:5], v2, off
.LBB7_741:
	s_mov_b32 s23, 0
.LBB7_742:
	s_andn2_b32 vcc_lo, exec_lo, s23
	s_cbranch_vccnz .LBB7_744
; %bb.743:
	v_cvt_i32_f64_e32 v2, v[0:1]
	global_store_short v[4:5], v2, off
.LBB7_744:
	s_mov_b32 s23, 0
.LBB7_745:
	s_andn2_b32 vcc_lo, exec_lo, s23
	s_cbranch_vccnz .LBB7_750
; %bb.746:
	s_cmp_gt_i32 s22, 0
	s_mov_b32 s22, -1
	s_cbranch_scc0 .LBB7_748
; %bb.747:
	v_cvt_i32_f64_e32 v2, v[0:1]
	s_mov_b32 s22, 0
	global_store_byte v[4:5], v2, off
.LBB7_748:
	s_andn2_b32 vcc_lo, exec_lo, s22
	s_cbranch_vccnz .LBB7_750
; %bb.749:
	v_trunc_f64_e32 v[0:1], v[0:1]
	v_ldexp_f64 v[2:3], v[0:1], 0xffffffe0
	v_floor_f64_e32 v[2:3], v[2:3]
	v_fma_f64 v[0:1], 0xc1f00000, v[2:3], v[0:1]
	v_cvt_u32_f64_e32 v0, v[0:1]
	global_store_byte v[4:5], v0, off
.LBB7_750:
	s_branch .LBB7_827
.LBB7_751:
	s_mov_b32 s43, 0
.LBB7_752:
                                        ; implicit-def: $vgpr7
	s_branch .LBB7_828
.LBB7_753:
	s_mov_b32 s44, -1
	s_mov_b32 s0, s40
	s_branch .LBB7_784
.LBB7_754:
	s_mov_b32 s44, -1
	s_mov_b32 s0, s40
	s_branch .LBB7_767
.LBB7_755:
	s_mov_b32 s44, -1
	s_mov_b32 s0, s40
	s_branch .LBB7_763
.LBB7_756:
	s_mov_b32 s44, -1
	s_mov_b32 s0, s40
.LBB7_757:
	s_and_b32 vcc_lo, exec_lo, s44
	s_cbranch_vccz .LBB7_762
; %bb.758:
	s_cmp_eq_u32 s23, 44
	s_mov_b32 s0, -1
	s_cbranch_scc0 .LBB7_762
; %bb.759:
	v_cvt_f32_f64_e32 v2, v[0:1]
	v_mov_b32_e32 v3, 0xff
	s_mov_b32 s43, exec_lo
	v_bfe_u32 v6, v2, 23, 8
	v_cmpx_ne_u32_e32 0xff, v6
	s_cbranch_execz .LBB7_761
; %bb.760:
	v_and_b32_e32 v3, 0x400000, v2
	v_and_or_b32 v6, 0x3fffff, v2, v6
	v_lshrrev_b32_e32 v2, 23, v2
	v_cmp_ne_u32_e32 vcc_lo, 0, v3
	v_cmp_ne_u32_e64 s0, 0, v6
	s_and_b32 s0, vcc_lo, s0
	v_cndmask_b32_e64 v3, 0, 1, s0
	v_add_nc_u32_e32 v3, v2, v3
.LBB7_761:
	s_or_b32 exec_lo, exec_lo, s43
	s_mov_b32 s43, -1
	s_mov_b32 s0, 0
	global_store_byte v[4:5], v3, off
.LBB7_762:
	s_mov_b32 s44, 0
.LBB7_763:
	s_and_b32 vcc_lo, exec_lo, s44
	s_cbranch_vccz .LBB7_766
; %bb.764:
	s_cmp_eq_u32 s23, 29
	s_mov_b32 s0, -1
	s_cbranch_scc0 .LBB7_766
; %bb.765:
	v_trunc_f64_e32 v[2:3], v[0:1]
	s_mov_b32 s43, -1
	s_mov_b32 s0, 0
	s_mov_b32 s44, 0
	v_ldexp_f64 v[8:9], v[2:3], 0xffffffe0
	v_floor_f64_e32 v[8:9], v[8:9]
	v_fma_f64 v[2:3], 0xc1f00000, v[8:9], v[2:3]
	v_cvt_u32_f64_e32 v9, v[8:9]
	v_cvt_u32_f64_e32 v8, v[2:3]
	global_store_dwordx2 v[4:5], v[8:9], off
	s_branch .LBB7_767
.LBB7_766:
	s_mov_b32 s44, 0
.LBB7_767:
	s_and_b32 vcc_lo, exec_lo, s44
	s_cbranch_vccz .LBB7_783
; %bb.768:
	s_cmp_lt_i32 s23, 27
	s_mov_b32 s43, -1
	s_cbranch_scc1 .LBB7_774
; %bb.769:
	v_cvt_u32_f64_e32 v2, v[0:1]
	s_cmp_gt_i32 s23, 27
	s_cbranch_scc0 .LBB7_771
; %bb.770:
	s_mov_b32 s43, 0
	global_store_dword v[4:5], v2, off
.LBB7_771:
	s_andn2_b32 vcc_lo, exec_lo, s43
	s_cbranch_vccnz .LBB7_773
; %bb.772:
	global_store_short v[4:5], v2, off
.LBB7_773:
	s_mov_b32 s43, 0
.LBB7_774:
	s_andn2_b32 vcc_lo, exec_lo, s43
	s_cbranch_vccnz .LBB7_782
; %bb.775:
	v_cvt_f32_f64_e32 v2, v[0:1]
	v_mov_b32_e32 v6, 0x80
	s_mov_b32 s43, exec_lo
	v_and_b32_e32 v3, 0x7fffffff, v2
	v_cmpx_gt_u32_e32 0x43800000, v3
	s_cbranch_execz .LBB7_781
; %bb.776:
	v_cmp_lt_u32_e32 vcc_lo, 0x3bffffff, v3
	s_mov_b32 s44, 0
                                        ; implicit-def: $vgpr3
	s_and_saveexec_b32 s45, vcc_lo
	s_xor_b32 s45, exec_lo, s45
	s_cbranch_execz .LBB7_857
; %bb.777:
	v_bfe_u32 v3, v2, 20, 1
	s_mov_b32 s44, exec_lo
	v_add3_u32 v3, v2, v3, 0x487ffff
	v_lshrrev_b32_e32 v3, 20, v3
	s_andn2_saveexec_b32 s45, s45
	s_cbranch_execnz .LBB7_858
.LBB7_778:
	s_or_b32 exec_lo, exec_lo, s45
	v_mov_b32_e32 v6, 0
	s_and_saveexec_b32 s45, s44
.LBB7_779:
	v_lshrrev_b32_e32 v2, 24, v2
	v_and_or_b32 v6, 0x80, v2, v3
.LBB7_780:
	s_or_b32 exec_lo, exec_lo, s45
.LBB7_781:
	s_or_b32 exec_lo, exec_lo, s43
	global_store_byte v[4:5], v6, off
.LBB7_782:
	s_mov_b32 s43, -1
.LBB7_783:
	s_mov_b32 s44, 0
.LBB7_784:
	s_and_b32 vcc_lo, exec_lo, s44
	s_cbranch_vccz .LBB7_825
; %bb.785:
	s_cmp_gt_i32 s23, 22
	s_mov_b32 s44, -1
	s_cbranch_scc0 .LBB7_817
; %bb.786:
	s_cmp_lt_i32 s23, 24
	s_mov_b32 s43, -1
	s_cbranch_scc1 .LBB7_806
; %bb.787:
	s_cmp_gt_i32 s23, 24
	s_cbranch_scc0 .LBB7_795
; %bb.788:
	v_cvt_f32_f64_e32 v2, v[0:1]
	v_mov_b32_e32 v6, 0x80
	s_mov_b32 s43, exec_lo
	v_and_b32_e32 v3, 0x7fffffff, v2
	v_cmpx_gt_u32_e32 0x47800000, v3
	s_cbranch_execz .LBB7_794
; %bb.789:
	v_cmp_lt_u32_e32 vcc_lo, 0x37ffffff, v3
	s_mov_b32 s44, 0
                                        ; implicit-def: $vgpr3
	s_and_saveexec_b32 s45, vcc_lo
	s_xor_b32 s45, exec_lo, s45
	s_cbranch_execz .LBB7_860
; %bb.790:
	v_bfe_u32 v3, v2, 21, 1
	s_mov_b32 s44, exec_lo
	v_add3_u32 v3, v2, v3, 0x88fffff
	v_lshrrev_b32_e32 v3, 21, v3
	s_andn2_saveexec_b32 s45, s45
	s_cbranch_execnz .LBB7_861
.LBB7_791:
	s_or_b32 exec_lo, exec_lo, s45
	v_mov_b32_e32 v6, 0
	s_and_saveexec_b32 s45, s44
.LBB7_792:
	v_lshrrev_b32_e32 v2, 24, v2
	v_and_or_b32 v6, 0x80, v2, v3
.LBB7_793:
	s_or_b32 exec_lo, exec_lo, s45
.LBB7_794:
	s_or_b32 exec_lo, exec_lo, s43
	s_mov_b32 s43, 0
	global_store_byte v[4:5], v6, off
.LBB7_795:
	s_and_b32 vcc_lo, exec_lo, s43
	s_cbranch_vccz .LBB7_805
; %bb.796:
	v_cvt_f32_f64_e32 v2, v[0:1]
	s_mov_b32 s43, exec_lo
                                        ; implicit-def: $vgpr3
	v_and_b32_e32 v6, 0x7fffffff, v2
	v_cmpx_gt_u32_e32 0x43f00000, v6
	s_xor_b32 s43, exec_lo, s43
	s_cbranch_execz .LBB7_802
; %bb.797:
	s_mov_b32 s44, exec_lo
                                        ; implicit-def: $vgpr3
	v_cmpx_lt_u32_e32 0x3c7fffff, v6
	s_xor_b32 s44, exec_lo, s44
; %bb.798:
	v_bfe_u32 v3, v2, 20, 1
	v_add3_u32 v3, v2, v3, 0x407ffff
	v_and_b32_e32 v6, 0xff00000, v3
	v_lshrrev_b32_e32 v3, 20, v3
	v_cmp_ne_u32_e32 vcc_lo, 0x7f00000, v6
	v_cndmask_b32_e32 v3, 0x7e, v3, vcc_lo
; %bb.799:
	s_andn2_saveexec_b32 s44, s44
; %bb.800:
	v_add_f32_e64 v3, 0x46800000, |v2|
; %bb.801:
	s_or_b32 exec_lo, exec_lo, s44
                                        ; implicit-def: $vgpr6
.LBB7_802:
	s_andn2_saveexec_b32 s43, s43
; %bb.803:
	v_mov_b32_e32 v3, 0x7f
	v_cmp_lt_u32_e32 vcc_lo, 0x7f800000, v6
	v_cndmask_b32_e32 v3, 0x7e, v3, vcc_lo
; %bb.804:
	s_or_b32 exec_lo, exec_lo, s43
	v_lshrrev_b32_e32 v2, 24, v2
	v_and_or_b32 v2, 0x80, v2, v3
	global_store_byte v[4:5], v2, off
.LBB7_805:
	s_mov_b32 s43, 0
.LBB7_806:
	s_andn2_b32 vcc_lo, exec_lo, s43
	s_cbranch_vccnz .LBB7_816
; %bb.807:
	v_cvt_f32_f64_e32 v2, v[0:1]
	s_mov_b32 s43, exec_lo
                                        ; implicit-def: $vgpr3
	v_and_b32_e32 v6, 0x7fffffff, v2
	v_cmpx_gt_u32_e32 0x47800000, v6
	s_xor_b32 s43, exec_lo, s43
	s_cbranch_execz .LBB7_813
; %bb.808:
	s_mov_b32 s44, exec_lo
                                        ; implicit-def: $vgpr3
	v_cmpx_lt_u32_e32 0x387fffff, v6
	s_xor_b32 s44, exec_lo, s44
; %bb.809:
	v_bfe_u32 v3, v2, 21, 1
	v_add3_u32 v3, v2, v3, 0x80fffff
	v_lshrrev_b32_e32 v3, 21, v3
; %bb.810:
	s_andn2_saveexec_b32 s44, s44
; %bb.811:
	v_add_f32_e64 v3, 0x43000000, |v2|
; %bb.812:
	s_or_b32 exec_lo, exec_lo, s44
                                        ; implicit-def: $vgpr6
.LBB7_813:
	s_andn2_saveexec_b32 s43, s43
; %bb.814:
	v_mov_b32_e32 v3, 0x7f
	v_cmp_lt_u32_e32 vcc_lo, 0x7f800000, v6
	v_cndmask_b32_e32 v3, 0x7c, v3, vcc_lo
; %bb.815:
	s_or_b32 exec_lo, exec_lo, s43
	v_lshrrev_b32_e32 v2, 24, v2
	v_and_or_b32 v2, 0x80, v2, v3
	global_store_byte v[4:5], v2, off
.LBB7_816:
	s_mov_b32 s44, 0
	s_mov_b32 s43, -1
.LBB7_817:
	s_andn2_b32 vcc_lo, exec_lo, s44
	s_cbranch_vccnz .LBB7_825
; %bb.818:
	s_cmp_gt_i32 s23, 14
	s_mov_b32 s44, -1
	s_cbranch_scc0 .LBB7_822
; %bb.819:
	s_cmp_eq_u32 s23, 15
	s_mov_b32 s0, -1
	s_cbranch_scc0 .LBB7_821
; %bb.820:
	v_cvt_f32_f64_e32 v2, v[0:1]
	s_mov_b32 s43, -1
	s_mov_b32 s0, 0
	v_bfe_u32 v3, v2, 16, 1
	v_cmp_o_f32_e32 vcc_lo, v2, v2
	v_add3_u32 v2, v2, v3, 0x7fff
	v_mov_b32_e32 v3, 0x7fc0
	v_cndmask_b32_sdwa v2, v3, v2, vcc_lo dst_sel:DWORD dst_unused:UNUSED_PAD src0_sel:DWORD src1_sel:WORD_1
	global_store_short v[4:5], v2, off
.LBB7_821:
	s_mov_b32 s44, 0
.LBB7_822:
	s_and_b32 vcc_lo, exec_lo, s44
	s_cbranch_vccz .LBB7_825
; %bb.823:
	s_cmp_eq_u32 s23, 11
	s_mov_b32 s0, -1
	s_cbranch_scc0 .LBB7_825
; %bb.824:
	v_cmp_neq_f64_e32 vcc_lo, 0, v[0:1]
	s_mov_b32 s43, -1
	s_mov_b32 s0, 0
	v_cndmask_b32_e64 v2, 0, 1, vcc_lo
	global_store_byte v[4:5], v2, off
.LBB7_825:
.LBB7_826:
	s_andn2_b32 vcc_lo, exec_lo, s43
	s_cbranch_vccnz .LBB7_751
.LBB7_827:
	v_add_nc_u32_e32 v7, 0x80, v7
	s_mov_b32 s43, -1
.LBB7_828:
	s_andn2_b32 s22, s40, exec_lo
	s_and_b32 s0, s0, exec_lo
	s_andn2_b32 s44, s39, exec_lo
	s_and_b32 s1, s1, exec_lo
	s_or_b32 s23, s22, s0
	s_or_b32 s22, s44, s1
	s_orn2_b32 s44, s43, exec_lo
.LBB7_829:
	s_or_b32 exec_lo, exec_lo, s42
	s_mov_b32 s0, 0
	s_mov_b32 s1, 0
	;; [unrolled: 1-line block ×3, first 2 shown]
                                        ; implicit-def: $vgpr0_vgpr1
                                        ; implicit-def: $vgpr2
                                        ; implicit-def: $vgpr3_vgpr4
	s_and_saveexec_b32 s42, s44
	s_cbranch_execz .LBB7_929
; %bb.830:
	v_cmp_gt_i32_e32 vcc_lo, s33, v7
	s_mov_b32 s45, s22
	s_mov_b32 s44, 0
                                        ; implicit-def: $vgpr0_vgpr1
                                        ; implicit-def: $vgpr2
                                        ; implicit-def: $vgpr3_vgpr4
	s_and_saveexec_b32 s33, vcc_lo
	s_cbranch_execz .LBB7_928
; %bb.831:
	s_andn2_b32 vcc_lo, exec_lo, s27
	s_cbranch_vccnz .LBB7_836
; %bb.832:
	s_andn2_b32 vcc_lo, exec_lo, s34
	s_cbranch_vccnz .LBB7_837
; %bb.833:
	s_add_i32 s35, s35, 1
	s_cmp_eq_u32 s25, 2
	s_cbranch_scc1 .LBB7_838
; %bb.834:
	v_mov_b32_e32 v0, 0
	v_mov_b32_e32 v2, 0
	;; [unrolled: 1-line block ×3, first 2 shown]
	s_and_b32 s34, s35, 28
	s_mov_b64 s[0:1], s[2:3]
.LBB7_835:                              ; =>This Inner Loop Header: Depth=1
	s_clause 0x1
	s_load_dwordx8 s[44:51], s[0:1], 0x4
	s_load_dwordx4 s[60:63], s[0:1], 0x24
	s_load_dwordx8 s[52:59], s[20:21], 0x0
	s_add_u32 s0, s0, 48
	s_addc_u32 s1, s1, 0
	s_add_i32 s43, s43, 4
	s_add_u32 s20, s20, 32
	s_addc_u32 s21, s21, 0
	s_cmp_eq_u32 s34, s43
	s_waitcnt vmcnt(0) lgkmcnt(0)
	v_mul_hi_u32 v3, s45, v1
	v_add_nc_u32_e32 v3, v1, v3
	v_lshrrev_b32_e32 v3, s46, v3
	v_mul_hi_u32 v4, s48, v3
	v_mul_lo_u32 v6, v3, s44
	v_add_nc_u32_e32 v4, v3, v4
	v_sub_nc_u32_e32 v1, v1, v6
	v_lshrrev_b32_e32 v4, s49, v4
	v_mul_lo_u32 v6, v1, s52
	v_mul_lo_u32 v9, v1, s53
	v_mul_hi_u32 v5, s51, v4
	v_add_nc_u32_e32 v5, v4, v5
	v_lshrrev_b32_e32 v5, s60, v5
	v_mul_hi_u32 v8, s62, v5
	v_mul_lo_u32 v10, v5, s50
	v_add_nc_u32_e32 v1, v5, v8
	v_mul_lo_u32 v8, v4, s47
	v_sub_nc_u32_e32 v4, v4, v10
	v_lshrrev_b32_e32 v1, s63, v1
	v_mul_lo_u32 v10, v4, s56
	v_mul_lo_u32 v4, v4, s57
	v_sub_nc_u32_e32 v3, v3, v8
	v_mul_lo_u32 v11, v1, s61
	v_mul_lo_u32 v8, v3, s54
	;; [unrolled: 1-line block ×3, first 2 shown]
	v_sub_nc_u32_e32 v5, v5, v11
	v_add3_u32 v2, v6, v2, v8
	v_mul_lo_u32 v11, v5, s58
	v_mul_lo_u32 v5, v5, s59
	v_add3_u32 v0, v9, v0, v3
	v_add3_u32 v2, v10, v2, v11
	;; [unrolled: 1-line block ×3, first 2 shown]
	s_cbranch_scc0 .LBB7_835
	s_branch .LBB7_839
.LBB7_836:
	s_mov_b32 s0, -1
                                        ; implicit-def: $vgpr2
                                        ; implicit-def: $vgpr0
	s_branch .LBB7_843
.LBB7_837:
	v_mov_b32_e32 v2, 0
	v_mov_b32_e32 v0, 0
	s_branch .LBB7_842
.LBB7_838:
	v_mov_b32_e32 v2, 0
	v_mov_b32_e32 v0, 0
	;; [unrolled: 1-line block ×3, first 2 shown]
	s_mov_b32 s34, 0
.LBB7_839:
	s_and_b32 s35, s35, 3
	s_cmp_eq_u32 s35, 0
	s_cbranch_scc1 .LBB7_842
; %bb.840:
	s_lshl_b32 s0, s34, 3
	s_mul_i32 s20, s34, 12
	s_add_u32 s0, s2, s0
	s_addc_u32 s1, s3, 0
	s_add_u32 s0, s0, 0xc4
	s_addc_u32 s1, s1, 0
	;; [unrolled: 2-line block ×3, first 2 shown]
.LBB7_841:                              ; =>This Inner Loop Header: Depth=1
	s_clause 0x1
	s_load_dwordx2 s[44:45], s[20:21], 0x4
	s_load_dword s34, s[20:21], 0xc
	s_load_dwordx2 s[46:47], s[0:1], 0x0
	s_add_u32 s20, s20, 12
	s_addc_u32 s21, s21, 0
	s_add_u32 s0, s0, 8
	s_addc_u32 s1, s1, 0
	s_add_i32 s35, s35, -1
	s_cmp_lg_u32 s35, 0
	s_waitcnt vmcnt(0) lgkmcnt(0)
	v_mul_hi_u32 v3, s45, v1
	v_add_nc_u32_e32 v3, v1, v3
	v_lshrrev_b32_e32 v4, s34, v3
	v_mul_lo_u32 v3, v4, s44
	v_sub_nc_u32_e32 v1, v1, v3
	v_mad_u64_u32 v[2:3], null, v1, s46, v[2:3]
	v_mad_u64_u32 v[0:1], null, v1, s47, v[0:1]
	v_mov_b32_e32 v1, v4
	s_cbranch_scc1 .LBB7_841
.LBB7_842:
	s_mov_b32 s0, 0
.LBB7_843:
	s_andn2_b32 vcc_lo, exec_lo, s0
	s_cbranch_vccnz .LBB7_846
; %bb.844:
	s_waitcnt lgkmcnt(0)
	v_mul_hi_u32 v0, s17, v7
	s_andn2_b32 vcc_lo, exec_lo, s31
	v_add_nc_u32_e32 v0, v7, v0
	v_lshrrev_b32_e32 v1, s18, v0
	v_mul_lo_u32 v0, v1, s16
	v_sub_nc_u32_e32 v0, v7, v0
	v_mul_lo_u32 v2, v0, s12
	v_mul_lo_u32 v0, v0, s13
	s_cbranch_vccnz .LBB7_846
; %bb.845:
	s_waitcnt vmcnt(0)
	v_mul_hi_u32 v3, s6, v1
	v_add_nc_u32_e32 v3, v1, v3
	v_lshrrev_b32_e32 v3, s7, v3
	v_mul_lo_u32 v3, v3, s19
	v_sub_nc_u32_e32 v1, v1, v3
	v_mad_u64_u32 v[2:3], null, v1, s14, v[2:3]
	v_mad_u64_u32 v[0:1], null, v1, s15, v[0:1]
.LBB7_846:
	s_waitcnt lgkmcnt(0)
	v_add_co_u32 v0, s0, s10, v0
	v_add_co_ci_u32_e64 v1, null, s11, 0, s0
	s_and_b32 s0, 0xffff, s30
	s_cmp_lt_i32 s0, 11
	s_cbranch_scc1 .LBB7_853
; %bb.847:
	s_cmp_gt_i32 s0, 25
	s_mov_b32 s6, 0
	s_cbranch_scc0 .LBB7_854
; %bb.848:
	s_cmp_gt_i32 s0, 28
	s_cbranch_scc0 .LBB7_855
; %bb.849:
	s_cmp_gt_i32 s0, 43
	;; [unrolled: 3-line block ×3, first 2 shown]
	s_cbranch_scc0 .LBB7_859
; %bb.851:
	s_cmp_eq_u32 s0, 46
	s_mov_b32 s10, 0
	s_cbranch_scc0 .LBB7_862
; %bb.852:
	global_load_dword v3, v[0:1], off
	s_mov_b32 s1, 0
	s_mov_b32 s7, -1
	s_waitcnt vmcnt(0)
	v_lshlrev_b32_e32 v3, 16, v3
	v_cvt_f64_f32_e32 v[3:4], v3
	s_branch .LBB7_864
.LBB7_853:
	s_mov_b32 s0, -1
	s_mov_b32 s7, 0
	s_mov_b32 s6, 0
	;; [unrolled: 1-line block ×3, first 2 shown]
                                        ; implicit-def: $vgpr3_vgpr4
	s_branch .LBB7_927
.LBB7_854:
	s_mov_b32 s10, -1
	s_mov_b32 s7, 0
	s_mov_b32 s1, s22
                                        ; implicit-def: $vgpr3_vgpr4
	s_branch .LBB7_895
.LBB7_855:
	s_mov_b32 s10, -1
	s_mov_b32 s7, 0
	s_mov_b32 s1, s22
                                        ; implicit-def: $vgpr3_vgpr4
	s_branch .LBB7_874
.LBB7_856:
	s_mov_b32 s10, -1
	s_mov_b32 s7, 0
	s_mov_b32 s1, s22
                                        ; implicit-def: $vgpr3_vgpr4
	s_branch .LBB7_869
.LBB7_857:
	s_andn2_saveexec_b32 s45, s45
	s_cbranch_execz .LBB7_778
.LBB7_858:
	v_add_f32_e64 v3, 0x46000000, |v2|
	s_andn2_b32 s44, s44, exec_lo
	v_and_b32_e32 v3, 0xff, v3
	v_cmp_ne_u32_e32 vcc_lo, 0, v3
	s_and_b32 s46, vcc_lo, exec_lo
	s_or_b32 s44, s44, s46
	s_or_b32 exec_lo, exec_lo, s45
	v_mov_b32_e32 v6, 0
	s_and_saveexec_b32 s45, s44
	s_cbranch_execnz .LBB7_779
	s_branch .LBB7_780
.LBB7_859:
	s_mov_b32 s10, -1
	s_mov_b32 s7, 0
	s_mov_b32 s1, s22
	s_branch .LBB7_863
.LBB7_860:
	s_andn2_saveexec_b32 s45, s45
	s_cbranch_execz .LBB7_791
.LBB7_861:
	v_add_f32_e64 v3, 0x42800000, |v2|
	s_andn2_b32 s44, s44, exec_lo
	v_and_b32_e32 v3, 0xff, v3
	v_cmp_ne_u32_e32 vcc_lo, 0, v3
	s_and_b32 s46, vcc_lo, exec_lo
	s_or_b32 s44, s44, s46
	s_or_b32 exec_lo, exec_lo, s45
	v_mov_b32_e32 v6, 0
	s_and_saveexec_b32 s45, s44
	s_cbranch_execnz .LBB7_792
	s_branch .LBB7_793
.LBB7_862:
	s_mov_b32 s1, -1
	s_mov_b32 s7, 0
.LBB7_863:
                                        ; implicit-def: $vgpr3_vgpr4
.LBB7_864:
	s_and_b32 vcc_lo, exec_lo, s10
	s_cbranch_vccz .LBB7_868
; %bb.865:
	s_cmp_eq_u32 s0, 44
	s_cbranch_scc0 .LBB7_867
; %bb.866:
	global_load_ubyte v5, v[0:1], off
	s_mov_b32 s1, 0
	s_mov_b32 s7, -1
	s_waitcnt vmcnt(0)
	v_lshlrev_b32_e32 v3, 23, v5
	v_cmp_ne_u32_e32 vcc_lo, 0xff, v5
	v_cvt_f64_f32_e32 v[3:4], v3
	v_cndmask_b32_e32 v3, 0x20000000, v3, vcc_lo
	v_cndmask_b32_e32 v4, 0x7ff80000, v4, vcc_lo
	v_cmp_ne_u32_e32 vcc_lo, 0, v5
	v_cndmask_b32_e32 v4, 0x38000000, v4, vcc_lo
	v_cndmask_b32_e32 v3, 0, v3, vcc_lo
	s_branch .LBB7_868
.LBB7_867:
	s_mov_b32 s1, -1
                                        ; implicit-def: $vgpr3_vgpr4
.LBB7_868:
	s_mov_b32 s10, 0
.LBB7_869:
	s_and_b32 vcc_lo, exec_lo, s10
	s_cbranch_vccz .LBB7_873
; %bb.870:
	s_cmp_eq_u32 s0, 29
	s_cbranch_scc0 .LBB7_872
; %bb.871:
	global_load_dwordx2 v[3:4], v[0:1], off
	s_mov_b32 s1, 0
	s_mov_b32 s7, -1
	s_mov_b32 s10, 0
	s_waitcnt vmcnt(0)
	v_cvt_f64_u32_e32 v[4:5], v4
	v_cvt_f64_u32_e32 v[6:7], v3
	v_ldexp_f64 v[4:5], v[4:5], 32
	v_add_f64 v[3:4], v[4:5], v[6:7]
	s_branch .LBB7_874
.LBB7_872:
	s_mov_b32 s1, -1
                                        ; implicit-def: $vgpr3_vgpr4
.LBB7_873:
	s_mov_b32 s10, 0
.LBB7_874:
	s_and_b32 vcc_lo, exec_lo, s10
	s_cbranch_vccz .LBB7_894
; %bb.875:
	s_cmp_lt_i32 s0, 27
	s_cbranch_scc1 .LBB7_878
; %bb.876:
	s_cmp_gt_i32 s0, 27
	s_cbranch_scc0 .LBB7_879
; %bb.877:
	global_load_dword v3, v[0:1], off
	s_mov_b32 s7, 0
	s_waitcnt vmcnt(0)
	v_cvt_f64_u32_e32 v[3:4], v3
	s_branch .LBB7_880
.LBB7_878:
	s_mov_b32 s7, -1
                                        ; implicit-def: $vgpr3_vgpr4
	s_branch .LBB7_883
.LBB7_879:
	s_mov_b32 s7, -1
                                        ; implicit-def: $vgpr3_vgpr4
.LBB7_880:
	s_andn2_b32 vcc_lo, exec_lo, s7
	s_cbranch_vccnz .LBB7_882
; %bb.881:
	global_load_ushort v3, v[0:1], off
	s_waitcnt vmcnt(0)
	v_cvt_f64_u32_e32 v[3:4], v3
.LBB7_882:
	s_mov_b32 s7, 0
.LBB7_883:
	s_andn2_b32 vcc_lo, exec_lo, s7
	s_cbranch_vccnz .LBB7_893
; %bb.884:
	global_load_ubyte v5, v[0:1], off
	s_mov_b32 s7, 0
	s_mov_b32 s10, exec_lo
	s_waitcnt vmcnt(0)
	v_cmpx_lt_i16_e32 0x7f, v5
	s_xor_b32 s10, exec_lo, s10
	s_cbranch_execz .LBB7_888
; %bb.885:
	s_mov_b32 s7, -1
	s_mov_b32 s11, exec_lo
	v_cmpx_eq_u16_e32 0x80, v5
; %bb.886:
	s_xor_b32 s7, exec_lo, -1
; %bb.887:
	s_or_b32 exec_lo, exec_lo, s11
	s_and_b32 s7, s7, exec_lo
.LBB7_888:
	s_or_saveexec_b32 s10, s10
	v_bfrev_b32_e32 v3, 4
	v_mov_b32_e32 v4, 0x7ff80000
	s_xor_b32 exec_lo, exec_lo, s10
; %bb.889:
	v_cmp_ne_u16_e32 vcc_lo, 0, v5
	v_mov_b32_e32 v3, 0
	v_mov_b32_e32 v4, 0
	s_andn2_b32 s7, s7, exec_lo
	s_and_b32 s11, vcc_lo, exec_lo
	s_or_b32 s7, s7, s11
; %bb.890:
	s_or_b32 exec_lo, exec_lo, s10
	s_and_saveexec_b32 s10, s7
	s_cbranch_execz .LBB7_892
; %bb.891:
	v_and_b32_e32 v3, 0xffff, v5
	v_lshlrev_b32_e32 v5, 24, v5
	v_and_b32_e32 v4, 7, v3
	v_bfe_u32 v8, v3, 3, 4
	v_ffbh_u32_e32 v6, v4
	v_cmp_eq_u32_e32 vcc_lo, 0, v8
	v_min_u32_e32 v6, 32, v6
	v_subrev_nc_u32_e32 v7, 28, v6
	v_sub_nc_u32_e32 v6, 29, v6
	v_lshlrev_b32_e32 v3, v7, v3
	v_cndmask_b32_e32 v6, v8, v6, vcc_lo
	v_and_b32_e32 v3, 7, v3
	v_cndmask_b32_e32 v3, v4, v3, vcc_lo
	v_and_b32_e32 v4, 0x80000000, v5
	v_lshl_add_u32 v5, v6, 23, 0x3b800000
	v_lshlrev_b32_e32 v3, 20, v3
	v_or3_b32 v3, v4, v5, v3
	v_cvt_f64_f32_e32 v[3:4], v3
.LBB7_892:
	s_or_b32 exec_lo, exec_lo, s10
.LBB7_893:
	s_mov_b32 s7, -1
.LBB7_894:
	s_mov_b32 s10, 0
.LBB7_895:
	s_and_b32 vcc_lo, exec_lo, s10
	s_cbranch_vccz .LBB7_926
; %bb.896:
	s_cmp_gt_i32 s0, 22
	s_cbranch_scc0 .LBB7_908
; %bb.897:
	s_cmp_lt_i32 s0, 24
	s_cbranch_scc1 .LBB7_909
; %bb.898:
	s_cmp_gt_i32 s0, 24
	s_cbranch_scc0 .LBB7_910
; %bb.899:
	global_load_ubyte v5, v[0:1], off
	s_mov_b32 s7, exec_lo
	s_waitcnt vmcnt(0)
	v_cmpx_lt_i16_e32 0x7f, v5
	s_xor_b32 s7, exec_lo, s7
	s_cbranch_execz .LBB7_903
; %bb.900:
	s_mov_b32 s6, -1
	s_mov_b32 s10, exec_lo
	v_cmpx_eq_u16_e32 0x80, v5
; %bb.901:
	s_xor_b32 s6, exec_lo, -1
; %bb.902:
	s_or_b32 exec_lo, exec_lo, s10
	s_and_b32 s6, s6, exec_lo
.LBB7_903:
	s_or_saveexec_b32 s7, s7
	v_bfrev_b32_e32 v3, 4
	v_mov_b32_e32 v4, 0x7ff80000
	s_xor_b32 exec_lo, exec_lo, s7
; %bb.904:
	v_cmp_ne_u16_e32 vcc_lo, 0, v5
	v_mov_b32_e32 v3, 0
	v_mov_b32_e32 v4, 0
	s_andn2_b32 s6, s6, exec_lo
	s_and_b32 s10, vcc_lo, exec_lo
	s_or_b32 s6, s6, s10
; %bb.905:
	s_or_b32 exec_lo, exec_lo, s7
	s_and_saveexec_b32 s7, s6
	s_cbranch_execz .LBB7_907
; %bb.906:
	v_and_b32_e32 v3, 0xffff, v5
	v_lshlrev_b32_e32 v5, 24, v5
	v_and_b32_e32 v4, 3, v3
	v_bfe_u32 v8, v3, 2, 5
	v_ffbh_u32_e32 v6, v4
	v_cmp_eq_u32_e32 vcc_lo, 0, v8
	v_min_u32_e32 v6, 32, v6
	v_subrev_nc_u32_e32 v7, 29, v6
	v_sub_nc_u32_e32 v6, 30, v6
	v_lshlrev_b32_e32 v3, v7, v3
	v_cndmask_b32_e32 v6, v8, v6, vcc_lo
	v_and_b32_e32 v3, 3, v3
	v_cndmask_b32_e32 v3, v4, v3, vcc_lo
	v_and_b32_e32 v4, 0x80000000, v5
	v_lshl_add_u32 v5, v6, 23, 0x37800000
	v_lshlrev_b32_e32 v3, 21, v3
	v_or3_b32 v3, v4, v5, v3
	v_cvt_f64_f32_e32 v[3:4], v3
.LBB7_907:
	s_or_b32 exec_lo, exec_lo, s7
	s_mov_b32 s6, 0
	s_branch .LBB7_911
.LBB7_908:
	s_mov_b32 s6, -1
                                        ; implicit-def: $vgpr3_vgpr4
	s_branch .LBB7_917
.LBB7_909:
	s_mov_b32 s6, -1
                                        ; implicit-def: $vgpr3_vgpr4
	s_branch .LBB7_914
.LBB7_910:
	s_mov_b32 s6, -1
                                        ; implicit-def: $vgpr3_vgpr4
.LBB7_911:
	s_and_b32 vcc_lo, exec_lo, s6
	s_cbranch_vccz .LBB7_913
; %bb.912:
	global_load_ubyte v3, v[0:1], off
	s_waitcnt vmcnt(0)
	v_lshlrev_b32_e32 v3, 24, v3
	v_and_b32_e32 v4, 0x7f000000, v3
	v_ffbh_u32_e32 v5, v4
	v_add_nc_u32_e32 v7, 0x1000000, v4
	v_cmp_ne_u32_e32 vcc_lo, 0, v4
	v_min_u32_e32 v5, 32, v5
	v_sub_nc_u32_e64 v5, v5, 4 clamp
	v_lshlrev_b32_e32 v6, v5, v4
	v_lshlrev_b32_e32 v5, 23, v5
	v_lshrrev_b32_e32 v6, 4, v6
	v_sub_nc_u32_e32 v5, v6, v5
	v_ashrrev_i32_e32 v6, 8, v7
	v_add_nc_u32_e32 v5, 0x3c000000, v5
	v_and_or_b32 v5, 0x7f800000, v6, v5
	v_cndmask_b32_e32 v4, 0, v5, vcc_lo
	v_and_or_b32 v3, 0x80000000, v3, v4
	v_cvt_f64_f32_e32 v[3:4], v3
.LBB7_913:
	s_mov_b32 s6, 0
.LBB7_914:
	s_andn2_b32 vcc_lo, exec_lo, s6
	s_cbranch_vccnz .LBB7_916
; %bb.915:
	global_load_ubyte v3, v[0:1], off
	s_waitcnt vmcnt(0)
	v_lshlrev_b32_e32 v4, 25, v3
	v_lshlrev_b16 v3, 8, v3
	v_lshrrev_b32_e32 v5, 4, v4
	v_and_or_b32 v6, 0x7f00, v3, 0.5
	v_cmp_gt_u32_e32 vcc_lo, 0x8000000, v4
	v_bfe_i32 v3, v3, 0, 16
	v_or_b32_e32 v5, 0x70000000, v5
	v_add_f32_e32 v6, -0.5, v6
	v_mul_f32_e32 v5, 0x7800000, v5
	v_cndmask_b32_e32 v4, v5, v6, vcc_lo
	v_and_or_b32 v3, 0x80000000, v3, v4
	v_cvt_f64_f32_e32 v[3:4], v3
.LBB7_916:
	s_mov_b32 s6, 0
	s_mov_b32 s7, -1
.LBB7_917:
	s_andn2_b32 vcc_lo, exec_lo, s6
	s_mov_b32 s6, 0
	s_cbranch_vccnz .LBB7_926
; %bb.918:
	s_cmp_gt_i32 s0, 14
	s_cbranch_scc0 .LBB7_921
; %bb.919:
	s_cmp_eq_u32 s0, 15
	s_cbranch_scc0 .LBB7_922
; %bb.920:
	global_load_ushort v3, v[0:1], off
	s_mov_b32 s1, 0
	s_mov_b32 s7, -1
	s_waitcnt vmcnt(0)
	v_lshlrev_b32_e32 v3, 16, v3
	v_cvt_f64_f32_e32 v[3:4], v3
	s_branch .LBB7_924
.LBB7_921:
	s_mov_b32 s6, -1
	s_branch .LBB7_923
.LBB7_922:
	s_mov_b32 s1, -1
.LBB7_923:
                                        ; implicit-def: $vgpr3_vgpr4
.LBB7_924:
	s_and_b32 vcc_lo, exec_lo, s6
	s_mov_b32 s6, 0
	s_cbranch_vccz .LBB7_926
; %bb.925:
	s_cmp_lg_u32 s0, 11
	s_mov_b32 s6, -1
	s_cselect_b32 s0, -1, 0
	s_andn2_b32 s1, s1, exec_lo
	s_and_b32 s0, s0, exec_lo
	s_or_b32 s1, s1, s0
.LBB7_926:
	s_mov_b32 s0, 0
.LBB7_927:
	s_and_b32 s43, s7, exec_lo
	s_andn2_b32 s7, s22, exec_lo
	s_and_b32 s1, s1, exec_lo
	s_and_b32 s44, s0, exec_lo
	;; [unrolled: 1-line block ×3, first 2 shown]
	s_or_b32 s45, s7, s1
.LBB7_928:
	s_or_b32 exec_lo, exec_lo, s33
	s_waitcnt lgkmcnt(0)
	s_andn2_b32 s6, s22, exec_lo
	s_and_b32 s7, s45, exec_lo
	s_and_b32 s43, s43, exec_lo
	;; [unrolled: 1-line block ×4, first 2 shown]
	s_or_b32 s22, s6, s7
.LBB7_929:
	s_or_b32 exec_lo, exec_lo, s42
	s_waitcnt lgkmcnt(0)
	s_andn2_b32 s6, s40, exec_lo
	s_and_b32 s7, s23, exec_lo
	s_and_b32 s42, s43, exec_lo
	s_or_b32 s40, s6, s7
	s_andn2_b32 s6, s39, exec_lo
	s_and_b32 s7, s22, exec_lo
	s_and_b32 s23, s1, exec_lo
	;; [unrolled: 1-line block ×3, first 2 shown]
	s_or_b32 s39, s6, s7
.LBB7_930:
	s_or_b32 exec_lo, exec_lo, s41
	s_andn2_b32 s0, s36, exec_lo
	s_waitcnt lgkmcnt(0)
	s_and_b32 s6, s40, exec_lo
	s_and_b32 s7, s39, exec_lo
	s_or_b32 s36, s0, s6
	s_andn2_b32 s6, s37, exec_lo
	s_and_b32 s0, s42, exec_lo
	s_and_b32 s22, s23, exec_lo
	;; [unrolled: 1-line block ×3, first 2 shown]
	s_or_b32 s37, s6, s7
	s_or_b32 exec_lo, exec_lo, s38
	s_mov_b32 s1, 0
	s_and_saveexec_b32 s6, s37
	s_cbranch_execz .LBB7_278
.LBB7_931:
	s_mov_b32 s1, exec_lo
	s_andn2_b32 s39, s39, exec_lo
	s_trap 2
	s_or_b32 exec_lo, exec_lo, s6
	s_and_saveexec_b32 s6, s39
	s_xor_b32 s6, exec_lo, s6
	s_cbranch_execnz .LBB7_279
.LBB7_932:
	s_or_b32 exec_lo, exec_lo, s6
	s_and_saveexec_b32 s6, s22
	s_cbranch_execz .LBB7_978
.LBB7_933:
	s_sext_i32_i16 s7, s30
	s_cmp_lt_i32 s7, 5
	s_cbranch_scc1 .LBB7_938
; %bb.934:
	s_cmp_lt_i32 s7, 8
	s_cbranch_scc1 .LBB7_939
; %bb.935:
	;; [unrolled: 3-line block ×3, first 2 shown]
	s_cmp_gt_i32 s7, 9
	s_cbranch_scc0 .LBB7_941
; %bb.937:
	global_load_dwordx2 v[3:4], v[0:1], off
	s_mov_b32 s7, 0
	s_branch .LBB7_942
.LBB7_938:
                                        ; implicit-def: $vgpr3_vgpr4
	s_branch .LBB7_959
.LBB7_939:
                                        ; implicit-def: $vgpr3_vgpr4
	s_branch .LBB7_948
.LBB7_940:
	s_mov_b32 s7, -1
                                        ; implicit-def: $vgpr3_vgpr4
	s_branch .LBB7_945
.LBB7_941:
	s_mov_b32 s7, -1
                                        ; implicit-def: $vgpr3_vgpr4
.LBB7_942:
	s_andn2_b32 vcc_lo, exec_lo, s7
	s_cbranch_vccnz .LBB7_944
; %bb.943:
	global_load_dword v3, v[0:1], off
	s_waitcnt vmcnt(0)
	v_cvt_f64_f32_e32 v[3:4], v3
.LBB7_944:
	s_mov_b32 s7, 0
.LBB7_945:
	s_andn2_b32 vcc_lo, exec_lo, s7
	s_cbranch_vccnz .LBB7_947
; %bb.946:
	global_load_dword v3, v[0:1], off
	s_waitcnt vmcnt(0)
	v_cvt_f32_f16_e32 v3, v3
	v_cvt_f64_f32_e32 v[3:4], v3
.LBB7_947:
	s_cbranch_execnz .LBB7_958
.LBB7_948:
	s_sext_i32_i16 s7, s30
	s_cmp_lt_i32 s7, 6
	s_cbranch_scc1 .LBB7_951
; %bb.949:
	s_cmp_gt_i32 s7, 6
	s_cbranch_scc0 .LBB7_952
; %bb.950:
	global_load_dwordx2 v[3:4], v[0:1], off
	s_mov_b32 s7, 0
	s_branch .LBB7_953
.LBB7_951:
	s_mov_b32 s7, -1
                                        ; implicit-def: $vgpr3_vgpr4
	s_branch .LBB7_956
.LBB7_952:
	s_mov_b32 s7, -1
                                        ; implicit-def: $vgpr3_vgpr4
.LBB7_953:
	s_andn2_b32 vcc_lo, exec_lo, s7
	s_cbranch_vccnz .LBB7_955
; %bb.954:
	global_load_dword v3, v[0:1], off
	s_waitcnt vmcnt(0)
	v_cvt_f64_f32_e32 v[3:4], v3
.LBB7_955:
	s_mov_b32 s7, 0
.LBB7_956:
	s_andn2_b32 vcc_lo, exec_lo, s7
	s_cbranch_vccnz .LBB7_958
; %bb.957:
	global_load_ushort v3, v[0:1], off
	s_waitcnt vmcnt(0)
	v_cvt_f32_f16_e32 v3, v3
	v_cvt_f64_f32_e32 v[3:4], v3
.LBB7_958:
	s_cbranch_execnz .LBB7_977
.LBB7_959:
	s_sext_i32_i16 s7, s30
	s_cmp_lt_i32 s7, 2
	s_cbranch_scc1 .LBB7_963
; %bb.960:
	s_cmp_lt_i32 s7, 3
	s_cbranch_scc1 .LBB7_964
; %bb.961:
	s_cmp_gt_i32 s7, 3
	s_cbranch_scc0 .LBB7_965
; %bb.962:
	global_load_dwordx2 v[3:4], v[0:1], off
	s_mov_b32 s7, 0
	s_waitcnt vmcnt(0)
	v_cvt_f64_i32_e32 v[4:5], v4
	v_cvt_f64_u32_e32 v[6:7], v3
	v_ldexp_f64 v[4:5], v[4:5], 32
	v_add_f64 v[3:4], v[4:5], v[6:7]
	s_branch .LBB7_966
.LBB7_963:
                                        ; implicit-def: $vgpr3_vgpr4
	s_branch .LBB7_972
.LBB7_964:
	s_mov_b32 s7, -1
                                        ; implicit-def: $vgpr3_vgpr4
	s_branch .LBB7_969
.LBB7_965:
	s_mov_b32 s7, -1
                                        ; implicit-def: $vgpr3_vgpr4
.LBB7_966:
	s_andn2_b32 vcc_lo, exec_lo, s7
	s_cbranch_vccnz .LBB7_968
; %bb.967:
	global_load_dword v3, v[0:1], off
	s_waitcnt vmcnt(0)
	v_cvt_f64_i32_e32 v[3:4], v3
.LBB7_968:
	s_mov_b32 s7, 0
.LBB7_969:
	s_andn2_b32 vcc_lo, exec_lo, s7
	s_cbranch_vccnz .LBB7_971
; %bb.970:
	global_load_sshort v3, v[0:1], off
	s_waitcnt vmcnt(0)
	v_cvt_f64_i32_e32 v[3:4], v3
.LBB7_971:
	s_cbranch_execnz .LBB7_977
.LBB7_972:
	s_sext_i32_i16 s7, s30
	s_cmp_gt_i32 s7, 0
	s_mov_b32 s7, 0
	s_cbranch_scc0 .LBB7_974
; %bb.973:
	global_load_sbyte v3, v[0:1], off
	s_waitcnt vmcnt(0)
	v_cvt_f64_i32_e32 v[3:4], v3
	s_branch .LBB7_975
.LBB7_974:
	s_mov_b32 s7, -1
                                        ; implicit-def: $vgpr3_vgpr4
.LBB7_975:
	s_andn2_b32 vcc_lo, exec_lo, s7
	s_cbranch_vccnz .LBB7_977
; %bb.976:
	global_load_ubyte v0, v[0:1], off
	s_waitcnt vmcnt(0)
	v_cvt_f64_u32_e32 v[3:4], v0
.LBB7_977:
	s_or_b32 s0, s0, exec_lo
.LBB7_978:
	s_or_b32 exec_lo, exec_lo, s6
	s_mov_b32 s10, 0
	s_mov_b32 s11, 0
                                        ; implicit-def: $sgpr6
                                        ; implicit-def: $vgpr5_vgpr6
                                        ; implicit-def: $vgpr0_vgpr1
	s_and_saveexec_b32 s7, s0
	s_cbranch_execz .LBB7_1057
; %bb.979:
	s_waitcnt vmcnt(0)
	v_cmp_ngt_f64_e64 s0, 0x41d00000, |v[3:4]|
                                        ; implicit-def: $vgpr7
                                        ; implicit-def: $vgpr0_vgpr1
                                        ; implicit-def: $vgpr5_vgpr6
	s_and_saveexec_b32 s6, s0
	s_xor_b32 s0, exec_lo, s6
	s_cbranch_execz .LBB7_981
; %bb.980:
	v_ldexp_f64 v[0:1], |v[3:4]|, 0xffffff80
	v_cmp_le_f64_e64 vcc_lo, 0x7b000000, |v[3:4]|
	v_trig_preop_f64 v[5:6], |v[3:4]|, 0
	v_and_b32_e32 v7, 0x7fffffff, v4
	v_trig_preop_f64 v[17:18], |v[3:4]|, 2
	v_mov_b32_e32 v25, 0
	s_mov_b32 s10, 0x54442d18
	s_mov_b32 s11, 0x3ff921fb
	;; [unrolled: 1-line block ×4, first 2 shown]
	v_cndmask_b32_e32 v1, v7, v1, vcc_lo
	v_cndmask_b32_e32 v0, v3, v0, vcc_lo
	v_trig_preop_f64 v[7:8], |v[3:4]|, 1
	v_mul_f64 v[9:10], v[5:6], v[0:1]
	v_mul_f64 v[23:24], v[17:18], v[0:1]
	;; [unrolled: 1-line block ×3, first 2 shown]
	v_fma_f64 v[5:6], v[5:6], v[0:1], -v[9:10]
	v_fma_f64 v[7:8], v[7:8], v[0:1], -v[11:12]
	v_fma_f64 v[0:1], v[17:18], v[0:1], -v[23:24]
	v_add_f64 v[13:14], v[11:12], v[5:6]
	v_add_f64 v[15:16], v[13:14], -v[11:12]
	v_add_f64 v[21:22], v[9:10], v[13:14]
	v_add_f64 v[19:20], v[13:14], -v[15:16]
	v_add_f64 v[5:6], v[5:6], -v[15:16]
	v_ldexp_f64 v[15:16], v[21:22], -2
	v_add_f64 v[9:10], v[21:22], -v[9:10]
	v_add_f64 v[11:12], v[11:12], -v[19:20]
	v_add_f64 v[19:20], v[23:24], v[7:8]
	v_cmp_neq_f64_e64 vcc_lo, 0x7ff00000, |v[15:16]|
	v_add_f64 v[9:10], v[13:14], -v[9:10]
	v_add_f64 v[5:6], v[5:6], v[11:12]
	v_fract_f64_e32 v[11:12], v[15:16]
	v_add_f64 v[13:14], v[19:20], v[5:6]
	v_ldexp_f64 v[11:12], v[11:12], 2
	v_add_f64 v[15:16], v[9:10], v[13:14]
	v_cndmask_b32_e32 v12, 0, v12, vcc_lo
	v_cndmask_b32_e32 v11, 0, v11, vcc_lo
	v_add_f64 v[21:22], v[15:16], v[11:12]
	v_add_f64 v[9:10], v[15:16], -v[9:10]
	v_cmp_gt_f64_e32 vcc_lo, 0, v[21:22]
	v_add_f64 v[21:22], v[19:20], -v[23:24]
	v_cndmask_b32_e64 v26, 0, 0x40100000, vcc_lo
	v_add_f64 v[30:31], v[19:20], -v[21:22]
	v_add_f64 v[7:8], v[7:8], -v[21:22]
	v_add_f64 v[11:12], v[11:12], v[25:26]
	v_add_f64 v[26:27], v[13:14], -v[19:20]
	v_add_f64 v[21:22], v[23:24], -v[30:31]
	v_add_f64 v[28:29], v[15:16], v[11:12]
	;; [unrolled: 3-line block ×3, first 2 shown]
	v_cvt_i32_f64_e32 v28, v[28:29]
	v_add_f64 v[19:20], v[19:20], -v[32:33]
	v_cvt_f64_i32_e32 v[26:27], v28
	v_add_f64 v[5:6], v[5:6], v[19:20]
	v_add_f64 v[11:12], v[11:12], -v[26:27]
	v_add_f64 v[5:6], v[7:8], v[5:6]
	v_add_f64 v[7:8], v[13:14], -v[9:10]
	v_add_f64 v[17:18], v[15:16], v[11:12]
	v_add_f64 v[0:1], v[0:1], v[5:6]
	v_add_f64 v[5:6], v[17:18], -v[11:12]
	v_cmp_le_f64_e32 vcc_lo, 0.5, v[17:18]
	v_add_f64 v[0:1], v[7:8], v[0:1]
	v_add_f64 v[5:6], v[15:16], -v[5:6]
	v_cndmask_b32_e64 v26, 0, 0x3ff00000, vcc_lo
	v_add_co_ci_u32_e64 v7, null, 0, v28, vcc_lo
	v_add_f64 v[0:1], v[0:1], v[5:6]
	v_add_f64 v[5:6], v[17:18], -v[25:26]
	v_add_f64 v[8:9], v[5:6], v[0:1]
	v_mul_f64 v[10:11], v[8:9], s[10:11]
	v_add_f64 v[5:6], v[8:9], -v[5:6]
	v_fma_f64 v[12:13], v[8:9], s[10:11], -v[10:11]
	v_add_f64 v[0:1], v[0:1], -v[5:6]
	v_fma_f64 v[5:6], v[8:9], s[12:13], v[12:13]
	v_fma_f64 v[5:6], v[0:1], s[10:11], v[5:6]
	v_add_f64 v[0:1], v[10:11], v[5:6]
	v_add_f64 v[8:9], v[0:1], -v[10:11]
	v_add_f64 v[5:6], v[5:6], -v[8:9]
.LBB7_981:
	s_andn2_saveexec_b32 s0, s0
	s_cbranch_execz .LBB7_983
; %bb.982:
	s_mov_b32 s10, 0x6dc9c883
	s_mov_b32 s11, 0x3fe45f30
	;; [unrolled: 1-line block ×3, first 2 shown]
	v_mul_f64 v[0:1], |v[3:4]|, s[10:11]
	s_mov_b32 s10, 0x54442d18
	s_mov_b32 s11, 0xbff921fb
	;; [unrolled: 1-line block ×3, first 2 shown]
	v_rndne_f64_e32 v[7:8], v[0:1]
	v_fma_f64 v[0:1], v[7:8], s[10:11], |v[3:4]|
	v_mul_f64 v[5:6], v[7:8], s[12:13]
	s_mov_b32 s10, 0x252049c0
	s_mov_b32 s11, 0xb97b839a
	v_fma_f64 v[11:12], v[7:8], s[12:13], v[0:1]
	v_add_f64 v[9:10], v[0:1], v[5:6]
	s_mov_b32 s13, 0x3c91a626
	v_add_f64 v[0:1], v[0:1], -v[9:10]
	v_add_f64 v[9:10], v[9:10], -v[11:12]
	v_add_f64 v[0:1], v[0:1], v[5:6]
	v_fma_f64 v[5:6], v[7:8], s[12:13], v[5:6]
	v_add_f64 v[0:1], v[9:10], v[0:1]
	v_add_f64 v[0:1], v[0:1], -v[5:6]
	v_fma_f64 v[5:6], v[7:8], s[10:11], v[0:1]
	v_cvt_i32_f64_e32 v7, v[7:8]
	v_add_f64 v[0:1], v[11:12], v[5:6]
	v_add_f64 v[9:10], v[0:1], -v[11:12]
	v_add_f64 v[5:6], v[5:6], -v[9:10]
.LBB7_983:
	s_or_b32 exec_lo, exec_lo, s0
	v_mul_f64 v[8:9], v[0:1], v[0:1]
	s_mov_b32 s10, 0xb42fdfa7
	s_mov_b32 s12, 0xf9a43bb8
	;; [unrolled: 1-line block ×6, first 2 shown]
	v_mul_f64 v[18:19], v[5:6], 0.5
	v_cmp_class_f64_e64 s0, v[3:4], 0x1f8
	v_lshlrev_b32_e32 v3, 30, v7
	v_xor_b32_e32 v3, v3, v4
	v_and_b32_e32 v3, 0x80000000, v3
	v_fma_f64 v[10:11], v[8:9], s[12:13], s[10:11]
	s_mov_b32 s10, 0x9037ab78
	s_mov_b32 s12, 0x46cc5e42
	;; [unrolled: 1-line block ×4, first 2 shown]
	v_mul_f64 v[14:15], v[8:9], 0.5
	v_fma_f64 v[12:13], v[8:9], s[12:13], s[10:11]
	s_mov_b32 s10, 0xa17f65f6
	s_mov_b32 s12, 0x19e83e5c
	;; [unrolled: 1-line block ×4, first 2 shown]
	v_mul_f64 v[20:21], v[0:1], -v[8:9]
	v_fma_f64 v[10:11], v[8:9], v[10:11], s[14:15]
	v_add_f64 v[16:17], -v[14:15], 1.0
	v_fma_f64 v[12:13], v[8:9], v[12:13], s[10:11]
	s_mov_b32 s10, 0x19f4ec90
	s_mov_b32 s11, 0x3efa01a0
	v_fma_f64 v[10:11], v[8:9], v[10:11], s[12:13]
	s_mov_b32 s12, 0x11110bb3
	s_mov_b32 s13, 0x3f811111
	v_add_f64 v[22:23], -v[16:17], 1.0
	v_fma_f64 v[12:13], v[8:9], v[12:13], s[10:11]
	s_mov_b32 s10, 0x16c16967
	s_mov_b32 s11, 0xbf56c16c
	v_fma_f64 v[10:11], v[8:9], v[10:11], s[12:13]
	v_add_f64 v[14:15], v[22:23], -v[14:15]
	v_fma_f64 v[12:13], v[8:9], v[12:13], s[10:11]
	s_mov_b32 s11, 0x3fa55555
	s_mov_b32 s10, 0x55555555
	v_fma_f64 v[10:11], v[20:21], v[10:11], v[18:19]
	v_mul_f64 v[18:19], v[8:9], v[8:9]
	v_fma_f64 v[14:15], v[0:1], -v[5:6], v[14:15]
	v_fma_f64 v[12:13], v[8:9], v[12:13], s[10:11]
	s_mov_b32 s11, 0xbfc55555
	v_fma_f64 v[5:6], v[8:9], v[10:11], -v[5:6]
	v_fma_f64 v[8:9], v[18:19], v[12:13], v[14:15]
	v_fma_f64 v[5:6], v[20:21], s[10:11], v[5:6]
	s_mov_b32 s10, 0
	v_add_f64 v[8:9], v[16:17], v[8:9]
	v_add_f64 v[0:1], v[0:1], -v[5:6]
	v_and_b32_e32 v5, 1, v7
	v_cmp_eq_u32_e32 vcc_lo, 0, v5
	v_add_co_u32 v5, s6, s8, v2
	v_add_co_ci_u32_e64 v6, null, s9, 0, s6
	s_and_b32 s6, s29, 0xff
	s_mov_b32 s9, -1
	s_cmp_lt_i32 s6, 11
	v_cndmask_b32_e32 v1, v9, v1, vcc_lo
	v_cndmask_b32_e32 v0, v8, v0, vcc_lo
	v_xor_b32_e32 v1, v1, v3
	v_cndmask_b32_e64 v0, 0, v0, s0
	v_cndmask_b32_e64 v1, 0x7ff80000, v1, s0
	s_mov_b32 s0, s36
	s_cbranch_scc1 .LBB7_1061
; %bb.984:
	s_and_b32 s8, 0xffff, s6
	s_mov_b32 s0, s36
	s_cmp_gt_i32 s8, 25
	s_cbranch_scc0 .LBB7_1017
; %bb.985:
	s_cmp_gt_i32 s8, 28
	s_mov_b32 s0, s36
	s_cbranch_scc0 .LBB7_1001
; %bb.986:
	s_cmp_gt_i32 s8, 43
	s_mov_b32 s0, s36
	;; [unrolled: 4-line block ×3, first 2 shown]
	s_cbranch_scc0 .LBB7_991
; %bb.988:
	s_cmp_eq_u32 s8, 46
	s_mov_b32 s0, -1
	s_cbranch_scc0 .LBB7_990
; %bb.989:
	v_cvt_f32_f64_e32 v2, v[0:1]
	s_mov_b32 s0, 0
	v_bfe_u32 v3, v2, 16, 1
	v_cmp_o_f32_e32 vcc_lo, v2, v2
	v_add3_u32 v2, v2, v3, 0x7fff
	v_mov_b32_e32 v3, 0x7fc0
	v_cndmask_b32_sdwa v2, v3, v2, vcc_lo dst_sel:DWORD dst_unused:UNUSED_PAD src0_sel:DWORD src1_sel:WORD_1
	global_store_dword v[5:6], v2, off
.LBB7_990:
	s_mov_b32 s9, 0
.LBB7_991:
	s_and_b32 vcc_lo, exec_lo, s9
	s_cbranch_vccz .LBB7_996
; %bb.992:
	s_cmp_eq_u32 s8, 44
	s_mov_b32 s0, -1
	s_cbranch_scc0 .LBB7_996
; %bb.993:
	v_cvt_f32_f64_e32 v2, v[0:1]
	v_mov_b32_e32 v3, 0xff
	s_mov_b32 s9, exec_lo
	v_bfe_u32 v4, v2, 23, 8
	v_cmpx_ne_u32_e32 0xff, v4
	s_cbranch_execz .LBB7_995
; %bb.994:
	v_and_b32_e32 v3, 0x400000, v2
	v_and_or_b32 v4, 0x3fffff, v2, v4
	v_lshrrev_b32_e32 v2, 23, v2
	v_cmp_ne_u32_e32 vcc_lo, 0, v3
	v_cmp_ne_u32_e64 s0, 0, v4
	s_and_b32 s0, vcc_lo, s0
	v_cndmask_b32_e64 v3, 0, 1, s0
	v_add_nc_u32_e32 v3, v2, v3
.LBB7_995:
	s_or_b32 exec_lo, exec_lo, s9
	s_mov_b32 s0, 0
	global_store_byte v[5:6], v3, off
.LBB7_996:
	s_mov_b32 s9, 0
.LBB7_997:
	s_and_b32 vcc_lo, exec_lo, s9
	s_cbranch_vccz .LBB7_1000
; %bb.998:
	s_cmp_eq_u32 s8, 29
	s_mov_b32 s0, -1
	s_cbranch_scc0 .LBB7_1000
; %bb.999:
	v_trunc_f64_e32 v[2:3], v[0:1]
	s_mov_b32 s0, 0
	v_ldexp_f64 v[7:8], v[2:3], 0xffffffe0
	v_floor_f64_e32 v[7:8], v[7:8]
	v_fma_f64 v[2:3], 0xc1f00000, v[7:8], v[2:3]
	v_cvt_u32_f64_e32 v4, v[7:8]
	v_cvt_u32_f64_e32 v3, v[2:3]
	global_store_dwordx2 v[5:6], v[3:4], off
.LBB7_1000:
	s_mov_b32 s9, 0
.LBB7_1001:
	s_and_b32 vcc_lo, exec_lo, s9
	s_cbranch_vccz .LBB7_1016
; %bb.1002:
	s_cmp_lt_i32 s8, 27
	s_mov_b32 s9, -1
	s_cbranch_scc1 .LBB7_1008
; %bb.1003:
	s_cmp_gt_i32 s8, 27
	s_cbranch_scc0 .LBB7_1005
; %bb.1004:
	v_cvt_u32_f64_e32 v2, v[0:1]
	s_mov_b32 s9, 0
	global_store_dword v[5:6], v2, off
.LBB7_1005:
	s_andn2_b32 vcc_lo, exec_lo, s9
	s_cbranch_vccnz .LBB7_1007
; %bb.1006:
	v_cvt_u32_f64_e32 v2, v[0:1]
	global_store_short v[5:6], v2, off
.LBB7_1007:
	s_mov_b32 s9, 0
.LBB7_1008:
	s_andn2_b32 vcc_lo, exec_lo, s9
	s_cbranch_vccnz .LBB7_1016
; %bb.1009:
	v_cvt_f32_f64_e32 v2, v[0:1]
	v_mov_b32_e32 v4, 0x80
	s_mov_b32 s9, exec_lo
	v_and_b32_e32 v3, 0x7fffffff, v2
	v_cmpx_gt_u32_e32 0x43800000, v3
	s_cbranch_execz .LBB7_1015
; %bb.1010:
	v_cmp_lt_u32_e32 vcc_lo, 0x3bffffff, v3
                                        ; implicit-def: $vgpr3
	s_and_saveexec_b32 s11, vcc_lo
	s_xor_b32 s11, exec_lo, s11
	s_cbranch_execz .LBB7_1172
; %bb.1011:
	v_bfe_u32 v3, v2, 20, 1
	s_mov_b32 s10, exec_lo
	v_add3_u32 v3, v2, v3, 0x487ffff
	v_lshrrev_b32_e32 v3, 20, v3
	s_andn2_saveexec_b32 s11, s11
	s_cbranch_execnz .LBB7_1173
.LBB7_1012:
	s_or_b32 exec_lo, exec_lo, s11
	v_mov_b32_e32 v4, 0
	s_and_saveexec_b32 s11, s10
.LBB7_1013:
	v_lshrrev_b32_e32 v2, 24, v2
	v_and_or_b32 v4, 0x80, v2, v3
.LBB7_1014:
	s_or_b32 exec_lo, exec_lo, s11
.LBB7_1015:
	s_or_b32 exec_lo, exec_lo, s9
	global_store_byte v[5:6], v4, off
.LBB7_1016:
	s_mov_b32 s9, 0
.LBB7_1017:
	s_and_b32 vcc_lo, exec_lo, s9
	s_mov_b32 s9, 0
	s_cbranch_vccz .LBB7_1060
; %bb.1018:
	s_cmp_gt_i32 s8, 22
	s_mov_b32 s10, -1
	s_cbranch_scc0 .LBB7_1050
; %bb.1019:
	s_cmp_lt_i32 s8, 24
	s_cbranch_scc1 .LBB7_1039
; %bb.1020:
	s_cmp_gt_i32 s8, 24
	s_cbranch_scc0 .LBB7_1028
; %bb.1021:
	v_cvt_f32_f64_e32 v2, v[0:1]
	v_mov_b32_e32 v4, 0x80
	s_mov_b32 s10, exec_lo
	v_and_b32_e32 v3, 0x7fffffff, v2
	v_cmpx_gt_u32_e32 0x47800000, v3
	s_cbranch_execz .LBB7_1027
; %bb.1022:
	v_cmp_lt_u32_e32 vcc_lo, 0x37ffffff, v3
	s_mov_b32 s11, 0
                                        ; implicit-def: $vgpr3
	s_and_saveexec_b32 s12, vcc_lo
	s_xor_b32 s12, exec_lo, s12
	s_cbranch_execz .LBB7_1302
; %bb.1023:
	v_bfe_u32 v3, v2, 21, 1
	s_mov_b32 s11, exec_lo
	v_add3_u32 v3, v2, v3, 0x88fffff
	v_lshrrev_b32_e32 v3, 21, v3
	s_andn2_saveexec_b32 s12, s12
	s_cbranch_execnz .LBB7_1303
.LBB7_1024:
	s_or_b32 exec_lo, exec_lo, s12
	v_mov_b32_e32 v4, 0
	s_and_saveexec_b32 s12, s11
.LBB7_1025:
	v_lshrrev_b32_e32 v2, 24, v2
	v_and_or_b32 v4, 0x80, v2, v3
.LBB7_1026:
	s_or_b32 exec_lo, exec_lo, s12
.LBB7_1027:
	s_or_b32 exec_lo, exec_lo, s10
	s_mov_b32 s10, 0
	global_store_byte v[5:6], v4, off
.LBB7_1028:
	s_and_b32 vcc_lo, exec_lo, s10
	s_cbranch_vccz .LBB7_1038
; %bb.1029:
	v_cvt_f32_f64_e32 v2, v[0:1]
	s_mov_b32 s10, exec_lo
                                        ; implicit-def: $vgpr3
	v_and_b32_e32 v4, 0x7fffffff, v2
	v_cmpx_gt_u32_e32 0x43f00000, v4
	s_xor_b32 s10, exec_lo, s10
	s_cbranch_execz .LBB7_1035
; %bb.1030:
	s_mov_b32 s11, exec_lo
                                        ; implicit-def: $vgpr3
	v_cmpx_lt_u32_e32 0x3c7fffff, v4
	s_xor_b32 s11, exec_lo, s11
; %bb.1031:
	v_bfe_u32 v3, v2, 20, 1
	v_add3_u32 v3, v2, v3, 0x407ffff
	v_and_b32_e32 v4, 0xff00000, v3
	v_lshrrev_b32_e32 v3, 20, v3
	v_cmp_ne_u32_e32 vcc_lo, 0x7f00000, v4
	v_cndmask_b32_e32 v3, 0x7e, v3, vcc_lo
; %bb.1032:
	s_andn2_saveexec_b32 s11, s11
; %bb.1033:
	v_add_f32_e64 v3, 0x46800000, |v2|
; %bb.1034:
	s_or_b32 exec_lo, exec_lo, s11
                                        ; implicit-def: $vgpr4
.LBB7_1035:
	s_andn2_saveexec_b32 s10, s10
; %bb.1036:
	v_mov_b32_e32 v3, 0x7f
	v_cmp_lt_u32_e32 vcc_lo, 0x7f800000, v4
	v_cndmask_b32_e32 v3, 0x7e, v3, vcc_lo
; %bb.1037:
	s_or_b32 exec_lo, exec_lo, s10
	v_lshrrev_b32_e32 v2, 24, v2
	v_and_or_b32 v2, 0x80, v2, v3
	global_store_byte v[5:6], v2, off
.LBB7_1038:
	s_mov_b32 s10, 0
.LBB7_1039:
	s_andn2_b32 vcc_lo, exec_lo, s10
	s_cbranch_vccnz .LBB7_1049
; %bb.1040:
	v_cvt_f32_f64_e32 v2, v[0:1]
	s_mov_b32 s10, exec_lo
                                        ; implicit-def: $vgpr3
	v_and_b32_e32 v4, 0x7fffffff, v2
	v_cmpx_gt_u32_e32 0x47800000, v4
	s_xor_b32 s10, exec_lo, s10
	s_cbranch_execz .LBB7_1046
; %bb.1041:
	s_mov_b32 s11, exec_lo
                                        ; implicit-def: $vgpr3
	v_cmpx_lt_u32_e32 0x387fffff, v4
	s_xor_b32 s11, exec_lo, s11
; %bb.1042:
	v_bfe_u32 v3, v2, 21, 1
	v_add3_u32 v3, v2, v3, 0x80fffff
	v_lshrrev_b32_e32 v3, 21, v3
; %bb.1043:
	s_andn2_saveexec_b32 s11, s11
; %bb.1044:
	v_add_f32_e64 v3, 0x43000000, |v2|
; %bb.1045:
	s_or_b32 exec_lo, exec_lo, s11
                                        ; implicit-def: $vgpr4
.LBB7_1046:
	s_andn2_saveexec_b32 s10, s10
; %bb.1047:
	v_mov_b32_e32 v3, 0x7f
	v_cmp_lt_u32_e32 vcc_lo, 0x7f800000, v4
	v_cndmask_b32_e32 v3, 0x7c, v3, vcc_lo
; %bb.1048:
	s_or_b32 exec_lo, exec_lo, s10
	v_lshrrev_b32_e32 v2, 24, v2
	v_and_or_b32 v2, 0x80, v2, v3
	global_store_byte v[5:6], v2, off
.LBB7_1049:
	s_mov_b32 s10, 0
.LBB7_1050:
	s_andn2_b32 vcc_lo, exec_lo, s10
	s_mov_b32 s10, 0
	s_cbranch_vccnz .LBB7_1061
; %bb.1051:
	s_cmp_gt_i32 s8, 14
	s_mov_b32 s10, -1
	s_cbranch_scc0 .LBB7_1055
; %bb.1052:
	s_cmp_eq_u32 s8, 15
	s_mov_b32 s0, -1
	s_cbranch_scc0 .LBB7_1054
; %bb.1053:
	v_cvt_f32_f64_e32 v2, v[0:1]
	s_mov_b32 s0, 0
	v_bfe_u32 v3, v2, 16, 1
	v_cmp_o_f32_e32 vcc_lo, v2, v2
	v_add3_u32 v2, v2, v3, 0x7fff
	v_mov_b32_e32 v3, 0x7fc0
	v_cndmask_b32_sdwa v2, v3, v2, vcc_lo dst_sel:DWORD dst_unused:UNUSED_PAD src0_sel:DWORD src1_sel:WORD_1
	global_store_short v[5:6], v2, off
.LBB7_1054:
	s_mov_b32 s10, 0
.LBB7_1055:
	s_and_b32 vcc_lo, exec_lo, s10
	s_mov_b32 s10, 0
	s_cbranch_vccz .LBB7_1061
; %bb.1056:
	s_cmp_lg_u32 s8, 11
	s_mov_b32 s10, -1
	s_cselect_b32 s8, -1, 0
	s_andn2_b32 s0, s0, exec_lo
	s_and_b32 s8, s8, exec_lo
	s_or_b32 s0, s0, s8
	s_branch .LBB7_1061
.LBB7_1057:
	s_or_b32 exec_lo, exec_lo, s7
	s_and_saveexec_b32 s0, s36
	s_cbranch_execnz .LBB7_1062
.LBB7_1058:
	s_or_b32 exec_lo, exec_lo, s0
	s_and_saveexec_b32 s0, s10
	s_xor_b32 s0, exec_lo, s0
	s_cbranch_execz .LBB7_1063
.LBB7_1059:
	v_cmp_neq_f64_e32 vcc_lo, 0, v[0:1]
	v_cndmask_b32_e64 v2, 0, 1, vcc_lo
	global_store_byte v[5:6], v2, off
	s_or_b32 exec_lo, exec_lo, s0
	s_and_saveexec_b32 s0, s11
	s_xor_b32 s0, exec_lo, s0
	s_cbranch_execz .LBB7_1101
	s_branch .LBB7_1064
.LBB7_1060:
	s_mov_b32 s10, 0
.LBB7_1061:
	s_andn2_b32 s8, s36, exec_lo
	s_and_b32 s0, s0, exec_lo
	s_and_b32 s11, s9, exec_lo
	;; [unrolled: 1-line block ×3, first 2 shown]
	s_or_b32 s36, s8, s0
	s_or_b32 exec_lo, exec_lo, s7
	s_and_saveexec_b32 s0, s36
	s_cbranch_execz .LBB7_1058
.LBB7_1062:
	s_or_b32 s1, s1, exec_lo
	s_andn2_b32 s10, s10, exec_lo
	s_trap 2
	s_or_b32 exec_lo, exec_lo, s0
	s_and_saveexec_b32 s0, s10
	s_xor_b32 s0, exec_lo, s0
	s_cbranch_execnz .LBB7_1059
.LBB7_1063:
	s_or_b32 exec_lo, exec_lo, s0
	s_and_saveexec_b32 s0, s11
	s_xor_b32 s0, exec_lo, s0
	s_cbranch_execz .LBB7_1101
.LBB7_1064:
	s_sext_i32_i16 s8, s6
	s_mov_b32 s7, -1
	s_cmp_lt_i32 s8, 5
	s_cbranch_scc1 .LBB7_1085
; %bb.1065:
	s_cmp_lt_i32 s8, 8
	s_cbranch_scc1 .LBB7_1075
; %bb.1066:
	;; [unrolled: 3-line block ×3, first 2 shown]
	s_cmp_gt_i32 s8, 9
	s_cbranch_scc0 .LBB7_1069
; %bb.1068:
	v_mov_b32_e32 v2, 0
	s_mov_b32 s7, 0
	s_waitcnt vmcnt(0)
	v_mov_b32_e32 v3, v2
	global_store_dwordx4 v[5:6], v[0:3], off
.LBB7_1069:
	s_andn2_b32 vcc_lo, exec_lo, s7
	s_cbranch_vccnz .LBB7_1071
; %bb.1070:
	v_cvt_f32_f64_e32 v2, v[0:1]
	s_waitcnt vmcnt(0)
	v_mov_b32_e32 v3, 0
	global_store_dwordx2 v[5:6], v[2:3], off
.LBB7_1071:
	s_mov_b32 s7, 0
.LBB7_1072:
	s_andn2_b32 vcc_lo, exec_lo, s7
	s_cbranch_vccnz .LBB7_1074
; %bb.1073:
	v_and_or_b32 v2, 0x1ff, v1, v0
	s_waitcnt vmcnt(0)
	v_lshrrev_b32_e32 v3, 8, v1
	v_bfe_u32 v4, v1, 20, 11
	v_cmp_ne_u32_e32 vcc_lo, 0, v2
	v_sub_nc_u32_e32 v7, 0x3f1, v4
	v_add_nc_u32_e32 v4, 0xfffffc10, v4
	v_cndmask_b32_e64 v2, 0, 1, vcc_lo
	v_and_or_b32 v2, 0xffe, v3, v2
	v_med3_i32 v3, v7, 0, 13
	v_or_b32_e32 v7, 0x1000, v2
	v_lshrrev_b32_e32 v8, v3, v7
	v_lshlrev_b32_e32 v3, v3, v8
	v_cmp_ne_u32_e32 vcc_lo, v3, v7
	v_lshl_or_b32 v7, v4, 12, v2
	v_cndmask_b32_e64 v3, 0, 1, vcc_lo
	v_cmp_gt_i32_e32 vcc_lo, 1, v4
	v_or_b32_e32 v3, v8, v3
	v_cndmask_b32_e32 v3, v7, v3, vcc_lo
	v_and_b32_e32 v7, 7, v3
	v_lshrrev_b32_e32 v3, 2, v3
	v_cmp_lt_i32_e32 vcc_lo, 5, v7
	v_cndmask_b32_e64 v8, 0, 1, vcc_lo
	v_cmp_eq_u32_e32 vcc_lo, 3, v7
	v_cndmask_b32_e64 v7, 0, 1, vcc_lo
	v_cmp_ne_u32_e32 vcc_lo, 0, v2
	v_or_b32_e32 v7, v7, v8
	v_mov_b32_e32 v8, 0x7e00
	v_add_nc_u32_e32 v3, v3, v7
	v_cndmask_b32_e32 v2, 0x7c00, v8, vcc_lo
	v_cmp_gt_i32_e32 vcc_lo, 31, v4
	v_cndmask_b32_e32 v3, 0x7c00, v3, vcc_lo
	v_cmp_eq_u32_e32 vcc_lo, 0x40f, v4
	v_cndmask_b32_e32 v2, v3, v2, vcc_lo
	v_lshrrev_b32_e32 v3, 16, v1
	v_and_or_b32 v2, 0x8000, v3, v2
	v_and_b32_e32 v2, 0xffff, v2
	global_store_dword v[5:6], v2, off
.LBB7_1074:
	s_mov_b32 s7, 0
.LBB7_1075:
	s_andn2_b32 vcc_lo, exec_lo, s7
	s_cbranch_vccnz .LBB7_1084
; %bb.1076:
	s_sext_i32_i16 s8, s6
	s_mov_b32 s7, -1
	s_cmp_lt_i32 s8, 6
	s_cbranch_scc1 .LBB7_1082
; %bb.1077:
	s_cmp_gt_i32 s8, 6
	s_cbranch_scc0 .LBB7_1079
; %bb.1078:
	s_mov_b32 s7, 0
	global_store_dwordx2 v[5:6], v[0:1], off
.LBB7_1079:
	s_andn2_b32 vcc_lo, exec_lo, s7
	s_cbranch_vccnz .LBB7_1081
; %bb.1080:
	v_cvt_f32_f64_e32 v2, v[0:1]
	global_store_dword v[5:6], v2, off
.LBB7_1081:
	s_mov_b32 s7, 0
.LBB7_1082:
	s_andn2_b32 vcc_lo, exec_lo, s7
	s_cbranch_vccnz .LBB7_1084
; %bb.1083:
	v_and_or_b32 v2, 0x1ff, v1, v0
	s_waitcnt vmcnt(0)
	v_lshrrev_b32_e32 v3, 8, v1
	v_bfe_u32 v4, v1, 20, 11
	v_cmp_ne_u32_e32 vcc_lo, 0, v2
	v_sub_nc_u32_e32 v7, 0x3f1, v4
	v_add_nc_u32_e32 v4, 0xfffffc10, v4
	v_cndmask_b32_e64 v2, 0, 1, vcc_lo
	v_and_or_b32 v2, 0xffe, v3, v2
	v_med3_i32 v3, v7, 0, 13
	v_or_b32_e32 v7, 0x1000, v2
	v_lshrrev_b32_e32 v8, v3, v7
	v_lshlrev_b32_e32 v3, v3, v8
	v_cmp_ne_u32_e32 vcc_lo, v3, v7
	v_lshl_or_b32 v7, v4, 12, v2
	v_cndmask_b32_e64 v3, 0, 1, vcc_lo
	v_cmp_gt_i32_e32 vcc_lo, 1, v4
	v_or_b32_e32 v3, v8, v3
	v_cndmask_b32_e32 v3, v7, v3, vcc_lo
	v_and_b32_e32 v7, 7, v3
	v_lshrrev_b32_e32 v3, 2, v3
	v_cmp_lt_i32_e32 vcc_lo, 5, v7
	v_cndmask_b32_e64 v8, 0, 1, vcc_lo
	v_cmp_eq_u32_e32 vcc_lo, 3, v7
	v_cndmask_b32_e64 v7, 0, 1, vcc_lo
	v_cmp_ne_u32_e32 vcc_lo, 0, v2
	v_or_b32_e32 v7, v7, v8
	v_mov_b32_e32 v8, 0x7e00
	v_add_nc_u32_e32 v3, v3, v7
	v_cndmask_b32_e32 v2, 0x7c00, v8, vcc_lo
	v_cmp_gt_i32_e32 vcc_lo, 31, v4
	v_cndmask_b32_e32 v3, 0x7c00, v3, vcc_lo
	v_cmp_eq_u32_e32 vcc_lo, 0x40f, v4
	v_cndmask_b32_e32 v2, v3, v2, vcc_lo
	v_lshrrev_b32_e32 v3, 16, v1
	v_and_or_b32 v2, 0x8000, v3, v2
	global_store_short v[5:6], v2, off
.LBB7_1084:
	s_mov_b32 s7, 0
.LBB7_1085:
	s_andn2_b32 vcc_lo, exec_lo, s7
	s_cbranch_vccnz .LBB7_1101
; %bb.1086:
	s_sext_i32_i16 s8, s6
	s_mov_b32 s7, -1
	s_cmp_lt_i32 s8, 2
	s_cbranch_scc1 .LBB7_1096
; %bb.1087:
	s_cmp_lt_i32 s8, 3
	s_cbranch_scc1 .LBB7_1093
; %bb.1088:
	s_cmp_gt_i32 s8, 3
	s_cbranch_scc0 .LBB7_1090
; %bb.1089:
	s_waitcnt vmcnt(0)
	v_trunc_f64_e32 v[2:3], v[0:1]
	s_mov_b32 s7, 0
	v_ldexp_f64 v[7:8], v[2:3], 0xffffffe0
	v_floor_f64_e32 v[7:8], v[7:8]
	v_fma_f64 v[2:3], 0xc1f00000, v[7:8], v[2:3]
	v_cvt_i32_f64_e32 v4, v[7:8]
	v_cvt_u32_f64_e32 v3, v[2:3]
	global_store_dwordx2 v[5:6], v[3:4], off
.LBB7_1090:
	s_andn2_b32 vcc_lo, exec_lo, s7
	s_cbranch_vccnz .LBB7_1092
; %bb.1091:
	v_cvt_i32_f64_e32 v2, v[0:1]
	global_store_dword v[5:6], v2, off
.LBB7_1092:
	s_mov_b32 s7, 0
.LBB7_1093:
	s_andn2_b32 vcc_lo, exec_lo, s7
	s_cbranch_vccnz .LBB7_1095
; %bb.1094:
	v_cvt_i32_f64_e32 v2, v[0:1]
	global_store_short v[5:6], v2, off
.LBB7_1095:
	s_mov_b32 s7, 0
.LBB7_1096:
	s_andn2_b32 vcc_lo, exec_lo, s7
	s_cbranch_vccnz .LBB7_1101
; %bb.1097:
	s_sext_i32_i16 s6, s6
	s_cmp_gt_i32 s6, 0
	s_mov_b32 s6, -1
	s_cbranch_scc0 .LBB7_1099
; %bb.1098:
	v_cvt_i32_f64_e32 v2, v[0:1]
	s_mov_b32 s6, 0
	global_store_byte v[5:6], v2, off
.LBB7_1099:
	s_andn2_b32 vcc_lo, exec_lo, s6
	s_cbranch_vccnz .LBB7_1101
; %bb.1100:
	v_trunc_f64_e32 v[0:1], v[0:1]
	s_waitcnt vmcnt(0)
	v_ldexp_f64 v[2:3], v[0:1], 0xffffffe0
	v_floor_f64_e32 v[2:3], v[2:3]
	v_fma_f64 v[0:1], 0xc1f00000, v[2:3], v[0:1]
	v_cvt_u32_f64_e32 v0, v[0:1]
	global_store_byte v[5:6], v0, off
.LBB7_1101:
	s_or_b32 exec_lo, exec_lo, s0
	s_and_b32 s12, s1, exec_lo
                                        ; implicit-def: $vgpr12
                                        ; implicit-def: $vgpr7
.LBB7_1102:
	s_or_saveexec_b32 s13, s28
	s_mov_b32 s0, 0
                                        ; implicit-def: $vgpr4_vgpr5
                                        ; implicit-def: $sgpr6
                                        ; implicit-def: $vgpr0_vgpr1
	s_xor_b32 exec_lo, exec_lo, s13
	s_cbranch_execz .LBB7_2123
; %bb.1103:
	v_cndmask_b32_e64 v5, 0, 1, s27
	s_andn2_b32 vcc_lo, exec_lo, s27
	s_cbranch_vccnz .LBB7_1109
; %bb.1104:
	s_cmp_lg_u32 s24, 0
	s_mov_b32 s8, 0
	s_cbranch_scc0 .LBB7_1110
; %bb.1105:
	s_min_u32 s10, s25, 15
	s_add_i32 s10, s10, 1
	s_cmp_eq_u32 s25, 2
	s_cbranch_scc1 .LBB7_1111
; %bb.1106:
	v_mov_b32_e32 v0, 0
	v_mov_b32_e32 v2, 0
	;; [unrolled: 1-line block ×3, first 2 shown]
	s_and_b32 s9, s10, 28
	s_add_u32 s0, s2, 0xc4
	s_addc_u32 s1, s3, 0
	s_mov_b32 s11, 0
	s_mov_b64 s[6:7], s[2:3]
.LBB7_1107:                             ; =>This Inner Loop Header: Depth=1
	s_clause 0x1
	s_load_dwordx8 s[16:23], s[6:7], 0x4
	s_load_dwordx4 s[28:31], s[6:7], 0x24
	s_load_dwordx8 s[36:43], s[0:1], 0x0
	s_add_u32 s6, s6, 48
	s_addc_u32 s7, s7, 0
	s_add_i32 s11, s11, 4
	s_add_u32 s0, s0, 32
	s_addc_u32 s1, s1, 0
	s_cmp_lg_u32 s9, s11
	s_waitcnt vmcnt(0) lgkmcnt(0)
	v_mul_hi_u32 v3, s17, v1
	v_add_nc_u32_e32 v3, v1, v3
	v_lshrrev_b32_e32 v3, s18, v3
	v_mul_hi_u32 v4, s20, v3
	v_mul_lo_u32 v8, v3, s16
	v_add_nc_u32_e32 v4, v3, v4
	v_sub_nc_u32_e32 v1, v1, v8
	v_lshrrev_b32_e32 v4, s21, v4
	v_mul_lo_u32 v8, v1, s36
	v_mul_lo_u32 v10, v1, s37
	v_mul_hi_u32 v6, s23, v4
	v_add_nc_u32_e32 v6, v4, v6
	v_lshrrev_b32_e32 v6, s28, v6
	v_mul_hi_u32 v9, s30, v6
	v_mul_lo_u32 v11, v6, s22
	v_add_nc_u32_e32 v1, v6, v9
	v_mul_lo_u32 v9, v4, s19
	v_sub_nc_u32_e32 v4, v4, v11
	v_lshrrev_b32_e32 v1, s31, v1
	v_mul_lo_u32 v11, v4, s40
	v_mul_lo_u32 v4, v4, s41
	v_sub_nc_u32_e32 v3, v3, v9
	v_mul_lo_u32 v13, v1, s29
	v_mul_lo_u32 v9, v3, s38
	;; [unrolled: 1-line block ×3, first 2 shown]
	v_sub_nc_u32_e32 v6, v6, v13
	v_add3_u32 v2, v8, v2, v9
	v_mul_lo_u32 v13, v6, s42
	v_mul_lo_u32 v6, v6, s43
	v_add3_u32 v0, v10, v0, v3
	v_add3_u32 v2, v11, v2, v13
	;; [unrolled: 1-line block ×3, first 2 shown]
	s_cbranch_scc1 .LBB7_1107
; %bb.1108:
	s_and_b32 s10, s10, 3
	s_cmp_eq_u32 s10, 0
	s_cbranch_scc0 .LBB7_1112
	s_branch .LBB7_1114
.LBB7_1109:
	s_mov_b32 s8, -1
                                        ; implicit-def: $vgpr2
                                        ; implicit-def: $vgpr0
	s_branch .LBB7_1114
.LBB7_1110:
	v_mov_b32_e32 v2, 0
	v_mov_b32_e32 v0, 0
	s_branch .LBB7_1114
.LBB7_1111:
	v_mov_b32_e32 v2, 0
	v_mov_b32_e32 v0, 0
	;; [unrolled: 1-line block ×3, first 2 shown]
	s_mov_b32 s9, 0
	s_and_b32 s10, s10, 3
	s_cmp_eq_u32 s10, 0
	s_cbranch_scc1 .LBB7_1114
.LBB7_1112:
	s_lshl_b32 s0, s9, 3
	s_mul_i32 s6, s9, 12
	s_add_u32 s0, s2, s0
	s_addc_u32 s1, s3, 0
	s_add_u32 s0, s0, 0xc4
	s_addc_u32 s1, s1, 0
	s_add_u32 s6, s2, s6
	s_addc_u32 s7, s3, 0
	.p2align	6
.LBB7_1113:                             ; =>This Inner Loop Header: Depth=1
	s_clause 0x1
	s_load_dwordx2 s[14:15], s[6:7], 0x4
	s_load_dword s9, s[6:7], 0xc
	s_load_dwordx2 s[16:17], s[0:1], 0x0
	s_add_u32 s6, s6, 12
	s_addc_u32 s7, s7, 0
	s_add_u32 s0, s0, 8
	s_addc_u32 s1, s1, 0
	s_add_i32 s10, s10, -1
	s_cmp_lg_u32 s10, 0
	s_waitcnt vmcnt(0) lgkmcnt(0)
	v_mul_hi_u32 v3, s15, v1
	v_add_nc_u32_e32 v3, v1, v3
	v_lshrrev_b32_e32 v4, s9, v3
	v_mul_lo_u32 v3, v4, s14
	v_sub_nc_u32_e32 v1, v1, v3
	v_mad_u64_u32 v[2:3], null, v1, s16, v[2:3]
	v_mad_u64_u32 v[0:1], null, v1, s17, v[0:1]
	v_mov_b32_e32 v1, v4
	s_cbranch_scc1 .LBB7_1113
.LBB7_1114:
	s_andn2_b32 vcc_lo, exec_lo, s8
	s_cbranch_vccnz .LBB7_1117
; %bb.1115:
	s_clause 0x1
	s_load_dwordx4 s[8:11], s[2:3], 0x4
	s_load_dwordx2 s[0:1], s[2:3], 0xc4
	s_cmp_lt_u32 s24, 2
	s_waitcnt lgkmcnt(0)
	v_mul_hi_u32 v0, s9, v7
	v_add_nc_u32_e32 v0, v7, v0
	v_lshrrev_b32_e32 v1, s10, v0
	v_mul_lo_u32 v0, v1, s8
	v_sub_nc_u32_e32 v0, v7, v0
	v_mul_lo_u32 v2, v0, s0
	v_mul_lo_u32 v0, v0, s1
	s_cbranch_scc1 .LBB7_1117
; %bb.1116:
	s_clause 0x1
	s_load_dwordx4 s[8:11], s[2:3], 0x10
	s_load_dwordx2 s[0:1], s[2:3], 0xcc
	s_waitcnt vmcnt(0) lgkmcnt(0)
	v_mul_hi_u32 v3, s9, v1
	v_add_nc_u32_e32 v3, v1, v3
	v_lshrrev_b32_e32 v3, s10, v3
	v_mul_lo_u32 v3, v3, s8
	v_sub_nc_u32_e32 v1, v1, v3
	v_mad_u64_u32 v[2:3], null, v1, s0, v[2:3]
	v_mad_u64_u32 v[0:1], null, v1, s1, v[0:1]
.LBB7_1117:
	v_cmp_ne_u32_e32 vcc_lo, 1, v5
	v_add_nc_u32_e32 v1, 0x80, v7
	s_cbranch_vccnz .LBB7_1123
; %bb.1118:
	s_cmp_lg_u32 s24, 0
	s_mov_b32 s8, 0
	s_cbranch_scc0 .LBB7_1124
; %bb.1119:
	s_min_u32 s10, s25, 15
	s_add_i32 s10, s10, 1
	s_cmp_eq_u32 s25, 2
	s_cbranch_scc1 .LBB7_1125
; %bb.1120:
	v_mov_b32_e32 v10, 0
	v_mov_b32_e32 v8, 0
	s_waitcnt vmcnt(0)
	v_mov_b32_e32 v3, v1
	s_and_b32 s9, s10, 28
	s_add_u32 s0, s2, 0xc4
	s_addc_u32 s1, s3, 0
	s_mov_b32 s11, 0
	s_mov_b64 s[6:7], s[2:3]
.LBB7_1121:                             ; =>This Inner Loop Header: Depth=1
	s_clause 0x1
	s_load_dwordx8 s[16:23], s[6:7], 0x4
	s_load_dwordx4 s[28:31], s[6:7], 0x24
	s_load_dwordx8 s[36:43], s[0:1], 0x0
	s_add_u32 s6, s6, 48
	s_addc_u32 s7, s7, 0
	s_add_i32 s11, s11, 4
	s_add_u32 s0, s0, 32
	s_addc_u32 s1, s1, 0
	s_cmp_lg_u32 s9, s11
	s_waitcnt lgkmcnt(0)
	v_mul_hi_u32 v4, s17, v3
	v_add_nc_u32_e32 v4, v3, v4
	v_lshrrev_b32_e32 v4, s18, v4
	v_mul_hi_u32 v6, s20, v4
	v_mul_lo_u32 v11, v4, s16
	v_add_nc_u32_e32 v6, v4, v6
	v_sub_nc_u32_e32 v3, v3, v11
	v_lshrrev_b32_e32 v6, s21, v6
	v_mul_lo_u32 v11, v3, s36
	v_mul_lo_u32 v14, v3, s37
	v_mul_hi_u32 v9, s23, v6
	v_add_nc_u32_e32 v9, v6, v9
	v_lshrrev_b32_e32 v9, s28, v9
	v_mul_hi_u32 v13, s30, v9
	v_mul_lo_u32 v15, v9, s22
	v_add_nc_u32_e32 v3, v9, v13
	v_mul_lo_u32 v13, v6, s19
	v_sub_nc_u32_e32 v6, v6, v15
	v_lshrrev_b32_e32 v3, s31, v3
	v_mul_lo_u32 v15, v6, s40
	v_mul_lo_u32 v6, v6, s41
	v_sub_nc_u32_e32 v4, v4, v13
	v_mul_lo_u32 v16, v3, s29
	v_mul_lo_u32 v13, v4, s38
	;; [unrolled: 1-line block ×3, first 2 shown]
	v_sub_nc_u32_e32 v9, v9, v16
	v_add3_u32 v8, v11, v8, v13
	v_mul_lo_u32 v16, v9, s42
	v_mul_lo_u32 v9, v9, s43
	v_add3_u32 v4, v14, v10, v4
	v_add3_u32 v8, v15, v8, v16
	v_add3_u32 v10, v6, v4, v9
	s_cbranch_scc1 .LBB7_1121
; %bb.1122:
	s_and_b32 s10, s10, 3
	s_cmp_eq_u32 s10, 0
	s_cbranch_scc0 .LBB7_1126
	s_branch .LBB7_1128
.LBB7_1123:
	s_mov_b32 s8, -1
                                        ; implicit-def: $vgpr8
                                        ; implicit-def: $vgpr10
	s_branch .LBB7_1128
.LBB7_1124:
	v_mov_b32_e32 v8, 0
	v_mov_b32_e32 v10, 0
	s_branch .LBB7_1128
.LBB7_1125:
	v_mov_b32_e32 v8, 0
	v_mov_b32_e32 v10, 0
	s_waitcnt vmcnt(0)
	v_mov_b32_e32 v3, v1
	s_mov_b32 s9, 0
	s_and_b32 s10, s10, 3
	s_cmp_eq_u32 s10, 0
	s_cbranch_scc1 .LBB7_1128
.LBB7_1126:
	s_lshl_b32 s0, s9, 3
	s_mul_i32 s6, s9, 12
	s_add_u32 s0, s2, s0
	s_addc_u32 s1, s3, 0
	s_add_u32 s0, s0, 0xc4
	s_addc_u32 s1, s1, 0
	;; [unrolled: 2-line block ×3, first 2 shown]
	.p2align	6
.LBB7_1127:                             ; =>This Inner Loop Header: Depth=1
	s_clause 0x1
	s_load_dwordx2 s[14:15], s[6:7], 0x4
	s_load_dword s9, s[6:7], 0xc
	s_load_dwordx2 s[16:17], s[0:1], 0x0
	s_add_u32 s6, s6, 12
	s_addc_u32 s7, s7, 0
	s_add_u32 s0, s0, 8
	s_addc_u32 s1, s1, 0
	s_add_i32 s10, s10, -1
	s_cmp_lg_u32 s10, 0
	s_waitcnt lgkmcnt(0)
	v_mul_hi_u32 v4, s15, v3
	v_add_nc_u32_e32 v4, v3, v4
	v_lshrrev_b32_e32 v4, s9, v4
	v_mul_lo_u32 v6, v4, s14
	v_sub_nc_u32_e32 v3, v3, v6
	v_mad_u64_u32 v[8:9], null, v3, s16, v[8:9]
	v_mad_u64_u32 v[10:11], null, v3, s17, v[10:11]
	v_mov_b32_e32 v3, v4
	s_cbranch_scc1 .LBB7_1127
.LBB7_1128:
	s_andn2_b32 vcc_lo, exec_lo, s8
	s_cbranch_vccnz .LBB7_1131
; %bb.1129:
	s_clause 0x1
	s_load_dwordx4 s[8:11], s[2:3], 0x4
	s_load_dwordx2 s[0:1], s[2:3], 0xc4
	s_cmp_lt_u32 s24, 2
	s_waitcnt vmcnt(0) lgkmcnt(0)
	v_mul_hi_u32 v3, s9, v1
	v_add_nc_u32_e32 v3, v1, v3
	v_lshrrev_b32_e32 v3, s10, v3
	v_mul_lo_u32 v4, v3, s8
	v_sub_nc_u32_e32 v1, v1, v4
	v_mul_lo_u32 v8, v1, s0
	v_mul_lo_u32 v10, v1, s1
	s_cbranch_scc1 .LBB7_1131
; %bb.1130:
	s_clause 0x1
	s_load_dwordx4 s[8:11], s[2:3], 0x10
	s_load_dwordx2 s[0:1], s[2:3], 0xcc
	s_waitcnt lgkmcnt(0)
	v_mul_hi_u32 v1, s9, v3
	v_add_nc_u32_e32 v1, v3, v1
	v_lshrrev_b32_e32 v1, s10, v1
	v_mul_lo_u32 v1, v1, s8
	v_sub_nc_u32_e32 v1, v3, v1
	v_mad_u64_u32 v[8:9], null, v1, s0, v[8:9]
	v_mad_u64_u32 v[10:11], null, v1, s1, v[10:11]
.LBB7_1131:
	v_cmp_ne_u32_e32 vcc_lo, 1, v5
	v_add_nc_u32_e32 v1, 0x100, v7
	s_cbranch_vccnz .LBB7_1137
; %bb.1132:
	s_cmp_lg_u32 s24, 0
	s_mov_b32 s8, 0
	s_cbranch_scc0 .LBB7_1138
; %bb.1133:
	s_min_u32 s10, s25, 15
	s_add_i32 s10, s10, 1
	s_cmp_eq_u32 s25, 2
	s_cbranch_scc1 .LBB7_1139
; %bb.1134:
	s_waitcnt vmcnt(0)
	v_mov_b32_e32 v3, 0
	v_mov_b32_e32 v6, 0
	;; [unrolled: 1-line block ×3, first 2 shown]
	s_and_b32 s9, s10, 28
	s_add_u32 s0, s2, 0xc4
	s_addc_u32 s1, s3, 0
	s_mov_b32 s11, 0
	s_mov_b64 s[6:7], s[2:3]
.LBB7_1135:                             ; =>This Inner Loop Header: Depth=1
	s_clause 0x1
	s_load_dwordx8 s[16:23], s[6:7], 0x4
	s_load_dwordx4 s[28:31], s[6:7], 0x24
	s_load_dwordx8 s[36:43], s[0:1], 0x0
	s_add_u32 s6, s6, 48
	s_addc_u32 s7, s7, 0
	s_add_i32 s11, s11, 4
	s_add_u32 s0, s0, 32
	s_addc_u32 s1, s1, 0
	s_cmp_lg_u32 s9, s11
	s_waitcnt lgkmcnt(0)
	v_mul_hi_u32 v7, s17, v4
	v_add_nc_u32_e32 v7, v4, v7
	v_lshrrev_b32_e32 v7, s18, v7
	v_mul_hi_u32 v9, s20, v7
	v_mul_lo_u32 v13, v7, s16
	v_add_nc_u32_e32 v9, v7, v9
	v_sub_nc_u32_e32 v4, v4, v13
	v_lshrrev_b32_e32 v9, s21, v9
	v_mul_lo_u32 v13, v4, s36
	v_mul_lo_u32 v15, v4, s37
	v_mul_hi_u32 v11, s23, v9
	v_add_nc_u32_e32 v11, v9, v11
	v_lshrrev_b32_e32 v11, s28, v11
	v_mul_hi_u32 v14, s30, v11
	v_mul_lo_u32 v16, v11, s22
	v_add_nc_u32_e32 v4, v11, v14
	v_mul_lo_u32 v14, v9, s19
	v_sub_nc_u32_e32 v9, v9, v16
	v_lshrrev_b32_e32 v4, s31, v4
	v_mul_lo_u32 v16, v9, s40
	v_mul_lo_u32 v9, v9, s41
	v_sub_nc_u32_e32 v7, v7, v14
	v_mul_lo_u32 v17, v4, s29
	v_mul_lo_u32 v14, v7, s38
	;; [unrolled: 1-line block ×3, first 2 shown]
	v_sub_nc_u32_e32 v11, v11, v17
	v_add3_u32 v6, v13, v6, v14
	v_mul_lo_u32 v17, v11, s42
	v_mul_lo_u32 v11, v11, s43
	v_add3_u32 v3, v15, v3, v7
	v_add3_u32 v6, v16, v6, v17
	;; [unrolled: 1-line block ×3, first 2 shown]
	s_cbranch_scc1 .LBB7_1135
; %bb.1136:
	s_and_b32 s10, s10, 3
	s_cmp_eq_u32 s10, 0
	s_cbranch_scc0 .LBB7_1140
	s_branch .LBB7_1142
.LBB7_1137:
	s_mov_b32 s8, -1
                                        ; implicit-def: $vgpr6
                                        ; implicit-def: $vgpr3
	s_branch .LBB7_1142
.LBB7_1138:
	v_mov_b32_e32 v6, 0
	s_waitcnt vmcnt(0)
	v_mov_b32_e32 v3, 0
	s_branch .LBB7_1142
.LBB7_1139:
	v_mov_b32_e32 v6, 0
	s_waitcnt vmcnt(0)
	v_mov_b32_e32 v3, 0
	v_mov_b32_e32 v4, v1
	s_mov_b32 s9, 0
	s_and_b32 s10, s10, 3
	s_cmp_eq_u32 s10, 0
	s_cbranch_scc1 .LBB7_1142
.LBB7_1140:
	s_lshl_b32 s0, s9, 3
	s_mul_i32 s6, s9, 12
	s_add_u32 s0, s2, s0
	s_addc_u32 s1, s3, 0
	s_add_u32 s0, s0, 0xc4
	s_addc_u32 s1, s1, 0
	;; [unrolled: 2-line block ×3, first 2 shown]
	.p2align	6
.LBB7_1141:                             ; =>This Inner Loop Header: Depth=1
	s_clause 0x1
	s_load_dwordx2 s[14:15], s[6:7], 0x4
	s_load_dword s9, s[6:7], 0xc
	s_load_dwordx2 s[16:17], s[0:1], 0x0
	s_add_u32 s6, s6, 12
	s_addc_u32 s7, s7, 0
	s_add_u32 s0, s0, 8
	s_addc_u32 s1, s1, 0
	s_add_i32 s10, s10, -1
	s_cmp_lg_u32 s10, 0
	s_waitcnt lgkmcnt(0)
	v_mul_hi_u32 v7, s15, v4
	v_add_nc_u32_e32 v7, v4, v7
	v_lshrrev_b32_e32 v9, s9, v7
	v_mul_lo_u32 v7, v9, s14
	v_sub_nc_u32_e32 v4, v4, v7
	v_mad_u64_u32 v[6:7], null, v4, s16, v[6:7]
	v_mad_u64_u32 v[3:4], null, v4, s17, v[3:4]
	v_mov_b32_e32 v4, v9
	s_cbranch_scc1 .LBB7_1141
.LBB7_1142:
	s_andn2_b32 vcc_lo, exec_lo, s8
	s_cbranch_vccnz .LBB7_1145
; %bb.1143:
	s_clause 0x1
	s_load_dwordx4 s[8:11], s[2:3], 0x4
	s_load_dwordx2 s[0:1], s[2:3], 0xc4
	s_cmp_lt_u32 s24, 2
	s_waitcnt vmcnt(0) lgkmcnt(0)
	v_mul_hi_u32 v3, s9, v1
	v_add_nc_u32_e32 v3, v1, v3
	v_lshrrev_b32_e32 v4, s10, v3
	v_mul_lo_u32 v3, v4, s8
	v_sub_nc_u32_e32 v1, v1, v3
	v_mul_lo_u32 v6, v1, s0
	v_mul_lo_u32 v3, v1, s1
	s_cbranch_scc1 .LBB7_1145
; %bb.1144:
	s_clause 0x1
	s_load_dwordx4 s[8:11], s[2:3], 0x10
	s_load_dwordx2 s[0:1], s[2:3], 0xcc
	s_waitcnt lgkmcnt(0)
	v_mul_hi_u32 v1, s9, v4
	v_add_nc_u32_e32 v1, v4, v1
	v_lshrrev_b32_e32 v1, s10, v1
	v_mul_lo_u32 v1, v1, s8
	v_sub_nc_u32_e32 v1, v4, v1
	v_mad_u64_u32 v[6:7], null, v1, s0, v[6:7]
	v_mad_u64_u32 v[3:4], null, v1, s1, v[3:4]
.LBB7_1145:
	v_cmp_ne_u32_e32 vcc_lo, 1, v5
	s_cbranch_vccnz .LBB7_1151
; %bb.1146:
	s_cmp_lg_u32 s24, 0
	s_mov_b32 s8, 0
	s_cbranch_scc0 .LBB7_1152
; %bb.1147:
	s_min_u32 s10, s25, 15
	s_add_i32 s10, s10, 1
	s_cmp_eq_u32 s25, 2
	s_cbranch_scc1 .LBB7_1153
; %bb.1148:
	v_mov_b32_e32 v13, 0
	s_waitcnt vmcnt(0)
	v_mov_b32_e32 v4, 0
	v_mov_b32_e32 v1, v12
	s_and_b32 s9, s10, 28
	s_add_u32 s0, s2, 0xc4
	s_addc_u32 s1, s3, 0
	s_mov_b32 s11, 0
	s_mov_b64 s[6:7], s[2:3]
.LBB7_1149:                             ; =>This Inner Loop Header: Depth=1
	s_clause 0x1
	s_load_dwordx8 s[16:23], s[6:7], 0x4
	s_load_dwordx4 s[28:31], s[6:7], 0x24
	s_load_dwordx8 s[36:43], s[0:1], 0x0
	s_add_u32 s6, s6, 48
	s_addc_u32 s7, s7, 0
	s_add_i32 s11, s11, 4
	s_add_u32 s0, s0, 32
	s_addc_u32 s1, s1, 0
	s_cmp_lg_u32 s9, s11
	s_waitcnt lgkmcnt(0)
	v_mul_hi_u32 v5, s17, v1
	v_add_nc_u32_e32 v5, v1, v5
	v_lshrrev_b32_e32 v5, s18, v5
	v_mul_hi_u32 v7, s20, v5
	v_mul_lo_u32 v11, v5, s16
	v_add_nc_u32_e32 v7, v5, v7
	v_sub_nc_u32_e32 v1, v1, v11
	v_lshrrev_b32_e32 v7, s21, v7
	v_mul_lo_u32 v11, v1, s36
	v_mul_lo_u32 v15, v1, s37
	v_mul_hi_u32 v9, s23, v7
	v_add_nc_u32_e32 v9, v7, v9
	v_lshrrev_b32_e32 v9, s28, v9
	v_mul_hi_u32 v14, s30, v9
	v_mul_lo_u32 v16, v9, s22
	v_add_nc_u32_e32 v1, v9, v14
	v_mul_lo_u32 v14, v7, s19
	v_sub_nc_u32_e32 v7, v7, v16
	v_lshrrev_b32_e32 v1, s31, v1
	v_mul_lo_u32 v16, v7, s40
	v_mul_lo_u32 v7, v7, s41
	v_sub_nc_u32_e32 v5, v5, v14
	v_mul_lo_u32 v17, v1, s29
	v_mul_lo_u32 v14, v5, s38
	;; [unrolled: 1-line block ×3, first 2 shown]
	v_sub_nc_u32_e32 v9, v9, v17
	v_add3_u32 v4, v11, v4, v14
	v_mul_lo_u32 v17, v9, s42
	v_mul_lo_u32 v9, v9, s43
	v_add3_u32 v5, v15, v13, v5
	v_add3_u32 v4, v16, v4, v17
	v_add3_u32 v13, v7, v5, v9
	s_cbranch_scc1 .LBB7_1149
; %bb.1150:
	s_and_b32 s10, s10, 3
	s_cmp_eq_u32 s10, 0
	s_cbranch_scc0 .LBB7_1154
	s_branch .LBB7_1156
.LBB7_1151:
	s_mov_b32 s8, -1
                                        ; implicit-def: $vgpr4
                                        ; implicit-def: $vgpr13
	s_branch .LBB7_1156
.LBB7_1152:
	s_waitcnt vmcnt(0)
	v_mov_b32_e32 v4, 0
	v_mov_b32_e32 v13, 0
	s_branch .LBB7_1156
.LBB7_1153:
	s_waitcnt vmcnt(0)
	v_mov_b32_e32 v4, 0
	v_mov_b32_e32 v13, 0
	;; [unrolled: 1-line block ×3, first 2 shown]
	s_mov_b32 s9, 0
	s_and_b32 s10, s10, 3
	s_cmp_eq_u32 s10, 0
	s_cbranch_scc1 .LBB7_1156
.LBB7_1154:
	s_lshl_b32 s0, s9, 3
	s_mul_i32 s6, s9, 12
	s_add_u32 s0, s2, s0
	s_addc_u32 s1, s3, 0
	s_add_u32 s0, s0, 0xc4
	s_addc_u32 s1, s1, 0
	;; [unrolled: 2-line block ×3, first 2 shown]
	.p2align	6
.LBB7_1155:                             ; =>This Inner Loop Header: Depth=1
	s_clause 0x1
	s_load_dwordx2 s[14:15], s[6:7], 0x4
	s_load_dword s9, s[6:7], 0xc
	s_load_dwordx2 s[16:17], s[0:1], 0x0
	s_add_u32 s6, s6, 12
	s_addc_u32 s7, s7, 0
	s_add_u32 s0, s0, 8
	s_addc_u32 s1, s1, 0
	s_add_i32 s10, s10, -1
	s_cmp_lg_u32 s10, 0
	s_waitcnt lgkmcnt(0)
	v_mul_hi_u32 v5, s15, v1
	v_add_nc_u32_e32 v5, v1, v5
	v_lshrrev_b32_e32 v7, s9, v5
	v_mul_lo_u32 v5, v7, s14
	v_sub_nc_u32_e32 v1, v1, v5
	v_mad_u64_u32 v[4:5], null, v1, s16, v[4:5]
	v_mad_u64_u32 v[13:14], null, v1, s17, v[13:14]
	v_mov_b32_e32 v1, v7
	s_cbranch_scc1 .LBB7_1155
.LBB7_1156:
	s_andn2_b32 vcc_lo, exec_lo, s8
	s_cbranch_vccnz .LBB7_1159
; %bb.1157:
	s_clause 0x1
	s_load_dwordx4 s[8:11], s[2:3], 0x4
	s_load_dwordx2 s[0:1], s[2:3], 0xc4
	s_cmp_lt_u32 s24, 2
	s_waitcnt lgkmcnt(0)
	v_mul_hi_u32 v1, s9, v12
	v_add_nc_u32_e32 v1, v12, v1
	v_lshrrev_b32_e32 v1, s10, v1
	s_waitcnt vmcnt(0)
	v_mul_lo_u32 v4, v1, s8
	v_sub_nc_u32_e32 v5, v12, v4
	v_mul_lo_u32 v4, v5, s0
	v_mul_lo_u32 v13, v5, s1
	s_cbranch_scc1 .LBB7_1159
; %bb.1158:
	s_clause 0x1
	s_load_dwordx4 s[8:11], s[2:3], 0x10
	s_load_dwordx2 s[0:1], s[2:3], 0xcc
	s_waitcnt lgkmcnt(0)
	v_mul_hi_u32 v5, s9, v1
	v_add_nc_u32_e32 v5, v1, v5
	v_lshrrev_b32_e32 v5, s10, v5
	v_mul_lo_u32 v5, v5, s8
	v_sub_nc_u32_e32 v1, v1, v5
	v_mad_u64_u32 v[4:5], null, v1, s0, v[4:5]
	v_mad_u64_u32 v[13:14], null, v1, s1, v[13:14]
.LBB7_1159:
	s_clause 0x1
	s_load_dwordx4 s[8:11], s[2:3], 0x148
	s_load_dword s2, s[4:5], 0x160
	s_waitcnt lgkmcnt(0)
	v_add_co_u32 v11, s0, s10, v0
	v_add_co_ci_u32_e64 v12, null, s11, 0, s0
	s_bfe_u32 s0, s2, 0x80010
	s_cmp_lt_i32 s0, 11
	s_cbranch_scc1 .LBB7_1166
; %bb.1160:
	s_and_b32 s1, 0xffff, s0
	s_mov_b32 s4, 0
	s_cmp_gt_i32 s1, 25
	s_cbranch_scc0 .LBB7_1168
; %bb.1161:
	s_cmp_gt_i32 s1, 28
	s_cbranch_scc0 .LBB7_1169
; %bb.1162:
	;; [unrolled: 3-line block ×4, first 2 shown]
	s_cmp_eq_u32 s1, 46
	s_mov_b32 s6, 0
	s_cbranch_scc0 .LBB7_1174
; %bb.1165:
	global_load_dword v0, v[11:12], off
	s_mov_b32 s3, 0
	s_mov_b32 s5, -1
	s_waitcnt vmcnt(0)
	v_lshlrev_b32_e32 v0, 16, v0
	v_cvt_f64_f32_e32 v[0:1], v0
	s_branch .LBB7_1176
.LBB7_1166:
	s_mov_b32 s5, 0
	s_mov_b32 s1, s12
                                        ; implicit-def: $vgpr0_vgpr1
	s_cbranch_execnz .LBB7_1239
.LBB7_1167:
	s_andn2_b32 vcc_lo, exec_lo, s5
	s_cbranch_vccz .LBB7_1284
	s_branch .LBB7_2121
.LBB7_1168:
	s_mov_b32 s5, 0
	s_mov_b32 s3, 0
                                        ; implicit-def: $vgpr0_vgpr1
	s_cbranch_execnz .LBB7_1206
	s_branch .LBB7_1235
.LBB7_1169:
	s_mov_b32 s6, -1
	s_mov_b32 s5, 0
	s_mov_b32 s3, 0
                                        ; implicit-def: $vgpr0_vgpr1
	s_branch .LBB7_1185
.LBB7_1170:
	s_mov_b32 s5, 0
	s_mov_b32 s3, 0
                                        ; implicit-def: $vgpr0_vgpr1
	s_cbranch_execnz .LBB7_1181
	s_branch .LBB7_1184
.LBB7_1171:
	s_mov_b32 s6, -1
	s_mov_b32 s5, 0
	s_mov_b32 s3, 0
	s_branch .LBB7_1175
.LBB7_1172:
	s_andn2_saveexec_b32 s11, s11
	s_cbranch_execz .LBB7_1012
.LBB7_1173:
	v_add_f32_e64 v3, 0x46000000, |v2|
	s_andn2_b32 s10, s10, exec_lo
	v_and_b32_e32 v3, 0xff, v3
	v_cmp_ne_u32_e32 vcc_lo, 0, v3
	s_and_b32 s12, vcc_lo, exec_lo
	s_or_b32 s10, s10, s12
	s_or_b32 exec_lo, exec_lo, s11
	v_mov_b32_e32 v4, 0
	s_and_saveexec_b32 s11, s10
	s_cbranch_execnz .LBB7_1013
	s_branch .LBB7_1014
.LBB7_1174:
	s_mov_b32 s3, -1
	s_mov_b32 s5, 0
.LBB7_1175:
                                        ; implicit-def: $vgpr0_vgpr1
.LBB7_1176:
	s_and_b32 vcc_lo, exec_lo, s6
	s_cbranch_vccz .LBB7_1179
; %bb.1177:
	s_cmp_eq_u32 s1, 44
	s_cbranch_scc0 .LBB7_1180
; %bb.1178:
	global_load_ubyte v5, v[11:12], off
	s_mov_b32 s3, 0
	s_mov_b32 s5, -1
	s_waitcnt vmcnt(0)
	v_lshlrev_b32_e32 v0, 23, v5
	v_cmp_ne_u32_e32 vcc_lo, 0xff, v5
	v_cvt_f64_f32_e32 v[0:1], v0
	v_cndmask_b32_e32 v0, 0x20000000, v0, vcc_lo
	v_cndmask_b32_e32 v1, 0x7ff80000, v1, vcc_lo
	v_cmp_ne_u32_e32 vcc_lo, 0, v5
	v_cndmask_b32_e32 v1, 0x38000000, v1, vcc_lo
	v_cndmask_b32_e32 v0, 0, v0, vcc_lo
.LBB7_1179:
	s_branch .LBB7_1184
.LBB7_1180:
	s_mov_b32 s3, -1
                                        ; implicit-def: $vgpr0_vgpr1
	s_branch .LBB7_1184
.LBB7_1181:
	s_cmp_eq_u32 s1, 29
	s_cbranch_scc0 .LBB7_1183
; %bb.1182:
	global_load_dwordx2 v[0:1], v[11:12], off
	s_mov_b32 s3, 0
	s_mov_b32 s5, -1
	s_mov_b32 s6, 0
	s_waitcnt vmcnt(0)
	v_cvt_f64_u32_e32 v[14:15], v1
	v_cvt_f64_u32_e32 v[0:1], v0
	v_ldexp_f64 v[14:15], v[14:15], 32
	v_add_f64 v[0:1], v[14:15], v[0:1]
	s_branch .LBB7_1185
.LBB7_1183:
	s_mov_b32 s3, -1
                                        ; implicit-def: $vgpr0_vgpr1
.LBB7_1184:
	s_mov_b32 s6, 0
.LBB7_1185:
	s_and_b32 vcc_lo, exec_lo, s6
	s_cbranch_vccz .LBB7_1205
; %bb.1186:
	s_cmp_lt_i32 s1, 27
	s_cbranch_scc1 .LBB7_1189
; %bb.1187:
	s_cmp_gt_i32 s1, 27
	s_cbranch_scc0 .LBB7_1190
; %bb.1188:
	global_load_dword v0, v[11:12], off
	s_mov_b32 s5, 0
	s_waitcnt vmcnt(0)
	v_cvt_f64_u32_e32 v[0:1], v0
	s_branch .LBB7_1191
.LBB7_1189:
	s_mov_b32 s5, -1
                                        ; implicit-def: $vgpr0_vgpr1
	s_branch .LBB7_1194
.LBB7_1190:
	s_mov_b32 s5, -1
                                        ; implicit-def: $vgpr0_vgpr1
.LBB7_1191:
	s_andn2_b32 vcc_lo, exec_lo, s5
	s_cbranch_vccnz .LBB7_1193
; %bb.1192:
	global_load_ushort v0, v[11:12], off
	s_waitcnt vmcnt(0)
	v_cvt_f64_u32_e32 v[0:1], v0
.LBB7_1193:
	s_mov_b32 s5, 0
.LBB7_1194:
	s_andn2_b32 vcc_lo, exec_lo, s5
	s_cbranch_vccnz .LBB7_1204
; %bb.1195:
	global_load_ubyte v5, v[11:12], off
	s_mov_b32 s5, 0
	s_mov_b32 s6, exec_lo
	s_waitcnt vmcnt(0)
	v_cmpx_lt_i16_e32 0x7f, v5
	s_xor_b32 s6, exec_lo, s6
	s_cbranch_execz .LBB7_1199
; %bb.1196:
	s_mov_b32 s5, -1
	s_mov_b32 s7, exec_lo
	v_cmpx_eq_u16_e32 0x80, v5
; %bb.1197:
	s_xor_b32 s5, exec_lo, -1
; %bb.1198:
	s_or_b32 exec_lo, exec_lo, s7
	s_and_b32 s5, s5, exec_lo
.LBB7_1199:
	s_or_saveexec_b32 s6, s6
	v_bfrev_b32_e32 v0, 4
	v_mov_b32_e32 v1, 0x7ff80000
	s_xor_b32 exec_lo, exec_lo, s6
; %bb.1200:
	v_cmp_ne_u16_e32 vcc_lo, 0, v5
	v_mov_b32_e32 v0, 0
	v_mov_b32_e32 v1, 0
	s_andn2_b32 s5, s5, exec_lo
	s_and_b32 s7, vcc_lo, exec_lo
	s_or_b32 s5, s5, s7
; %bb.1201:
	s_or_b32 exec_lo, exec_lo, s6
	s_and_saveexec_b32 s6, s5
	s_cbranch_execz .LBB7_1203
; %bb.1202:
	v_and_b32_e32 v0, 0xffff, v5
	v_lshlrev_b32_e32 v5, 24, v5
	v_and_b32_e32 v1, 7, v0
	v_bfe_u32 v14, v0, 3, 4
	v_ffbh_u32_e32 v7, v1
	v_cmp_eq_u32_e32 vcc_lo, 0, v14
	v_min_u32_e32 v7, 32, v7
	v_subrev_nc_u32_e32 v9, 28, v7
	v_sub_nc_u32_e32 v7, 29, v7
	v_lshlrev_b32_e32 v0, v9, v0
	v_cndmask_b32_e32 v7, v14, v7, vcc_lo
	v_and_b32_e32 v0, 7, v0
	v_cndmask_b32_e32 v0, v1, v0, vcc_lo
	v_and_b32_e32 v1, 0x80000000, v5
	v_lshl_add_u32 v5, v7, 23, 0x3b800000
	v_lshlrev_b32_e32 v0, 20, v0
	v_or3_b32 v0, v1, v5, v0
	v_cvt_f64_f32_e32 v[0:1], v0
.LBB7_1203:
	s_or_b32 exec_lo, exec_lo, s6
.LBB7_1204:
	s_mov_b32 s5, -1
.LBB7_1205:
	s_branch .LBB7_1235
.LBB7_1206:
	s_cmp_gt_i32 s1, 22
	s_cbranch_scc0 .LBB7_1218
; %bb.1207:
	s_cmp_lt_i32 s1, 24
	s_cbranch_scc1 .LBB7_1219
; %bb.1208:
	s_cmp_gt_i32 s1, 24
	s_cbranch_scc0 .LBB7_1220
; %bb.1209:
	global_load_ubyte v5, v[11:12], off
	s_mov_b32 s5, exec_lo
	s_waitcnt vmcnt(0)
	v_cmpx_lt_i16_e32 0x7f, v5
	s_xor_b32 s5, exec_lo, s5
	s_cbranch_execz .LBB7_1213
; %bb.1210:
	s_mov_b32 s4, -1
	s_mov_b32 s6, exec_lo
	v_cmpx_eq_u16_e32 0x80, v5
; %bb.1211:
	s_xor_b32 s4, exec_lo, -1
; %bb.1212:
	s_or_b32 exec_lo, exec_lo, s6
	s_and_b32 s4, s4, exec_lo
.LBB7_1213:
	s_or_saveexec_b32 s5, s5
	v_bfrev_b32_e32 v0, 4
	v_mov_b32_e32 v1, 0x7ff80000
	s_xor_b32 exec_lo, exec_lo, s5
; %bb.1214:
	v_cmp_ne_u16_e32 vcc_lo, 0, v5
	v_mov_b32_e32 v0, 0
	v_mov_b32_e32 v1, 0
	s_andn2_b32 s4, s4, exec_lo
	s_and_b32 s6, vcc_lo, exec_lo
	s_or_b32 s4, s4, s6
; %bb.1215:
	s_or_b32 exec_lo, exec_lo, s5
	s_and_saveexec_b32 s5, s4
	s_cbranch_execz .LBB7_1217
; %bb.1216:
	v_and_b32_e32 v0, 0xffff, v5
	v_lshlrev_b32_e32 v5, 24, v5
	v_and_b32_e32 v1, 3, v0
	v_bfe_u32 v14, v0, 2, 5
	v_ffbh_u32_e32 v7, v1
	v_cmp_eq_u32_e32 vcc_lo, 0, v14
	v_min_u32_e32 v7, 32, v7
	v_subrev_nc_u32_e32 v9, 29, v7
	v_sub_nc_u32_e32 v7, 30, v7
	v_lshlrev_b32_e32 v0, v9, v0
	v_cndmask_b32_e32 v7, v14, v7, vcc_lo
	v_and_b32_e32 v0, 3, v0
	v_cndmask_b32_e32 v0, v1, v0, vcc_lo
	v_and_b32_e32 v1, 0x80000000, v5
	v_lshl_add_u32 v5, v7, 23, 0x37800000
	v_lshlrev_b32_e32 v0, 21, v0
	v_or3_b32 v0, v1, v5, v0
	v_cvt_f64_f32_e32 v[0:1], v0
.LBB7_1217:
	s_or_b32 exec_lo, exec_lo, s5
	s_mov_b32 s4, 0
	s_branch .LBB7_1221
.LBB7_1218:
                                        ; implicit-def: $vgpr0_vgpr1
	s_mov_b32 s4, 0
	s_branch .LBB7_1227
.LBB7_1219:
	s_mov_b32 s4, -1
                                        ; implicit-def: $vgpr0_vgpr1
	s_branch .LBB7_1224
.LBB7_1220:
	s_mov_b32 s4, -1
                                        ; implicit-def: $vgpr0_vgpr1
.LBB7_1221:
	s_and_b32 vcc_lo, exec_lo, s4
	s_cbranch_vccz .LBB7_1223
; %bb.1222:
	global_load_ubyte v0, v[11:12], off
	s_waitcnt vmcnt(0)
	v_lshlrev_b32_e32 v0, 24, v0
	v_and_b32_e32 v1, 0x7f000000, v0
	v_ffbh_u32_e32 v5, v1
	v_add_nc_u32_e32 v9, 0x1000000, v1
	v_cmp_ne_u32_e32 vcc_lo, 0, v1
	v_min_u32_e32 v5, 32, v5
	v_sub_nc_u32_e64 v5, v5, 4 clamp
	v_lshlrev_b32_e32 v7, v5, v1
	v_lshlrev_b32_e32 v5, 23, v5
	v_lshrrev_b32_e32 v7, 4, v7
	v_sub_nc_u32_e32 v5, v7, v5
	v_ashrrev_i32_e32 v7, 8, v9
	v_add_nc_u32_e32 v5, 0x3c000000, v5
	v_and_or_b32 v5, 0x7f800000, v7, v5
	v_cndmask_b32_e32 v1, 0, v5, vcc_lo
	v_and_or_b32 v0, 0x80000000, v0, v1
	v_cvt_f64_f32_e32 v[0:1], v0
.LBB7_1223:
	s_mov_b32 s4, 0
.LBB7_1224:
	s_andn2_b32 vcc_lo, exec_lo, s4
	s_cbranch_vccnz .LBB7_1226
; %bb.1225:
	global_load_ubyte v0, v[11:12], off
	s_waitcnt vmcnt(0)
	v_lshlrev_b32_e32 v1, 25, v0
	v_lshlrev_b16 v0, 8, v0
	v_lshrrev_b32_e32 v5, 4, v1
	v_and_or_b32 v7, 0x7f00, v0, 0.5
	v_cmp_gt_u32_e32 vcc_lo, 0x8000000, v1
	v_bfe_i32 v0, v0, 0, 16
	v_or_b32_e32 v5, 0x70000000, v5
	v_add_f32_e32 v7, -0.5, v7
	v_mul_f32_e32 v5, 0x7800000, v5
	v_cndmask_b32_e32 v1, v5, v7, vcc_lo
	v_and_or_b32 v0, 0x80000000, v0, v1
	v_cvt_f64_f32_e32 v[0:1], v0
.LBB7_1226:
	s_mov_b32 s5, -1
	s_mov_b32 s4, 0
	s_cbranch_execnz .LBB7_1235
.LBB7_1227:
	s_cmp_gt_i32 s1, 14
	s_cbranch_scc0 .LBB7_1230
; %bb.1228:
	s_cmp_eq_u32 s1, 15
	s_cbranch_scc0 .LBB7_1231
; %bb.1229:
	global_load_ushort v0, v[11:12], off
	s_mov_b32 s3, 0
	s_mov_b32 s5, -1
	s_waitcnt vmcnt(0)
	v_lshlrev_b32_e32 v0, 16, v0
	v_cvt_f64_f32_e32 v[0:1], v0
	s_branch .LBB7_1233
.LBB7_1230:
	s_mov_b32 s4, -1
	s_branch .LBB7_1232
.LBB7_1231:
	s_mov_b32 s3, -1
.LBB7_1232:
                                        ; implicit-def: $vgpr0_vgpr1
.LBB7_1233:
	s_and_b32 vcc_lo, exec_lo, s4
	s_mov_b32 s4, 0
	s_cbranch_vccz .LBB7_1235
; %bb.1234:
	s_cmp_lg_u32 s1, 11
	s_mov_b32 s4, -1
	s_cselect_b32 s3, -1, 0
.LBB7_1235:
	s_and_b32 vcc_lo, exec_lo, s3
	s_mov_b32 s1, s12
	s_cbranch_vccnz .LBB7_1300
; %bb.1236:
	s_andn2_b32 vcc_lo, exec_lo, s4
	s_cbranch_vccnz .LBB7_1238
.LBB7_1237:
	global_load_ubyte v0, v[11:12], off
	s_mov_b32 s5, -1
	s_waitcnt vmcnt(0)
	v_cmp_ne_u16_e32 vcc_lo, 0, v0
	v_mov_b32_e32 v0, 0
	v_cndmask_b32_e64 v1, 0, 0x3ff00000, vcc_lo
.LBB7_1238:
	s_branch .LBB7_1167
.LBB7_1239:
	s_and_b32 s0, 0xffff, s0
	s_cmp_lt_i32 s0, 5
	s_cbranch_scc1 .LBB7_1244
; %bb.1240:
	s_cmp_lt_i32 s0, 8
	s_cbranch_scc1 .LBB7_1245
; %bb.1241:
	;; [unrolled: 3-line block ×3, first 2 shown]
	s_cmp_gt_i32 s0, 9
	s_cbranch_scc0 .LBB7_1247
; %bb.1243:
	global_load_dwordx2 v[0:1], v[11:12], off
	s_mov_b32 s3, 0
	s_branch .LBB7_1248
.LBB7_1244:
                                        ; implicit-def: $vgpr0_vgpr1
	s_branch .LBB7_1265
.LBB7_1245:
                                        ; implicit-def: $vgpr0_vgpr1
	s_branch .LBB7_1254
.LBB7_1246:
	s_mov_b32 s3, -1
                                        ; implicit-def: $vgpr0_vgpr1
	s_branch .LBB7_1251
.LBB7_1247:
	s_mov_b32 s3, -1
                                        ; implicit-def: $vgpr0_vgpr1
.LBB7_1248:
	s_andn2_b32 vcc_lo, exec_lo, s3
	s_cbranch_vccnz .LBB7_1250
; %bb.1249:
	global_load_dword v0, v[11:12], off
	s_waitcnt vmcnt(0)
	v_cvt_f64_f32_e32 v[0:1], v0
.LBB7_1250:
	s_mov_b32 s3, 0
.LBB7_1251:
	s_andn2_b32 vcc_lo, exec_lo, s3
	s_cbranch_vccnz .LBB7_1253
; %bb.1252:
	global_load_dword v0, v[11:12], off
	s_waitcnt vmcnt(0)
	v_cvt_f32_f16_e32 v0, v0
	v_cvt_f64_f32_e32 v[0:1], v0
.LBB7_1253:
	s_cbranch_execnz .LBB7_1264
.LBB7_1254:
	s_cmp_lt_i32 s0, 6
	s_cbranch_scc1 .LBB7_1257
; %bb.1255:
	s_cmp_gt_i32 s0, 6
	s_cbranch_scc0 .LBB7_1258
; %bb.1256:
	global_load_dwordx2 v[0:1], v[11:12], off
	s_mov_b32 s3, 0
	s_branch .LBB7_1259
.LBB7_1257:
	s_mov_b32 s3, -1
                                        ; implicit-def: $vgpr0_vgpr1
	s_branch .LBB7_1262
.LBB7_1258:
	s_mov_b32 s3, -1
                                        ; implicit-def: $vgpr0_vgpr1
.LBB7_1259:
	s_andn2_b32 vcc_lo, exec_lo, s3
	s_cbranch_vccnz .LBB7_1261
; %bb.1260:
	global_load_dword v0, v[11:12], off
	s_waitcnt vmcnt(0)
	v_cvt_f64_f32_e32 v[0:1], v0
.LBB7_1261:
	s_mov_b32 s3, 0
.LBB7_1262:
	s_andn2_b32 vcc_lo, exec_lo, s3
	s_cbranch_vccnz .LBB7_1264
; %bb.1263:
	global_load_ushort v0, v[11:12], off
	s_waitcnt vmcnt(0)
	v_cvt_f32_f16_e32 v0, v0
	v_cvt_f64_f32_e32 v[0:1], v0
.LBB7_1264:
	s_cbranch_execnz .LBB7_1283
.LBB7_1265:
	s_cmp_lt_i32 s0, 2
	s_cbranch_scc1 .LBB7_1269
; %bb.1266:
	s_cmp_lt_i32 s0, 3
	s_cbranch_scc1 .LBB7_1270
; %bb.1267:
	s_cmp_gt_i32 s0, 3
	s_cbranch_scc0 .LBB7_1271
; %bb.1268:
	global_load_dwordx2 v[0:1], v[11:12], off
	s_mov_b32 s3, 0
	s_waitcnt vmcnt(0)
	v_cvt_f64_i32_e32 v[14:15], v1
	v_cvt_f64_u32_e32 v[0:1], v0
	v_ldexp_f64 v[14:15], v[14:15], 32
	v_add_f64 v[0:1], v[14:15], v[0:1]
	s_branch .LBB7_1272
.LBB7_1269:
                                        ; implicit-def: $vgpr0_vgpr1
	s_branch .LBB7_1278
.LBB7_1270:
	s_mov_b32 s3, -1
                                        ; implicit-def: $vgpr0_vgpr1
	s_branch .LBB7_1275
.LBB7_1271:
	s_mov_b32 s3, -1
                                        ; implicit-def: $vgpr0_vgpr1
.LBB7_1272:
	s_andn2_b32 vcc_lo, exec_lo, s3
	s_cbranch_vccnz .LBB7_1274
; %bb.1273:
	global_load_dword v0, v[11:12], off
	s_waitcnt vmcnt(0)
	v_cvt_f64_i32_e32 v[0:1], v0
.LBB7_1274:
	s_mov_b32 s3, 0
.LBB7_1275:
	s_andn2_b32 vcc_lo, exec_lo, s3
	s_cbranch_vccnz .LBB7_1277
; %bb.1276:
	global_load_sshort v0, v[11:12], off
	s_waitcnt vmcnt(0)
	v_cvt_f64_i32_e32 v[0:1], v0
.LBB7_1277:
	s_cbranch_execnz .LBB7_1283
.LBB7_1278:
	s_cmp_gt_i32 s0, 0
	s_mov_b32 s0, 0
	s_cbranch_scc0 .LBB7_1280
; %bb.1279:
	global_load_sbyte v0, v[11:12], off
	s_waitcnt vmcnt(0)
	v_cvt_f64_i32_e32 v[0:1], v0
	s_branch .LBB7_1281
.LBB7_1280:
	s_mov_b32 s0, -1
                                        ; implicit-def: $vgpr0_vgpr1
.LBB7_1281:
	s_andn2_b32 vcc_lo, exec_lo, s0
	s_cbranch_vccnz .LBB7_1283
; %bb.1282:
	global_load_ubyte v0, v[11:12], off
	s_waitcnt vmcnt(0)
	v_cvt_f64_u32_e32 v[0:1], v0
.LBB7_1283:
.LBB7_1284:
	s_waitcnt vmcnt(0)
	v_cmp_ngt_f64_e64 s0, 0x41d00000, |v[0:1]|
                                        ; implicit-def: $vgpr5
                                        ; implicit-def: $vgpr15_vgpr16
                                        ; implicit-def: $vgpr21_vgpr22
	s_and_saveexec_b32 s3, s0
	s_xor_b32 s0, exec_lo, s3
	s_cbranch_execz .LBB7_1286
; %bb.1285:
	v_ldexp_f64 v[11:12], |v[0:1]|, 0xffffff80
	v_cmp_le_f64_e64 vcc_lo, 0x7b000000, |v[0:1]|
	v_trig_preop_f64 v[14:15], |v[0:1]|, 0
	v_and_b32_e32 v5, 0x7fffffff, v1
	v_trig_preop_f64 v[16:17], |v[0:1]|, 1
	v_trig_preop_f64 v[26:27], |v[0:1]|, 2
	v_mov_b32_e32 v34, 0
	s_mov_b32 s4, 0x54442d18
	s_mov_b32 s5, 0x3ff921fb
	;; [unrolled: 1-line block ×4, first 2 shown]
	v_cndmask_b32_e32 v12, v5, v12, vcc_lo
	v_cndmask_b32_e32 v11, v0, v11, vcc_lo
	v_mul_f64 v[18:19], v[14:15], v[11:12]
	v_mul_f64 v[20:21], v[16:17], v[11:12]
	;; [unrolled: 1-line block ×3, first 2 shown]
	v_fma_f64 v[14:15], v[14:15], v[11:12], -v[18:19]
	v_fma_f64 v[16:17], v[16:17], v[11:12], -v[20:21]
	;; [unrolled: 1-line block ×3, first 2 shown]
	v_add_f64 v[22:23], v[20:21], v[14:15]
	v_add_f64 v[24:25], v[22:23], -v[20:21]
	v_add_f64 v[30:31], v[18:19], v[22:23]
	v_add_f64 v[28:29], v[22:23], -v[24:25]
	v_add_f64 v[14:15], v[14:15], -v[24:25]
	v_ldexp_f64 v[24:25], v[30:31], -2
	v_add_f64 v[18:19], v[30:31], -v[18:19]
	v_add_f64 v[20:21], v[20:21], -v[28:29]
	v_add_f64 v[28:29], v[32:33], v[16:17]
	v_cmp_neq_f64_e64 vcc_lo, 0x7ff00000, |v[24:25]|
	v_add_f64 v[18:19], v[22:23], -v[18:19]
	v_add_f64 v[14:15], v[14:15], v[20:21]
	v_fract_f64_e32 v[20:21], v[24:25]
	v_add_f64 v[22:23], v[28:29], v[14:15]
	v_ldexp_f64 v[20:21], v[20:21], 2
	v_add_f64 v[24:25], v[18:19], v[22:23]
	v_cndmask_b32_e32 v21, 0, v21, vcc_lo
	v_cndmask_b32_e32 v20, 0, v20, vcc_lo
	v_add_f64 v[30:31], v[24:25], v[20:21]
	v_add_f64 v[18:19], v[24:25], -v[18:19]
	v_cmp_gt_f64_e32 vcc_lo, 0, v[30:31]
	v_add_f64 v[30:31], v[28:29], -v[32:33]
	v_add_f64 v[18:19], v[22:23], -v[18:19]
	v_cndmask_b32_e64 v35, 0, 0x40100000, vcc_lo
	v_add_f64 v[39:40], v[28:29], -v[30:31]
	v_add_f64 v[16:17], v[16:17], -v[30:31]
	v_add_f64 v[20:21], v[20:21], v[34:35]
	v_add_f64 v[35:36], v[22:23], -v[28:29]
	v_add_f64 v[30:31], v[32:33], -v[39:40]
	v_add_f64 v[37:38], v[24:25], v[20:21]
	;; [unrolled: 3-line block ×3, first 2 shown]
	v_cvt_i32_f64_e32 v5, v[37:38]
	v_add_f64 v[28:29], v[28:29], -v[41:42]
	v_cvt_f64_i32_e32 v[35:36], v5
	v_add_f64 v[14:15], v[14:15], v[28:29]
	v_add_f64 v[20:21], v[20:21], -v[35:36]
	v_add_f64 v[14:15], v[16:17], v[14:15]
	v_add_f64 v[16:17], v[24:25], v[20:21]
	;; [unrolled: 1-line block ×3, first 2 shown]
	v_add_f64 v[14:15], v[16:17], -v[20:21]
	v_cmp_le_f64_e32 vcc_lo, 0.5, v[16:17]
	v_add_f64 v[11:12], v[18:19], v[11:12]
	v_add_f64 v[14:15], v[24:25], -v[14:15]
	v_cndmask_b32_e64 v35, 0, 0x3ff00000, vcc_lo
	v_add_co_ci_u32_e64 v5, null, 0, v5, vcc_lo
	v_add_f64 v[11:12], v[11:12], v[14:15]
	v_add_f64 v[14:15], v[16:17], -v[34:35]
	v_add_f64 v[16:17], v[14:15], v[11:12]
	v_mul_f64 v[18:19], v[16:17], s[4:5]
	v_add_f64 v[14:15], v[16:17], -v[14:15]
	v_fma_f64 v[20:21], v[16:17], s[4:5], -v[18:19]
	v_add_f64 v[11:12], v[11:12], -v[14:15]
	v_fma_f64 v[14:15], v[16:17], s[6:7], v[20:21]
	v_fma_f64 v[11:12], v[11:12], s[4:5], v[14:15]
	v_add_f64 v[15:16], v[18:19], v[11:12]
	v_add_f64 v[17:18], v[15:16], -v[18:19]
	v_add_f64 v[21:22], v[11:12], -v[17:18]
.LBB7_1286:
	s_andn2_saveexec_b32 s0, s0
	s_cbranch_execz .LBB7_1288
; %bb.1287:
	s_mov_b32 s4, 0x6dc9c883
	s_mov_b32 s5, 0x3fe45f30
	;; [unrolled: 1-line block ×3, first 2 shown]
	v_mul_f64 v[11:12], |v[0:1]|, s[4:5]
	s_mov_b32 s4, 0x54442d18
	s_mov_b32 s5, 0xbff921fb
	;; [unrolled: 1-line block ×3, first 2 shown]
	v_rndne_f64_e32 v[11:12], v[11:12]
	v_fma_f64 v[14:15], v[11:12], s[4:5], |v[0:1]|
	v_mul_f64 v[16:17], v[11:12], s[6:7]
	s_mov_b32 s4, 0x252049c0
	s_mov_b32 s5, 0xb97b839a
	v_cvt_i32_f64_e32 v5, v[11:12]
	v_fma_f64 v[20:21], v[11:12], s[6:7], v[14:15]
	v_add_f64 v[18:19], v[14:15], v[16:17]
	s_mov_b32 s7, 0x3c91a626
	v_add_f64 v[14:15], v[14:15], -v[18:19]
	v_add_f64 v[18:19], v[18:19], -v[20:21]
	v_add_f64 v[14:15], v[14:15], v[16:17]
	v_fma_f64 v[16:17], v[11:12], s[6:7], v[16:17]
	v_add_f64 v[14:15], v[18:19], v[14:15]
	v_add_f64 v[14:15], v[14:15], -v[16:17]
	v_fma_f64 v[17:18], v[11:12], s[4:5], v[14:15]
	v_add_f64 v[15:16], v[20:21], v[17:18]
	v_add_f64 v[19:20], v[15:16], -v[20:21]
	v_add_f64 v[21:22], v[17:18], -v[19:20]
.LBB7_1288:
	s_or_b32 exec_lo, exec_lo, s0
	v_add_co_u32 v11, s3, s10, v10
	s_lshr_b32 s0, s2, 16
	v_add_co_ci_u32_e64 v12, null, s11, 0, s3
	s_and_b32 s0, s0, 0xff
	s_cmp_lt_i32 s0, 11
	s_cbranch_scc1 .LBB7_1295
; %bb.1289:
	s_and_b32 s3, 0xffff, s0
	s_mov_b32 s5, 0
	s_cmp_gt_i32 s3, 25
	s_cbranch_scc0 .LBB7_1297
; %bb.1290:
	s_cmp_gt_i32 s3, 28
	s_cbranch_scc0 .LBB7_1298
; %bb.1291:
	;; [unrolled: 3-line block ×4, first 2 shown]
	s_cmp_eq_u32 s3, 46
	s_mov_b32 s7, 0
	s_cbranch_scc0 .LBB7_1304
; %bb.1294:
	global_load_dword v7, v[11:12], off
	s_mov_b32 s4, 0
	s_mov_b32 s6, -1
	s_waitcnt vmcnt(0)
	v_lshlrev_b32_e32 v7, 16, v7
	v_cvt_f64_f32_e32 v[9:10], v7
	s_branch .LBB7_1306
.LBB7_1295:
	s_mov_b32 s6, 0
                                        ; implicit-def: $vgpr9_vgpr10
	s_cbranch_execnz .LBB7_1371
.LBB7_1296:
	s_andn2_b32 vcc_lo, exec_lo, s6
	s_cbranch_vccz .LBB7_1418
	s_branch .LBB7_2121
.LBB7_1297:
	s_mov_b32 s6, 0
	s_mov_b32 s4, 0
                                        ; implicit-def: $vgpr9_vgpr10
	s_cbranch_execnz .LBB7_1337
	s_branch .LBB7_1367
.LBB7_1298:
	s_mov_b32 s7, -1
	s_mov_b32 s6, 0
	s_mov_b32 s4, 0
                                        ; implicit-def: $vgpr9_vgpr10
	s_branch .LBB7_1316
.LBB7_1299:
	s_mov_b32 s7, -1
	s_mov_b32 s6, 0
	s_mov_b32 s4, 0
                                        ; implicit-def: $vgpr9_vgpr10
	s_branch .LBB7_1311
.LBB7_1300:
	s_or_b32 s1, s12, exec_lo
	s_trap 2
	s_cbranch_execz .LBB7_1237
	s_branch .LBB7_1238
.LBB7_1301:
	s_mov_b32 s7, -1
	s_mov_b32 s6, 0
	s_mov_b32 s4, 0
	s_branch .LBB7_1305
.LBB7_1302:
	s_andn2_saveexec_b32 s12, s12
	s_cbranch_execz .LBB7_1024
.LBB7_1303:
	v_add_f32_e64 v3, 0x42800000, |v2|
	s_andn2_b32 s11, s11, exec_lo
	v_and_b32_e32 v3, 0xff, v3
	v_cmp_ne_u32_e32 vcc_lo, 0, v3
	s_and_b32 s13, vcc_lo, exec_lo
	s_or_b32 s11, s11, s13
	s_or_b32 exec_lo, exec_lo, s12
	v_mov_b32_e32 v4, 0
	s_and_saveexec_b32 s12, s11
	s_cbranch_execnz .LBB7_1025
	s_branch .LBB7_1026
.LBB7_1304:
	s_mov_b32 s4, -1
	s_mov_b32 s6, 0
.LBB7_1305:
                                        ; implicit-def: $vgpr9_vgpr10
.LBB7_1306:
	s_and_b32 vcc_lo, exec_lo, s7
	s_cbranch_vccz .LBB7_1310
; %bb.1307:
	s_cmp_eq_u32 s3, 44
	s_cbranch_scc0 .LBB7_1309
; %bb.1308:
	global_load_ubyte v7, v[11:12], off
	s_mov_b32 s4, 0
	s_mov_b32 s6, -1
	s_waitcnt vmcnt(0)
	v_lshlrev_b32_e32 v9, 23, v7
	v_cmp_ne_u32_e32 vcc_lo, 0xff, v7
	v_cvt_f64_f32_e32 v[9:10], v9
	v_cndmask_b32_e32 v9, 0x20000000, v9, vcc_lo
	v_cndmask_b32_e32 v10, 0x7ff80000, v10, vcc_lo
	v_cmp_ne_u32_e32 vcc_lo, 0, v7
	v_cndmask_b32_e32 v10, 0x38000000, v10, vcc_lo
	v_cndmask_b32_e32 v9, 0, v9, vcc_lo
	s_branch .LBB7_1310
.LBB7_1309:
	s_mov_b32 s4, -1
                                        ; implicit-def: $vgpr9_vgpr10
.LBB7_1310:
	s_mov_b32 s7, 0
.LBB7_1311:
	s_and_b32 vcc_lo, exec_lo, s7
	s_cbranch_vccz .LBB7_1315
; %bb.1312:
	s_cmp_eq_u32 s3, 29
	s_cbranch_scc0 .LBB7_1314
; %bb.1313:
	global_load_dwordx2 v[9:10], v[11:12], off
	s_mov_b32 s4, 0
	s_mov_b32 s6, -1
	s_mov_b32 s7, 0
	s_waitcnt vmcnt(0)
	v_cvt_f64_u32_e32 v[17:18], v10
	v_cvt_f64_u32_e32 v[9:10], v9
	v_ldexp_f64 v[17:18], v[17:18], 32
	v_add_f64 v[9:10], v[17:18], v[9:10]
	s_branch .LBB7_1316
.LBB7_1314:
	s_mov_b32 s4, -1
                                        ; implicit-def: $vgpr9_vgpr10
.LBB7_1315:
	s_mov_b32 s7, 0
.LBB7_1316:
	s_and_b32 vcc_lo, exec_lo, s7
	s_cbranch_vccz .LBB7_1336
; %bb.1317:
	s_cmp_lt_i32 s3, 27
	s_cbranch_scc1 .LBB7_1320
; %bb.1318:
	s_cmp_gt_i32 s3, 27
	s_cbranch_scc0 .LBB7_1321
; %bb.1319:
	global_load_dword v7, v[11:12], off
	s_mov_b32 s6, 0
	s_waitcnt vmcnt(0)
	v_cvt_f64_u32_e32 v[9:10], v7
	s_branch .LBB7_1322
.LBB7_1320:
	s_mov_b32 s6, -1
                                        ; implicit-def: $vgpr9_vgpr10
	s_branch .LBB7_1325
.LBB7_1321:
	s_mov_b32 s6, -1
                                        ; implicit-def: $vgpr9_vgpr10
.LBB7_1322:
	s_andn2_b32 vcc_lo, exec_lo, s6
	s_cbranch_vccnz .LBB7_1324
; %bb.1323:
	global_load_ushort v7, v[11:12], off
	s_waitcnt vmcnt(0)
	v_cvt_f64_u32_e32 v[9:10], v7
.LBB7_1324:
	s_mov_b32 s6, 0
.LBB7_1325:
	s_andn2_b32 vcc_lo, exec_lo, s6
	s_cbranch_vccnz .LBB7_1335
; %bb.1326:
	global_load_ubyte v7, v[11:12], off
	s_mov_b32 s6, 0
	s_mov_b32 s7, exec_lo
	s_waitcnt vmcnt(0)
	v_cmpx_lt_i16_e32 0x7f, v7
	s_xor_b32 s7, exec_lo, s7
	s_cbranch_execz .LBB7_1330
; %bb.1327:
	s_mov_b32 s6, -1
	s_mov_b32 s14, exec_lo
	v_cmpx_eq_u16_e32 0x80, v7
; %bb.1328:
	s_xor_b32 s6, exec_lo, -1
; %bb.1329:
	s_or_b32 exec_lo, exec_lo, s14
	s_and_b32 s6, s6, exec_lo
.LBB7_1330:
	s_or_saveexec_b32 s7, s7
	v_bfrev_b32_e32 v9, 4
	v_mov_b32_e32 v10, 0x7ff80000
	s_xor_b32 exec_lo, exec_lo, s7
; %bb.1331:
	v_cmp_ne_u16_e32 vcc_lo, 0, v7
	v_mov_b32_e32 v9, 0
	v_mov_b32_e32 v10, 0
	s_andn2_b32 s6, s6, exec_lo
	s_and_b32 s14, vcc_lo, exec_lo
	s_or_b32 s6, s6, s14
; %bb.1332:
	s_or_b32 exec_lo, exec_lo, s7
	s_and_saveexec_b32 s7, s6
	s_cbranch_execz .LBB7_1334
; %bb.1333:
	v_and_b32_e32 v9, 0xffff, v7
	v_lshlrev_b32_e32 v7, 24, v7
	v_and_b32_e32 v10, 7, v9
	v_bfe_u32 v18, v9, 3, 4
	v_and_b32_e32 v7, 0x80000000, v7
	v_ffbh_u32_e32 v14, v10
	v_cmp_eq_u32_e32 vcc_lo, 0, v18
	v_min_u32_e32 v14, 32, v14
	v_subrev_nc_u32_e32 v17, 28, v14
	v_sub_nc_u32_e32 v14, 29, v14
	v_lshlrev_b32_e32 v9, v17, v9
	v_cndmask_b32_e32 v14, v18, v14, vcc_lo
	v_and_b32_e32 v9, 7, v9
	v_cndmask_b32_e32 v9, v10, v9, vcc_lo
	v_lshl_add_u32 v10, v14, 23, 0x3b800000
	v_lshlrev_b32_e32 v9, 20, v9
	v_or3_b32 v7, v7, v10, v9
	v_cvt_f64_f32_e32 v[9:10], v7
.LBB7_1334:
	s_or_b32 exec_lo, exec_lo, s7
.LBB7_1335:
	s_mov_b32 s6, -1
.LBB7_1336:
	s_branch .LBB7_1367
.LBB7_1337:
	s_cmp_gt_i32 s3, 22
	s_cbranch_scc0 .LBB7_1349
; %bb.1338:
	s_cmp_lt_i32 s3, 24
	s_cbranch_scc1 .LBB7_1350
; %bb.1339:
	s_cmp_gt_i32 s3, 24
	s_cbranch_scc0 .LBB7_1351
; %bb.1340:
	global_load_ubyte v7, v[11:12], off
	s_mov_b32 s6, exec_lo
	s_waitcnt vmcnt(0)
	v_cmpx_lt_i16_e32 0x7f, v7
	s_xor_b32 s6, exec_lo, s6
	s_cbranch_execz .LBB7_1344
; %bb.1341:
	s_mov_b32 s5, -1
	s_mov_b32 s7, exec_lo
	v_cmpx_eq_u16_e32 0x80, v7
; %bb.1342:
	s_xor_b32 s5, exec_lo, -1
; %bb.1343:
	s_or_b32 exec_lo, exec_lo, s7
	s_and_b32 s5, s5, exec_lo
.LBB7_1344:
	s_or_saveexec_b32 s6, s6
	v_bfrev_b32_e32 v9, 4
	v_mov_b32_e32 v10, 0x7ff80000
	s_xor_b32 exec_lo, exec_lo, s6
; %bb.1345:
	v_cmp_ne_u16_e32 vcc_lo, 0, v7
	v_mov_b32_e32 v9, 0
	v_mov_b32_e32 v10, 0
	s_andn2_b32 s5, s5, exec_lo
	s_and_b32 s7, vcc_lo, exec_lo
	s_or_b32 s5, s5, s7
; %bb.1346:
	s_or_b32 exec_lo, exec_lo, s6
	s_and_saveexec_b32 s6, s5
	s_cbranch_execz .LBB7_1348
; %bb.1347:
	v_and_b32_e32 v9, 0xffff, v7
	v_lshlrev_b32_e32 v7, 24, v7
	v_and_b32_e32 v10, 3, v9
	v_bfe_u32 v18, v9, 2, 5
	v_and_b32_e32 v7, 0x80000000, v7
	v_ffbh_u32_e32 v14, v10
	v_cmp_eq_u32_e32 vcc_lo, 0, v18
	v_min_u32_e32 v14, 32, v14
	v_subrev_nc_u32_e32 v17, 29, v14
	v_sub_nc_u32_e32 v14, 30, v14
	v_lshlrev_b32_e32 v9, v17, v9
	v_cndmask_b32_e32 v14, v18, v14, vcc_lo
	v_and_b32_e32 v9, 3, v9
	v_cndmask_b32_e32 v9, v10, v9, vcc_lo
	v_lshl_add_u32 v10, v14, 23, 0x37800000
	v_lshlrev_b32_e32 v9, 21, v9
	v_or3_b32 v7, v7, v10, v9
	v_cvt_f64_f32_e32 v[9:10], v7
.LBB7_1348:
	s_or_b32 exec_lo, exec_lo, s6
	s_mov_b32 s5, 0
	s_branch .LBB7_1352
.LBB7_1349:
	s_mov_b32 s5, -1
                                        ; implicit-def: $vgpr9_vgpr10
	s_branch .LBB7_1358
.LBB7_1350:
	s_mov_b32 s5, -1
                                        ; implicit-def: $vgpr9_vgpr10
	s_branch .LBB7_1355
.LBB7_1351:
	s_mov_b32 s5, -1
                                        ; implicit-def: $vgpr9_vgpr10
.LBB7_1352:
	s_and_b32 vcc_lo, exec_lo, s5
	s_cbranch_vccz .LBB7_1354
; %bb.1353:
	global_load_ubyte v7, v[11:12], off
	s_waitcnt vmcnt(0)
	v_lshlrev_b32_e32 v7, 24, v7
	v_and_b32_e32 v9, 0x7f000000, v7
	v_ffbh_u32_e32 v10, v9
	v_add_nc_u32_e32 v17, 0x1000000, v9
	v_cmp_ne_u32_e32 vcc_lo, 0, v9
	v_min_u32_e32 v10, 32, v10
	v_sub_nc_u32_e64 v10, v10, 4 clamp
	v_lshlrev_b32_e32 v14, v10, v9
	v_lshlrev_b32_e32 v10, 23, v10
	v_lshrrev_b32_e32 v14, 4, v14
	v_sub_nc_u32_e32 v10, v14, v10
	v_ashrrev_i32_e32 v14, 8, v17
	v_add_nc_u32_e32 v10, 0x3c000000, v10
	v_and_or_b32 v10, 0x7f800000, v14, v10
	v_cndmask_b32_e32 v9, 0, v10, vcc_lo
	v_and_or_b32 v7, 0x80000000, v7, v9
	v_cvt_f64_f32_e32 v[9:10], v7
.LBB7_1354:
	s_mov_b32 s5, 0
.LBB7_1355:
	s_andn2_b32 vcc_lo, exec_lo, s5
	s_cbranch_vccnz .LBB7_1357
; %bb.1356:
	global_load_ubyte v7, v[11:12], off
	s_waitcnt vmcnt(0)
	v_lshlrev_b32_e32 v9, 25, v7
	v_lshlrev_b16 v7, 8, v7
	v_lshrrev_b32_e32 v10, 4, v9
	v_and_or_b32 v14, 0x7f00, v7, 0.5
	v_cmp_gt_u32_e32 vcc_lo, 0x8000000, v9
	v_bfe_i32 v7, v7, 0, 16
	v_or_b32_e32 v10, 0x70000000, v10
	v_add_f32_e32 v14, -0.5, v14
	v_mul_f32_e32 v10, 0x7800000, v10
	v_cndmask_b32_e32 v9, v10, v14, vcc_lo
	v_and_or_b32 v7, 0x80000000, v7, v9
	v_cvt_f64_f32_e32 v[9:10], v7
.LBB7_1357:
	s_mov_b32 s5, 0
	s_mov_b32 s6, -1
.LBB7_1358:
	s_andn2_b32 vcc_lo, exec_lo, s5
	s_mov_b32 s5, 0
	s_cbranch_vccnz .LBB7_1367
; %bb.1359:
	s_cmp_gt_i32 s3, 14
	s_cbranch_scc0 .LBB7_1362
; %bb.1360:
	s_cmp_eq_u32 s3, 15
	s_cbranch_scc0 .LBB7_1363
; %bb.1361:
	global_load_ushort v7, v[11:12], off
	s_mov_b32 s4, 0
	s_mov_b32 s6, -1
	s_waitcnt vmcnt(0)
	v_lshlrev_b32_e32 v7, 16, v7
	v_cvt_f64_f32_e32 v[9:10], v7
	s_branch .LBB7_1365
.LBB7_1362:
	s_mov_b32 s5, -1
	s_branch .LBB7_1364
.LBB7_1363:
	s_mov_b32 s4, -1
.LBB7_1364:
                                        ; implicit-def: $vgpr9_vgpr10
.LBB7_1365:
	s_and_b32 vcc_lo, exec_lo, s5
	s_mov_b32 s5, 0
	s_cbranch_vccz .LBB7_1367
; %bb.1366:
	s_cmp_lg_u32 s3, 11
	s_mov_b32 s5, -1
	s_cselect_b32 s4, -1, 0
.LBB7_1367:
	s_and_b32 vcc_lo, exec_lo, s4
	s_cbranch_vccnz .LBB7_1434
; %bb.1368:
	s_andn2_b32 vcc_lo, exec_lo, s5
	s_cbranch_vccnz .LBB7_1370
.LBB7_1369:
	global_load_ubyte v7, v[11:12], off
	v_mov_b32_e32 v9, 0
	s_mov_b32 s6, -1
	s_waitcnt vmcnt(0)
	v_cmp_ne_u16_e32 vcc_lo, 0, v7
	v_cndmask_b32_e64 v10, 0, 0x3ff00000, vcc_lo
.LBB7_1370:
	s_branch .LBB7_1296
.LBB7_1371:
	s_and_b32 s3, 0xffff, s0
	s_cmp_lt_i32 s3, 5
	s_cbranch_scc1 .LBB7_1376
; %bb.1372:
	s_cmp_lt_i32 s3, 8
	s_cbranch_scc1 .LBB7_1377
; %bb.1373:
	;; [unrolled: 3-line block ×3, first 2 shown]
	s_cmp_gt_i32 s3, 9
	s_cbranch_scc0 .LBB7_1379
; %bb.1375:
	global_load_dwordx2 v[9:10], v[11:12], off
	s_mov_b32 s4, 0
	s_branch .LBB7_1380
.LBB7_1376:
                                        ; implicit-def: $vgpr9_vgpr10
	s_branch .LBB7_1398
.LBB7_1377:
	s_mov_b32 s4, -1
                                        ; implicit-def: $vgpr9_vgpr10
	s_branch .LBB7_1386
.LBB7_1378:
	s_mov_b32 s4, -1
                                        ; implicit-def: $vgpr9_vgpr10
	s_branch .LBB7_1383
.LBB7_1379:
	s_mov_b32 s4, -1
                                        ; implicit-def: $vgpr9_vgpr10
.LBB7_1380:
	s_andn2_b32 vcc_lo, exec_lo, s4
	s_cbranch_vccnz .LBB7_1382
; %bb.1381:
	global_load_dword v7, v[11:12], off
	s_waitcnt vmcnt(0)
	v_cvt_f64_f32_e32 v[9:10], v7
.LBB7_1382:
	s_mov_b32 s4, 0
.LBB7_1383:
	s_andn2_b32 vcc_lo, exec_lo, s4
	s_cbranch_vccnz .LBB7_1385
; %bb.1384:
	global_load_dword v7, v[11:12], off
	s_waitcnt vmcnt(0)
	v_cvt_f32_f16_e32 v7, v7
	v_cvt_f64_f32_e32 v[9:10], v7
.LBB7_1385:
	s_mov_b32 s4, 0
.LBB7_1386:
	s_andn2_b32 vcc_lo, exec_lo, s4
	s_cbranch_vccnz .LBB7_1397
; %bb.1387:
	s_cmp_lt_i32 s3, 6
	s_cbranch_scc1 .LBB7_1390
; %bb.1388:
	s_cmp_gt_i32 s3, 6
	s_cbranch_scc0 .LBB7_1391
; %bb.1389:
	global_load_dwordx2 v[9:10], v[11:12], off
	s_mov_b32 s4, 0
	s_branch .LBB7_1392
.LBB7_1390:
	s_mov_b32 s4, -1
                                        ; implicit-def: $vgpr9_vgpr10
	s_branch .LBB7_1395
.LBB7_1391:
	s_mov_b32 s4, -1
                                        ; implicit-def: $vgpr9_vgpr10
.LBB7_1392:
	s_andn2_b32 vcc_lo, exec_lo, s4
	s_cbranch_vccnz .LBB7_1394
; %bb.1393:
	global_load_dword v7, v[11:12], off
	s_waitcnt vmcnt(0)
	v_cvt_f64_f32_e32 v[9:10], v7
.LBB7_1394:
	s_mov_b32 s4, 0
.LBB7_1395:
	s_andn2_b32 vcc_lo, exec_lo, s4
	s_cbranch_vccnz .LBB7_1397
; %bb.1396:
	global_load_ushort v7, v[11:12], off
	s_waitcnt vmcnt(0)
	v_cvt_f32_f16_e32 v7, v7
	v_cvt_f64_f32_e32 v[9:10], v7
.LBB7_1397:
	s_cbranch_execnz .LBB7_1417
.LBB7_1398:
	s_cmp_lt_i32 s3, 2
	s_cbranch_scc1 .LBB7_1402
; %bb.1399:
	s_cmp_lt_i32 s3, 3
	s_cbranch_scc1 .LBB7_1403
; %bb.1400:
	s_cmp_gt_i32 s3, 3
	s_cbranch_scc0 .LBB7_1404
; %bb.1401:
	global_load_dwordx2 v[9:10], v[11:12], off
	s_mov_b32 s4, 0
	s_waitcnt vmcnt(0)
	v_cvt_f64_i32_e32 v[17:18], v10
	v_cvt_f64_u32_e32 v[9:10], v9
	v_ldexp_f64 v[17:18], v[17:18], 32
	v_add_f64 v[9:10], v[17:18], v[9:10]
	s_branch .LBB7_1405
.LBB7_1402:
	s_mov_b32 s4, -1
                                        ; implicit-def: $vgpr9_vgpr10
	s_branch .LBB7_1411
.LBB7_1403:
	s_mov_b32 s4, -1
                                        ; implicit-def: $vgpr9_vgpr10
	s_branch .LBB7_1408
.LBB7_1404:
	s_mov_b32 s4, -1
                                        ; implicit-def: $vgpr9_vgpr10
.LBB7_1405:
	s_andn2_b32 vcc_lo, exec_lo, s4
	s_cbranch_vccnz .LBB7_1407
; %bb.1406:
	global_load_dword v7, v[11:12], off
	s_waitcnt vmcnt(0)
	v_cvt_f64_i32_e32 v[9:10], v7
.LBB7_1407:
	s_mov_b32 s4, 0
.LBB7_1408:
	s_andn2_b32 vcc_lo, exec_lo, s4
	s_cbranch_vccnz .LBB7_1410
; %bb.1409:
	global_load_sshort v7, v[11:12], off
	s_waitcnt vmcnt(0)
	v_cvt_f64_i32_e32 v[9:10], v7
.LBB7_1410:
	s_mov_b32 s4, 0
.LBB7_1411:
	s_andn2_b32 vcc_lo, exec_lo, s4
	s_cbranch_vccnz .LBB7_1417
; %bb.1412:
	s_cmp_gt_i32 s3, 0
	s_mov_b32 s3, 0
	s_cbranch_scc0 .LBB7_1414
; %bb.1413:
	global_load_sbyte v7, v[11:12], off
	s_waitcnt vmcnt(0)
	v_cvt_f64_i32_e32 v[9:10], v7
	s_branch .LBB7_1415
.LBB7_1414:
	s_mov_b32 s3, -1
                                        ; implicit-def: $vgpr9_vgpr10
.LBB7_1415:
	s_andn2_b32 vcc_lo, exec_lo, s3
	s_cbranch_vccnz .LBB7_1417
; %bb.1416:
	global_load_ubyte v7, v[11:12], off
	s_waitcnt vmcnt(0)
	v_cvt_f64_u32_e32 v[9:10], v7
.LBB7_1417:
.LBB7_1418:
	s_waitcnt vmcnt(0)
	v_cmp_ngt_f64_e64 s3, 0x41d00000, |v[9:10]|
                                        ; implicit-def: $vgpr7
                                        ; implicit-def: $vgpr17_vgpr18
                                        ; implicit-def: $vgpr23_vgpr24
	s_and_saveexec_b32 s4, s3
	s_xor_b32 s3, exec_lo, s4
	s_cbranch_execz .LBB7_1420
; %bb.1419:
	v_ldexp_f64 v[11:12], |v[9:10]|, 0xffffff80
	v_cmp_le_f64_e64 vcc_lo, 0x7b000000, |v[9:10]|
	v_trig_preop_f64 v[17:18], |v[9:10]|, 0
	v_and_b32_e32 v7, 0x7fffffff, v10
	v_trig_preop_f64 v[19:20], |v[9:10]|, 1
	v_trig_preop_f64 v[31:32], |v[9:10]|, 2
	v_mov_b32_e32 v39, 0
	s_mov_b32 s4, 0x54442d18
	s_mov_b32 s5, 0x3ff921fb
	;; [unrolled: 1-line block ×4, first 2 shown]
	v_cndmask_b32_e32 v12, v7, v12, vcc_lo
	v_cndmask_b32_e32 v11, v9, v11, vcc_lo
	v_mul_f64 v[23:24], v[17:18], v[11:12]
	v_mul_f64 v[25:26], v[19:20], v[11:12]
	;; [unrolled: 1-line block ×3, first 2 shown]
	v_fma_f64 v[17:18], v[17:18], v[11:12], -v[23:24]
	v_fma_f64 v[19:20], v[19:20], v[11:12], -v[25:26]
	;; [unrolled: 1-line block ×3, first 2 shown]
	v_add_f64 v[27:28], v[25:26], v[17:18]
	v_add_f64 v[29:30], v[27:28], -v[25:26]
	v_add_f64 v[35:36], v[23:24], v[27:28]
	v_add_f64 v[33:34], v[27:28], -v[29:30]
	v_add_f64 v[17:18], v[17:18], -v[29:30]
	v_ldexp_f64 v[29:30], v[35:36], -2
	v_add_f64 v[23:24], v[35:36], -v[23:24]
	v_add_f64 v[25:26], v[25:26], -v[33:34]
	v_add_f64 v[33:34], v[37:38], v[19:20]
	v_cmp_neq_f64_e64 vcc_lo, 0x7ff00000, |v[29:30]|
	v_add_f64 v[23:24], v[27:28], -v[23:24]
	v_add_f64 v[17:18], v[17:18], v[25:26]
	v_fract_f64_e32 v[25:26], v[29:30]
	v_add_f64 v[27:28], v[33:34], v[17:18]
	v_ldexp_f64 v[25:26], v[25:26], 2
	v_add_f64 v[29:30], v[23:24], v[27:28]
	v_cndmask_b32_e32 v26, 0, v26, vcc_lo
	v_cndmask_b32_e32 v25, 0, v25, vcc_lo
	v_add_f64 v[35:36], v[29:30], v[25:26]
	v_add_f64 v[23:24], v[29:30], -v[23:24]
	v_cmp_gt_f64_e32 vcc_lo, 0, v[35:36]
	v_add_f64 v[35:36], v[33:34], -v[37:38]
	v_add_f64 v[23:24], v[27:28], -v[23:24]
	v_cndmask_b32_e64 v40, 0, 0x40100000, vcc_lo
	v_add_f64 v[44:45], v[33:34], -v[35:36]
	v_add_f64 v[19:20], v[19:20], -v[35:36]
	v_add_f64 v[25:26], v[25:26], v[39:40]
	v_add_f64 v[40:41], v[27:28], -v[33:34]
	v_add_f64 v[35:36], v[37:38], -v[44:45]
	v_add_f64 v[42:43], v[29:30], v[25:26]
	;; [unrolled: 3-line block ×3, first 2 shown]
	v_cvt_i32_f64_e32 v7, v[42:43]
	v_add_f64 v[33:34], v[33:34], -v[46:47]
	v_cvt_f64_i32_e32 v[40:41], v7
	v_add_f64 v[17:18], v[17:18], v[33:34]
	v_add_f64 v[25:26], v[25:26], -v[40:41]
	v_add_f64 v[17:18], v[19:20], v[17:18]
	v_add_f64 v[19:20], v[29:30], v[25:26]
	;; [unrolled: 1-line block ×3, first 2 shown]
	v_add_f64 v[17:18], v[19:20], -v[25:26]
	v_cmp_le_f64_e32 vcc_lo, 0.5, v[19:20]
	v_add_f64 v[11:12], v[23:24], v[11:12]
	v_add_f64 v[17:18], v[29:30], -v[17:18]
	v_cndmask_b32_e64 v40, 0, 0x3ff00000, vcc_lo
	v_add_co_ci_u32_e64 v7, null, 0, v7, vcc_lo
	v_add_f64 v[11:12], v[11:12], v[17:18]
	v_add_f64 v[17:18], v[19:20], -v[39:40]
	v_add_f64 v[19:20], v[17:18], v[11:12]
	v_mul_f64 v[23:24], v[19:20], s[4:5]
	v_add_f64 v[17:18], v[19:20], -v[17:18]
	v_fma_f64 v[25:26], v[19:20], s[4:5], -v[23:24]
	v_add_f64 v[11:12], v[11:12], -v[17:18]
	v_fma_f64 v[17:18], v[19:20], s[6:7], v[25:26]
	v_fma_f64 v[11:12], v[11:12], s[4:5], v[17:18]
	v_add_f64 v[17:18], v[23:24], v[11:12]
	v_add_f64 v[19:20], v[17:18], -v[23:24]
	v_add_f64 v[23:24], v[11:12], -v[19:20]
.LBB7_1420:
	s_andn2_saveexec_b32 s3, s3
	s_cbranch_execz .LBB7_1422
; %bb.1421:
	s_mov_b32 s4, 0x6dc9c883
	s_mov_b32 s5, 0x3fe45f30
	;; [unrolled: 1-line block ×3, first 2 shown]
	v_mul_f64 v[11:12], |v[9:10]|, s[4:5]
	s_mov_b32 s4, 0x54442d18
	s_mov_b32 s5, 0xbff921fb
	;; [unrolled: 1-line block ×3, first 2 shown]
	v_rndne_f64_e32 v[11:12], v[11:12]
	v_fma_f64 v[17:18], v[11:12], s[4:5], |v[9:10]|
	v_mul_f64 v[19:20], v[11:12], s[6:7]
	s_mov_b32 s4, 0x252049c0
	s_mov_b32 s5, 0xb97b839a
	v_cvt_i32_f64_e32 v7, v[11:12]
	v_fma_f64 v[25:26], v[11:12], s[6:7], v[17:18]
	v_add_f64 v[23:24], v[17:18], v[19:20]
	s_mov_b32 s7, 0x3c91a626
	v_add_f64 v[17:18], v[17:18], -v[23:24]
	v_add_f64 v[23:24], v[23:24], -v[25:26]
	v_add_f64 v[17:18], v[17:18], v[19:20]
	v_fma_f64 v[19:20], v[11:12], s[6:7], v[19:20]
	v_add_f64 v[17:18], v[23:24], v[17:18]
	v_add_f64 v[17:18], v[17:18], -v[19:20]
	v_fma_f64 v[19:20], v[11:12], s[4:5], v[17:18]
	v_add_f64 v[17:18], v[25:26], v[19:20]
	v_add_f64 v[23:24], v[17:18], -v[25:26]
	v_add_f64 v[23:24], v[19:20], -v[23:24]
.LBB7_1422:
	s_or_b32 exec_lo, exec_lo, s3
	v_add_co_u32 v19, s3, s10, v3
	v_add_co_ci_u32_e64 v20, null, s11, 0, s3
	s_cmp_lt_i32 s0, 11
	s_cbranch_scc1 .LBB7_1429
; %bb.1423:
	s_and_b32 s3, 0xffff, s0
	s_mov_b32 s5, 0
	s_cmp_gt_i32 s3, 25
	s_cbranch_scc0 .LBB7_1431
; %bb.1424:
	s_cmp_gt_i32 s3, 28
	s_cbranch_scc0 .LBB7_1432
; %bb.1425:
	;; [unrolled: 3-line block ×4, first 2 shown]
	s_cmp_eq_u32 s3, 46
	s_mov_b32 s7, 0
	s_cbranch_scc0 .LBB7_1436
; %bb.1428:
	global_load_dword v3, v[19:20], off
	s_mov_b32 s4, 0
	s_mov_b32 s6, -1
	s_waitcnt vmcnt(0)
	v_lshlrev_b32_e32 v3, 16, v3
	v_cvt_f64_f32_e32 v[11:12], v3
	s_branch .LBB7_1438
.LBB7_1429:
	s_mov_b32 s6, 0
                                        ; implicit-def: $vgpr11_vgpr12
	s_cbranch_execnz .LBB7_1504
.LBB7_1430:
	s_andn2_b32 vcc_lo, exec_lo, s6
	s_cbranch_vccz .LBB7_1552
	s_branch .LBB7_2121
.LBB7_1431:
	s_mov_b32 s7, -1
	s_mov_b32 s6, 0
	s_mov_b32 s4, 0
                                        ; implicit-def: $vgpr11_vgpr12
	s_branch .LBB7_1469
.LBB7_1432:
	s_mov_b32 s7, -1
	s_mov_b32 s6, 0
	s_mov_b32 s4, 0
                                        ; implicit-def: $vgpr11_vgpr12
	s_branch .LBB7_1448
.LBB7_1433:
	s_mov_b32 s7, -1
	s_mov_b32 s6, 0
	s_mov_b32 s4, 0
                                        ; implicit-def: $vgpr11_vgpr12
	s_branch .LBB7_1443
.LBB7_1434:
	s_or_b32 s1, s1, exec_lo
	s_trap 2
	s_cbranch_execz .LBB7_1369
	s_branch .LBB7_1370
.LBB7_1435:
	s_mov_b32 s7, -1
	s_mov_b32 s6, 0
	s_mov_b32 s4, 0
	s_branch .LBB7_1437
.LBB7_1436:
	s_mov_b32 s4, -1
	s_mov_b32 s6, 0
.LBB7_1437:
                                        ; implicit-def: $vgpr11_vgpr12
.LBB7_1438:
	s_and_b32 vcc_lo, exec_lo, s7
	s_cbranch_vccz .LBB7_1442
; %bb.1439:
	s_cmp_eq_u32 s3, 44
	s_cbranch_scc0 .LBB7_1441
; %bb.1440:
	global_load_ubyte v3, v[19:20], off
	s_mov_b32 s4, 0
	s_mov_b32 s6, -1
	s_waitcnt vmcnt(0)
	v_lshlrev_b32_e32 v11, 23, v3
	v_cmp_ne_u32_e32 vcc_lo, 0xff, v3
	v_cvt_f64_f32_e32 v[11:12], v11
	v_cndmask_b32_e32 v11, 0x20000000, v11, vcc_lo
	v_cndmask_b32_e32 v12, 0x7ff80000, v12, vcc_lo
	v_cmp_ne_u32_e32 vcc_lo, 0, v3
	v_cndmask_b32_e32 v12, 0x38000000, v12, vcc_lo
	v_cndmask_b32_e32 v11, 0, v11, vcc_lo
	s_branch .LBB7_1442
.LBB7_1441:
	s_mov_b32 s4, -1
                                        ; implicit-def: $vgpr11_vgpr12
.LBB7_1442:
	s_mov_b32 s7, 0
.LBB7_1443:
	s_and_b32 vcc_lo, exec_lo, s7
	s_cbranch_vccz .LBB7_1447
; %bb.1444:
	s_cmp_eq_u32 s3, 29
	s_cbranch_scc0 .LBB7_1446
; %bb.1445:
	global_load_dwordx2 v[11:12], v[19:20], off
	s_mov_b32 s4, 0
	s_mov_b32 s6, -1
	s_mov_b32 s7, 0
	s_waitcnt vmcnt(0)
	v_cvt_f64_u32_e32 v[25:26], v12
	v_cvt_f64_u32_e32 v[11:12], v11
	v_ldexp_f64 v[25:26], v[25:26], 32
	v_add_f64 v[11:12], v[25:26], v[11:12]
	s_branch .LBB7_1448
.LBB7_1446:
	s_mov_b32 s4, -1
                                        ; implicit-def: $vgpr11_vgpr12
.LBB7_1447:
	s_mov_b32 s7, 0
.LBB7_1448:
	s_and_b32 vcc_lo, exec_lo, s7
	s_cbranch_vccz .LBB7_1468
; %bb.1449:
	s_cmp_lt_i32 s3, 27
	s_cbranch_scc1 .LBB7_1452
; %bb.1450:
	s_cmp_gt_i32 s3, 27
	s_cbranch_scc0 .LBB7_1453
; %bb.1451:
	global_load_dword v3, v[19:20], off
	s_mov_b32 s6, 0
	s_waitcnt vmcnt(0)
	v_cvt_f64_u32_e32 v[11:12], v3
	s_branch .LBB7_1454
.LBB7_1452:
	s_mov_b32 s6, -1
                                        ; implicit-def: $vgpr11_vgpr12
	s_branch .LBB7_1457
.LBB7_1453:
	s_mov_b32 s6, -1
                                        ; implicit-def: $vgpr11_vgpr12
.LBB7_1454:
	s_andn2_b32 vcc_lo, exec_lo, s6
	s_cbranch_vccnz .LBB7_1456
; %bb.1455:
	global_load_ushort v3, v[19:20], off
	s_waitcnt vmcnt(0)
	v_cvt_f64_u32_e32 v[11:12], v3
.LBB7_1456:
	s_mov_b32 s6, 0
.LBB7_1457:
	s_andn2_b32 vcc_lo, exec_lo, s6
	s_cbranch_vccnz .LBB7_1467
; %bb.1458:
	global_load_ubyte v3, v[19:20], off
	s_mov_b32 s6, 0
	s_mov_b32 s7, exec_lo
	s_waitcnt vmcnt(0)
	v_cmpx_lt_i16_e32 0x7f, v3
	s_xor_b32 s7, exec_lo, s7
	s_cbranch_execz .LBB7_1462
; %bb.1459:
	s_mov_b32 s6, -1
	s_mov_b32 s14, exec_lo
	v_cmpx_eq_u16_e32 0x80, v3
; %bb.1460:
	s_xor_b32 s6, exec_lo, -1
; %bb.1461:
	s_or_b32 exec_lo, exec_lo, s14
	s_and_b32 s6, s6, exec_lo
.LBB7_1462:
	s_or_saveexec_b32 s7, s7
	v_bfrev_b32_e32 v11, 4
	v_mov_b32_e32 v12, 0x7ff80000
	s_xor_b32 exec_lo, exec_lo, s7
; %bb.1463:
	v_cmp_ne_u16_e32 vcc_lo, 0, v3
	v_mov_b32_e32 v11, 0
	v_mov_b32_e32 v12, 0
	s_andn2_b32 s6, s6, exec_lo
	s_and_b32 s14, vcc_lo, exec_lo
	s_or_b32 s6, s6, s14
; %bb.1464:
	s_or_b32 exec_lo, exec_lo, s7
	s_and_saveexec_b32 s7, s6
	s_cbranch_execz .LBB7_1466
; %bb.1465:
	v_and_b32_e32 v11, 0xffff, v3
	v_lshlrev_b32_e32 v3, 24, v3
	v_and_b32_e32 v12, 7, v11
	v_bfe_u32 v26, v11, 3, 4
	v_and_b32_e32 v3, 0x80000000, v3
	v_ffbh_u32_e32 v14, v12
	v_cmp_eq_u32_e32 vcc_lo, 0, v26
	v_min_u32_e32 v14, 32, v14
	v_subrev_nc_u32_e32 v25, 28, v14
	v_sub_nc_u32_e32 v14, 29, v14
	v_lshlrev_b32_e32 v11, v25, v11
	v_cndmask_b32_e32 v14, v26, v14, vcc_lo
	v_and_b32_e32 v11, 7, v11
	v_cndmask_b32_e32 v11, v12, v11, vcc_lo
	v_lshl_add_u32 v12, v14, 23, 0x3b800000
	v_lshlrev_b32_e32 v11, 20, v11
	v_or3_b32 v3, v3, v12, v11
	v_cvt_f64_f32_e32 v[11:12], v3
.LBB7_1466:
	s_or_b32 exec_lo, exec_lo, s7
.LBB7_1467:
	s_mov_b32 s6, -1
.LBB7_1468:
	s_mov_b32 s7, 0
.LBB7_1469:
	s_and_b32 vcc_lo, exec_lo, s7
	s_cbranch_vccz .LBB7_1500
; %bb.1470:
	s_cmp_gt_i32 s3, 22
	s_cbranch_scc0 .LBB7_1482
; %bb.1471:
	s_cmp_lt_i32 s3, 24
	s_cbranch_scc1 .LBB7_1483
; %bb.1472:
	s_cmp_gt_i32 s3, 24
	s_cbranch_scc0 .LBB7_1484
; %bb.1473:
	global_load_ubyte v3, v[19:20], off
	s_mov_b32 s6, exec_lo
	s_waitcnt vmcnt(0)
	v_cmpx_lt_i16_e32 0x7f, v3
	s_xor_b32 s6, exec_lo, s6
	s_cbranch_execz .LBB7_1477
; %bb.1474:
	s_mov_b32 s5, -1
	s_mov_b32 s7, exec_lo
	v_cmpx_eq_u16_e32 0x80, v3
; %bb.1475:
	s_xor_b32 s5, exec_lo, -1
; %bb.1476:
	s_or_b32 exec_lo, exec_lo, s7
	s_and_b32 s5, s5, exec_lo
.LBB7_1477:
	s_or_saveexec_b32 s6, s6
	v_bfrev_b32_e32 v11, 4
	v_mov_b32_e32 v12, 0x7ff80000
	s_xor_b32 exec_lo, exec_lo, s6
; %bb.1478:
	v_cmp_ne_u16_e32 vcc_lo, 0, v3
	v_mov_b32_e32 v11, 0
	v_mov_b32_e32 v12, 0
	s_andn2_b32 s5, s5, exec_lo
	s_and_b32 s7, vcc_lo, exec_lo
	s_or_b32 s5, s5, s7
; %bb.1479:
	s_or_b32 exec_lo, exec_lo, s6
	s_and_saveexec_b32 s6, s5
	s_cbranch_execz .LBB7_1481
; %bb.1480:
	v_and_b32_e32 v11, 0xffff, v3
	v_lshlrev_b32_e32 v3, 24, v3
	v_and_b32_e32 v12, 3, v11
	v_bfe_u32 v26, v11, 2, 5
	v_and_b32_e32 v3, 0x80000000, v3
	v_ffbh_u32_e32 v14, v12
	v_cmp_eq_u32_e32 vcc_lo, 0, v26
	v_min_u32_e32 v14, 32, v14
	v_subrev_nc_u32_e32 v25, 29, v14
	v_sub_nc_u32_e32 v14, 30, v14
	v_lshlrev_b32_e32 v11, v25, v11
	v_cndmask_b32_e32 v14, v26, v14, vcc_lo
	v_and_b32_e32 v11, 3, v11
	v_cndmask_b32_e32 v11, v12, v11, vcc_lo
	v_lshl_add_u32 v12, v14, 23, 0x37800000
	v_lshlrev_b32_e32 v11, 21, v11
	v_or3_b32 v3, v3, v12, v11
	v_cvt_f64_f32_e32 v[11:12], v3
.LBB7_1481:
	s_or_b32 exec_lo, exec_lo, s6
	s_mov_b32 s5, 0
	s_branch .LBB7_1485
.LBB7_1482:
	s_mov_b32 s5, -1
                                        ; implicit-def: $vgpr11_vgpr12
	s_branch .LBB7_1491
.LBB7_1483:
	s_mov_b32 s5, -1
                                        ; implicit-def: $vgpr11_vgpr12
	s_branch .LBB7_1488
.LBB7_1484:
	s_mov_b32 s5, -1
                                        ; implicit-def: $vgpr11_vgpr12
.LBB7_1485:
	s_and_b32 vcc_lo, exec_lo, s5
	s_cbranch_vccz .LBB7_1487
; %bb.1486:
	global_load_ubyte v3, v[19:20], off
	s_waitcnt vmcnt(0)
	v_lshlrev_b32_e32 v3, 24, v3
	v_and_b32_e32 v11, 0x7f000000, v3
	v_ffbh_u32_e32 v12, v11
	v_add_nc_u32_e32 v25, 0x1000000, v11
	v_cmp_ne_u32_e32 vcc_lo, 0, v11
	v_min_u32_e32 v12, 32, v12
	v_sub_nc_u32_e64 v12, v12, 4 clamp
	v_lshlrev_b32_e32 v14, v12, v11
	v_lshlrev_b32_e32 v12, 23, v12
	v_lshrrev_b32_e32 v14, 4, v14
	v_sub_nc_u32_e32 v12, v14, v12
	v_ashrrev_i32_e32 v14, 8, v25
	v_add_nc_u32_e32 v12, 0x3c000000, v12
	v_and_or_b32 v12, 0x7f800000, v14, v12
	v_cndmask_b32_e32 v11, 0, v12, vcc_lo
	v_and_or_b32 v3, 0x80000000, v3, v11
	v_cvt_f64_f32_e32 v[11:12], v3
.LBB7_1487:
	s_mov_b32 s5, 0
.LBB7_1488:
	s_andn2_b32 vcc_lo, exec_lo, s5
	s_cbranch_vccnz .LBB7_1490
; %bb.1489:
	global_load_ubyte v3, v[19:20], off
	s_waitcnt vmcnt(0)
	v_lshlrev_b32_e32 v11, 25, v3
	v_lshlrev_b16 v3, 8, v3
	v_lshrrev_b32_e32 v12, 4, v11
	v_and_or_b32 v14, 0x7f00, v3, 0.5
	v_cmp_gt_u32_e32 vcc_lo, 0x8000000, v11
	v_bfe_i32 v3, v3, 0, 16
	v_or_b32_e32 v12, 0x70000000, v12
	v_add_f32_e32 v14, -0.5, v14
	v_mul_f32_e32 v12, 0x7800000, v12
	v_cndmask_b32_e32 v11, v12, v14, vcc_lo
	v_and_or_b32 v3, 0x80000000, v3, v11
	v_cvt_f64_f32_e32 v[11:12], v3
.LBB7_1490:
	s_mov_b32 s5, 0
	s_mov_b32 s6, -1
.LBB7_1491:
	s_andn2_b32 vcc_lo, exec_lo, s5
	s_mov_b32 s5, 0
	s_cbranch_vccnz .LBB7_1500
; %bb.1492:
	s_cmp_gt_i32 s3, 14
	s_cbranch_scc0 .LBB7_1495
; %bb.1493:
	s_cmp_eq_u32 s3, 15
	s_cbranch_scc0 .LBB7_1496
; %bb.1494:
	global_load_ushort v3, v[19:20], off
	s_mov_b32 s4, 0
	s_mov_b32 s6, -1
	s_waitcnt vmcnt(0)
	v_lshlrev_b32_e32 v3, 16, v3
	v_cvt_f64_f32_e32 v[11:12], v3
	s_branch .LBB7_1498
.LBB7_1495:
	s_mov_b32 s5, -1
	s_branch .LBB7_1497
.LBB7_1496:
	s_mov_b32 s4, -1
.LBB7_1497:
                                        ; implicit-def: $vgpr11_vgpr12
.LBB7_1498:
	s_and_b32 vcc_lo, exec_lo, s5
	s_mov_b32 s5, 0
	s_cbranch_vccz .LBB7_1500
; %bb.1499:
	s_cmp_lg_u32 s3, 11
	s_mov_b32 s5, -1
	s_cselect_b32 s4, -1, 0
.LBB7_1500:
	s_and_b32 vcc_lo, exec_lo, s4
	s_cbranch_vccnz .LBB7_1567
; %bb.1501:
	s_andn2_b32 vcc_lo, exec_lo, s5
	s_cbranch_vccnz .LBB7_1503
.LBB7_1502:
	global_load_ubyte v3, v[19:20], off
	v_mov_b32_e32 v11, 0
	s_mov_b32 s6, -1
	s_waitcnt vmcnt(0)
	v_cmp_ne_u16_e32 vcc_lo, 0, v3
	v_cndmask_b32_e64 v12, 0, 0x3ff00000, vcc_lo
.LBB7_1503:
	s_branch .LBB7_1430
.LBB7_1504:
	s_and_b32 s3, 0xffff, s0
	s_cmp_lt_i32 s3, 5
	s_cbranch_scc1 .LBB7_1509
; %bb.1505:
	s_cmp_lt_i32 s3, 8
	s_cbranch_scc1 .LBB7_1510
; %bb.1506:
	;; [unrolled: 3-line block ×3, first 2 shown]
	s_cmp_gt_i32 s3, 9
	s_cbranch_scc0 .LBB7_1512
; %bb.1508:
	global_load_dwordx2 v[11:12], v[19:20], off
	s_mov_b32 s4, 0
	s_branch .LBB7_1513
.LBB7_1509:
	s_mov_b32 s4, -1
                                        ; implicit-def: $vgpr11_vgpr12
	s_branch .LBB7_1531
.LBB7_1510:
	s_mov_b32 s4, -1
                                        ; implicit-def: $vgpr11_vgpr12
	s_branch .LBB7_1519
.LBB7_1511:
	s_mov_b32 s4, -1
                                        ; implicit-def: $vgpr11_vgpr12
	s_branch .LBB7_1516
.LBB7_1512:
	s_mov_b32 s4, -1
                                        ; implicit-def: $vgpr11_vgpr12
.LBB7_1513:
	s_andn2_b32 vcc_lo, exec_lo, s4
	s_cbranch_vccnz .LBB7_1515
; %bb.1514:
	global_load_dword v3, v[19:20], off
	s_waitcnt vmcnt(0)
	v_cvt_f64_f32_e32 v[11:12], v3
.LBB7_1515:
	s_mov_b32 s4, 0
.LBB7_1516:
	s_andn2_b32 vcc_lo, exec_lo, s4
	s_cbranch_vccnz .LBB7_1518
; %bb.1517:
	global_load_dword v3, v[19:20], off
	s_waitcnt vmcnt(0)
	v_cvt_f32_f16_e32 v3, v3
	v_cvt_f64_f32_e32 v[11:12], v3
.LBB7_1518:
	s_mov_b32 s4, 0
.LBB7_1519:
	s_andn2_b32 vcc_lo, exec_lo, s4
	s_cbranch_vccnz .LBB7_1530
; %bb.1520:
	s_cmp_lt_i32 s3, 6
	s_cbranch_scc1 .LBB7_1523
; %bb.1521:
	s_cmp_gt_i32 s3, 6
	s_cbranch_scc0 .LBB7_1524
; %bb.1522:
	global_load_dwordx2 v[11:12], v[19:20], off
	s_mov_b32 s4, 0
	s_branch .LBB7_1525
.LBB7_1523:
	s_mov_b32 s4, -1
                                        ; implicit-def: $vgpr11_vgpr12
	s_branch .LBB7_1528
.LBB7_1524:
	s_mov_b32 s4, -1
                                        ; implicit-def: $vgpr11_vgpr12
.LBB7_1525:
	s_andn2_b32 vcc_lo, exec_lo, s4
	s_cbranch_vccnz .LBB7_1527
; %bb.1526:
	global_load_dword v3, v[19:20], off
	s_waitcnt vmcnt(0)
	v_cvt_f64_f32_e32 v[11:12], v3
.LBB7_1527:
	s_mov_b32 s4, 0
.LBB7_1528:
	s_andn2_b32 vcc_lo, exec_lo, s4
	s_cbranch_vccnz .LBB7_1530
; %bb.1529:
	global_load_ushort v3, v[19:20], off
	s_waitcnt vmcnt(0)
	v_cvt_f32_f16_e32 v3, v3
	v_cvt_f64_f32_e32 v[11:12], v3
.LBB7_1530:
	s_mov_b32 s4, 0
.LBB7_1531:
	s_andn2_b32 vcc_lo, exec_lo, s4
	s_cbranch_vccnz .LBB7_1551
; %bb.1532:
	s_cmp_lt_i32 s3, 2
	s_cbranch_scc1 .LBB7_1536
; %bb.1533:
	s_cmp_lt_i32 s3, 3
	s_cbranch_scc1 .LBB7_1537
; %bb.1534:
	s_cmp_gt_i32 s3, 3
	s_cbranch_scc0 .LBB7_1538
; %bb.1535:
	global_load_dwordx2 v[11:12], v[19:20], off
	s_mov_b32 s4, 0
	s_waitcnt vmcnt(0)
	v_cvt_f64_i32_e32 v[25:26], v12
	v_cvt_f64_u32_e32 v[11:12], v11
	v_ldexp_f64 v[25:26], v[25:26], 32
	v_add_f64 v[11:12], v[25:26], v[11:12]
	s_branch .LBB7_1539
.LBB7_1536:
	s_mov_b32 s4, -1
                                        ; implicit-def: $vgpr11_vgpr12
	s_branch .LBB7_1545
.LBB7_1537:
	s_mov_b32 s4, -1
                                        ; implicit-def: $vgpr11_vgpr12
	s_branch .LBB7_1542
.LBB7_1538:
	s_mov_b32 s4, -1
                                        ; implicit-def: $vgpr11_vgpr12
.LBB7_1539:
	s_andn2_b32 vcc_lo, exec_lo, s4
	s_cbranch_vccnz .LBB7_1541
; %bb.1540:
	global_load_dword v3, v[19:20], off
	s_waitcnt vmcnt(0)
	v_cvt_f64_i32_e32 v[11:12], v3
.LBB7_1541:
	s_mov_b32 s4, 0
.LBB7_1542:
	s_andn2_b32 vcc_lo, exec_lo, s4
	s_cbranch_vccnz .LBB7_1544
; %bb.1543:
	global_load_sshort v3, v[19:20], off
	s_waitcnt vmcnt(0)
	v_cvt_f64_i32_e32 v[11:12], v3
.LBB7_1544:
	s_mov_b32 s4, 0
.LBB7_1545:
	s_andn2_b32 vcc_lo, exec_lo, s4
	s_cbranch_vccnz .LBB7_1551
; %bb.1546:
	s_cmp_gt_i32 s3, 0
	s_mov_b32 s3, 0
	s_cbranch_scc0 .LBB7_1548
; %bb.1547:
	global_load_sbyte v3, v[19:20], off
	s_waitcnt vmcnt(0)
	v_cvt_f64_i32_e32 v[11:12], v3
	s_branch .LBB7_1549
.LBB7_1548:
	s_mov_b32 s3, -1
                                        ; implicit-def: $vgpr11_vgpr12
.LBB7_1549:
	s_andn2_b32 vcc_lo, exec_lo, s3
	s_cbranch_vccnz .LBB7_1551
; %bb.1550:
	global_load_ubyte v3, v[19:20], off
	s_waitcnt vmcnt(0)
	v_cvt_f64_u32_e32 v[11:12], v3
.LBB7_1551:
.LBB7_1552:
	s_waitcnt vmcnt(0)
	v_cmp_ngt_f64_e64 s3, 0x41d00000, |v[11:12]|
                                        ; implicit-def: $vgpr31
                                        ; implicit-def: $vgpr19_vgpr20
                                        ; implicit-def: $vgpr27_vgpr28
	s_and_saveexec_b32 s4, s3
	s_xor_b32 s3, exec_lo, s4
	s_cbranch_execz .LBB7_1554
; %bb.1553:
	v_ldexp_f64 v[19:20], |v[11:12]|, 0xffffff80
	v_cmp_le_f64_e64 vcc_lo, 0x7b000000, |v[11:12]|
	v_trig_preop_f64 v[25:26], |v[11:12]|, 0
	v_and_b32_e32 v3, 0x7fffffff, v12
	v_trig_preop_f64 v[27:28], |v[11:12]|, 1
	v_trig_preop_f64 v[37:38], |v[11:12]|, 2
	v_mov_b32_e32 v45, 0
	s_mov_b32 s4, 0x54442d18
	s_mov_b32 s5, 0x3ff921fb
	;; [unrolled: 1-line block ×4, first 2 shown]
	v_cndmask_b32_e32 v20, v3, v20, vcc_lo
	v_cndmask_b32_e32 v19, v11, v19, vcc_lo
	v_mul_f64 v[29:30], v[25:26], v[19:20]
	v_mul_f64 v[31:32], v[27:28], v[19:20]
	;; [unrolled: 1-line block ×3, first 2 shown]
	v_fma_f64 v[25:26], v[25:26], v[19:20], -v[29:30]
	v_fma_f64 v[27:28], v[27:28], v[19:20], -v[31:32]
	;; [unrolled: 1-line block ×3, first 2 shown]
	v_add_f64 v[33:34], v[31:32], v[25:26]
	v_add_f64 v[35:36], v[33:34], -v[31:32]
	v_add_f64 v[41:42], v[29:30], v[33:34]
	v_add_f64 v[39:40], v[33:34], -v[35:36]
	v_add_f64 v[25:26], v[25:26], -v[35:36]
	v_ldexp_f64 v[35:36], v[41:42], -2
	v_add_f64 v[29:30], v[41:42], -v[29:30]
	v_add_f64 v[31:32], v[31:32], -v[39:40]
	v_add_f64 v[39:40], v[43:44], v[27:28]
	v_cmp_neq_f64_e64 vcc_lo, 0x7ff00000, |v[35:36]|
	v_add_f64 v[29:30], v[33:34], -v[29:30]
	v_add_f64 v[25:26], v[25:26], v[31:32]
	v_fract_f64_e32 v[31:32], v[35:36]
	v_add_f64 v[33:34], v[39:40], v[25:26]
	v_ldexp_f64 v[31:32], v[31:32], 2
	v_add_f64 v[35:36], v[29:30], v[33:34]
	v_cndmask_b32_e32 v32, 0, v32, vcc_lo
	v_cndmask_b32_e32 v31, 0, v31, vcc_lo
	v_add_f64 v[41:42], v[35:36], v[31:32]
	v_add_f64 v[29:30], v[35:36], -v[29:30]
	v_cmp_gt_f64_e32 vcc_lo, 0, v[41:42]
	v_add_f64 v[41:42], v[39:40], -v[43:44]
	v_add_f64 v[29:30], v[33:34], -v[29:30]
	v_cndmask_b32_e64 v46, 0, 0x40100000, vcc_lo
	v_add_f64 v[50:51], v[39:40], -v[41:42]
	v_add_f64 v[27:28], v[27:28], -v[41:42]
	v_add_f64 v[31:32], v[31:32], v[45:46]
	v_add_f64 v[46:47], v[33:34], -v[39:40]
	v_add_f64 v[41:42], v[43:44], -v[50:51]
	v_add_f64 v[48:49], v[35:36], v[31:32]
	;; [unrolled: 3-line block ×3, first 2 shown]
	v_cvt_i32_f64_e32 v3, v[48:49]
	v_add_f64 v[39:40], v[39:40], -v[52:53]
	v_cvt_f64_i32_e32 v[46:47], v3
	v_add_f64 v[25:26], v[25:26], v[39:40]
	v_add_f64 v[31:32], v[31:32], -v[46:47]
	v_add_f64 v[25:26], v[27:28], v[25:26]
	v_add_f64 v[27:28], v[35:36], v[31:32]
	;; [unrolled: 1-line block ×3, first 2 shown]
	v_add_f64 v[25:26], v[27:28], -v[31:32]
	v_cmp_le_f64_e32 vcc_lo, 0.5, v[27:28]
	v_add_f64 v[19:20], v[29:30], v[19:20]
	v_add_f64 v[25:26], v[35:36], -v[25:26]
	v_cndmask_b32_e64 v46, 0, 0x3ff00000, vcc_lo
	v_add_co_ci_u32_e64 v31, null, 0, v3, vcc_lo
	v_add_f64 v[19:20], v[19:20], v[25:26]
	v_add_f64 v[25:26], v[27:28], -v[45:46]
	v_add_f64 v[27:28], v[25:26], v[19:20]
	v_mul_f64 v[29:30], v[27:28], s[4:5]
	v_add_f64 v[25:26], v[27:28], -v[25:26]
	v_fma_f64 v[32:33], v[27:28], s[4:5], -v[29:30]
	v_add_f64 v[19:20], v[19:20], -v[25:26]
	v_fma_f64 v[25:26], v[27:28], s[6:7], v[32:33]
	v_fma_f64 v[25:26], v[19:20], s[4:5], v[25:26]
	v_add_f64 v[19:20], v[29:30], v[25:26]
	v_add_f64 v[27:28], v[19:20], -v[29:30]
	v_add_f64 v[27:28], v[25:26], -v[27:28]
.LBB7_1554:
	s_andn2_saveexec_b32 s3, s3
	s_cbranch_execz .LBB7_1556
; %bb.1555:
	s_mov_b32 s4, 0x6dc9c883
	s_mov_b32 s5, 0x3fe45f30
	s_mov_b32 s7, 0xbc91a626
	v_mul_f64 v[19:20], |v[11:12]|, s[4:5]
	s_mov_b32 s4, 0x54442d18
	s_mov_b32 s5, 0xbff921fb
	;; [unrolled: 1-line block ×3, first 2 shown]
	v_rndne_f64_e32 v[25:26], v[19:20]
	v_fma_f64 v[19:20], v[25:26], s[4:5], |v[11:12]|
	v_mul_f64 v[27:28], v[25:26], s[6:7]
	s_mov_b32 s4, 0x252049c0
	s_mov_b32 s5, 0xb97b839a
	v_fma_f64 v[31:32], v[25:26], s[6:7], v[19:20]
	v_add_f64 v[29:30], v[19:20], v[27:28]
	s_mov_b32 s7, 0x3c91a626
	v_add_f64 v[19:20], v[19:20], -v[29:30]
	v_add_f64 v[29:30], v[29:30], -v[31:32]
	v_add_f64 v[19:20], v[19:20], v[27:28]
	v_fma_f64 v[27:28], v[25:26], s[6:7], v[27:28]
	v_add_f64 v[19:20], v[29:30], v[19:20]
	v_add_f64 v[19:20], v[19:20], -v[27:28]
	v_fma_f64 v[27:28], v[25:26], s[4:5], v[19:20]
	v_add_f64 v[19:20], v[31:32], v[27:28]
	v_add_f64 v[29:30], v[19:20], -v[31:32]
	v_cvt_i32_f64_e32 v31, v[25:26]
	v_add_f64 v[27:28], v[27:28], -v[29:30]
.LBB7_1556:
	s_or_b32 exec_lo, exec_lo, s3
	v_add_co_u32 v25, s3, s10, v13
	v_add_co_ci_u32_e64 v26, null, s11, 0, s3
	s_cmp_lt_i32 s0, 11
	s_cbranch_scc1 .LBB7_1563
; %bb.1557:
	s_and_b32 s3, 0xffff, s0
	s_mov_b32 s5, 0
	s_cmp_gt_i32 s3, 25
	s_cbranch_scc0 .LBB7_1564
; %bb.1558:
	s_cmp_gt_i32 s3, 28
	s_cbranch_scc0 .LBB7_1565
; %bb.1559:
	;; [unrolled: 3-line block ×4, first 2 shown]
	s_cmp_eq_u32 s3, 46
	s_mov_b32 s7, 0
	s_cbranch_scc0 .LBB7_1569
; %bb.1562:
	global_load_dword v3, v[25:26], off
	s_mov_b32 s4, 0
	s_mov_b32 s6, -1
	s_waitcnt vmcnt(0)
	v_lshlrev_b32_e32 v3, 16, v3
	v_cvt_f64_f32_e32 v[13:14], v3
	s_branch .LBB7_1571
.LBB7_1563:
	s_mov_b32 s3, -1
	s_mov_b32 s6, 0
                                        ; implicit-def: $vgpr13_vgpr14
	s_branch .LBB7_1637
.LBB7_1564:
	s_mov_b32 s7, -1
	s_mov_b32 s6, 0
	s_mov_b32 s4, 0
                                        ; implicit-def: $vgpr13_vgpr14
	s_branch .LBB7_1602
.LBB7_1565:
	s_mov_b32 s7, -1
	s_mov_b32 s6, 0
	s_mov_b32 s4, 0
                                        ; implicit-def: $vgpr13_vgpr14
	s_branch .LBB7_1581
.LBB7_1566:
	s_mov_b32 s7, -1
	s_mov_b32 s6, 0
	s_mov_b32 s4, 0
                                        ; implicit-def: $vgpr13_vgpr14
	s_branch .LBB7_1576
.LBB7_1567:
	s_or_b32 s1, s1, exec_lo
	s_trap 2
	s_cbranch_execz .LBB7_1502
	s_branch .LBB7_1503
.LBB7_1568:
	s_mov_b32 s7, -1
	s_mov_b32 s6, 0
	s_mov_b32 s4, 0
	s_branch .LBB7_1570
.LBB7_1569:
	s_mov_b32 s4, -1
	s_mov_b32 s6, 0
.LBB7_1570:
                                        ; implicit-def: $vgpr13_vgpr14
.LBB7_1571:
	s_and_b32 vcc_lo, exec_lo, s7
	s_cbranch_vccz .LBB7_1575
; %bb.1572:
	s_cmp_eq_u32 s3, 44
	s_cbranch_scc0 .LBB7_1574
; %bb.1573:
	global_load_ubyte v3, v[25:26], off
	s_mov_b32 s4, 0
	s_mov_b32 s6, -1
	s_waitcnt vmcnt(0)
	v_lshlrev_b32_e32 v13, 23, v3
	v_cmp_ne_u32_e32 vcc_lo, 0xff, v3
	v_cvt_f64_f32_e32 v[13:14], v13
	v_cndmask_b32_e32 v13, 0x20000000, v13, vcc_lo
	v_cndmask_b32_e32 v14, 0x7ff80000, v14, vcc_lo
	v_cmp_ne_u32_e32 vcc_lo, 0, v3
	v_cndmask_b32_e32 v14, 0x38000000, v14, vcc_lo
	v_cndmask_b32_e32 v13, 0, v13, vcc_lo
	s_branch .LBB7_1575
.LBB7_1574:
	s_mov_b32 s4, -1
                                        ; implicit-def: $vgpr13_vgpr14
.LBB7_1575:
	s_mov_b32 s7, 0
.LBB7_1576:
	s_and_b32 vcc_lo, exec_lo, s7
	s_cbranch_vccz .LBB7_1580
; %bb.1577:
	s_cmp_eq_u32 s3, 29
	s_cbranch_scc0 .LBB7_1579
; %bb.1578:
	global_load_dwordx2 v[13:14], v[25:26], off
	s_mov_b32 s4, 0
	s_mov_b32 s6, -1
	s_mov_b32 s7, 0
	s_waitcnt vmcnt(0)
	v_cvt_f64_u32_e32 v[29:30], v14
	v_cvt_f64_u32_e32 v[13:14], v13
	v_ldexp_f64 v[29:30], v[29:30], 32
	v_add_f64 v[13:14], v[29:30], v[13:14]
	s_branch .LBB7_1581
.LBB7_1579:
	s_mov_b32 s4, -1
                                        ; implicit-def: $vgpr13_vgpr14
.LBB7_1580:
	s_mov_b32 s7, 0
.LBB7_1581:
	s_and_b32 vcc_lo, exec_lo, s7
	s_cbranch_vccz .LBB7_1601
; %bb.1582:
	s_cmp_lt_i32 s3, 27
	s_cbranch_scc1 .LBB7_1585
; %bb.1583:
	s_cmp_gt_i32 s3, 27
	s_cbranch_scc0 .LBB7_1586
; %bb.1584:
	global_load_dword v3, v[25:26], off
	s_mov_b32 s6, 0
	s_waitcnt vmcnt(0)
	v_cvt_f64_u32_e32 v[13:14], v3
	s_branch .LBB7_1587
.LBB7_1585:
	s_mov_b32 s6, -1
                                        ; implicit-def: $vgpr13_vgpr14
	s_branch .LBB7_1590
.LBB7_1586:
	s_mov_b32 s6, -1
                                        ; implicit-def: $vgpr13_vgpr14
.LBB7_1587:
	s_andn2_b32 vcc_lo, exec_lo, s6
	s_cbranch_vccnz .LBB7_1589
; %bb.1588:
	global_load_ushort v3, v[25:26], off
	s_waitcnt vmcnt(0)
	v_cvt_f64_u32_e32 v[13:14], v3
.LBB7_1589:
	s_mov_b32 s6, 0
.LBB7_1590:
	s_andn2_b32 vcc_lo, exec_lo, s6
	s_cbranch_vccnz .LBB7_1600
; %bb.1591:
	global_load_ubyte v3, v[25:26], off
	s_mov_b32 s6, 0
	s_mov_b32 s7, exec_lo
	s_waitcnt vmcnt(0)
	v_cmpx_lt_i16_e32 0x7f, v3
	s_xor_b32 s7, exec_lo, s7
	s_cbranch_execz .LBB7_1595
; %bb.1592:
	s_mov_b32 s6, -1
	s_mov_b32 s10, exec_lo
	v_cmpx_eq_u16_e32 0x80, v3
; %bb.1593:
	s_xor_b32 s6, exec_lo, -1
; %bb.1594:
	s_or_b32 exec_lo, exec_lo, s10
	s_and_b32 s6, s6, exec_lo
.LBB7_1595:
	s_or_saveexec_b32 s7, s7
	v_bfrev_b32_e32 v13, 4
	v_mov_b32_e32 v14, 0x7ff80000
	s_xor_b32 exec_lo, exec_lo, s7
; %bb.1596:
	v_cmp_ne_u16_e32 vcc_lo, 0, v3
	v_mov_b32_e32 v13, 0
	v_mov_b32_e32 v14, 0
	s_andn2_b32 s6, s6, exec_lo
	s_and_b32 s10, vcc_lo, exec_lo
	s_or_b32 s6, s6, s10
; %bb.1597:
	s_or_b32 exec_lo, exec_lo, s7
	s_and_saveexec_b32 s7, s6
	s_cbranch_execz .LBB7_1599
; %bb.1598:
	v_and_b32_e32 v13, 0xffff, v3
	v_lshlrev_b32_e32 v3, 24, v3
	v_and_b32_e32 v14, 7, v13
	v_bfe_u32 v32, v13, 3, 4
	v_and_b32_e32 v3, 0x80000000, v3
	v_ffbh_u32_e32 v29, v14
	v_cmp_eq_u32_e32 vcc_lo, 0, v32
	v_min_u32_e32 v29, 32, v29
	v_subrev_nc_u32_e32 v30, 28, v29
	v_sub_nc_u32_e32 v29, 29, v29
	v_lshlrev_b32_e32 v13, v30, v13
	v_cndmask_b32_e32 v29, v32, v29, vcc_lo
	v_and_b32_e32 v13, 7, v13
	v_cndmask_b32_e32 v13, v14, v13, vcc_lo
	v_lshl_add_u32 v14, v29, 23, 0x3b800000
	v_lshlrev_b32_e32 v13, 20, v13
	v_or3_b32 v3, v3, v14, v13
	v_cvt_f64_f32_e32 v[13:14], v3
.LBB7_1599:
	s_or_b32 exec_lo, exec_lo, s7
.LBB7_1600:
	s_mov_b32 s6, -1
.LBB7_1601:
	s_mov_b32 s7, 0
.LBB7_1602:
	s_and_b32 vcc_lo, exec_lo, s7
	s_cbranch_vccz .LBB7_1633
; %bb.1603:
	s_cmp_gt_i32 s3, 22
	s_cbranch_scc0 .LBB7_1615
; %bb.1604:
	s_cmp_lt_i32 s3, 24
	s_cbranch_scc1 .LBB7_1616
; %bb.1605:
	s_cmp_gt_i32 s3, 24
	s_cbranch_scc0 .LBB7_1617
; %bb.1606:
	global_load_ubyte v3, v[25:26], off
	s_mov_b32 s6, exec_lo
	s_waitcnt vmcnt(0)
	v_cmpx_lt_i16_e32 0x7f, v3
	s_xor_b32 s6, exec_lo, s6
	s_cbranch_execz .LBB7_1610
; %bb.1607:
	s_mov_b32 s5, -1
	s_mov_b32 s7, exec_lo
	v_cmpx_eq_u16_e32 0x80, v3
; %bb.1608:
	s_xor_b32 s5, exec_lo, -1
; %bb.1609:
	s_or_b32 exec_lo, exec_lo, s7
	s_and_b32 s5, s5, exec_lo
.LBB7_1610:
	s_or_saveexec_b32 s6, s6
	v_bfrev_b32_e32 v13, 4
	v_mov_b32_e32 v14, 0x7ff80000
	s_xor_b32 exec_lo, exec_lo, s6
; %bb.1611:
	v_cmp_ne_u16_e32 vcc_lo, 0, v3
	v_mov_b32_e32 v13, 0
	v_mov_b32_e32 v14, 0
	s_andn2_b32 s5, s5, exec_lo
	s_and_b32 s7, vcc_lo, exec_lo
	s_or_b32 s5, s5, s7
; %bb.1612:
	s_or_b32 exec_lo, exec_lo, s6
	s_and_saveexec_b32 s6, s5
	s_cbranch_execz .LBB7_1614
; %bb.1613:
	v_and_b32_e32 v13, 0xffff, v3
	v_lshlrev_b32_e32 v3, 24, v3
	v_and_b32_e32 v14, 3, v13
	v_bfe_u32 v32, v13, 2, 5
	v_and_b32_e32 v3, 0x80000000, v3
	v_ffbh_u32_e32 v29, v14
	v_cmp_eq_u32_e32 vcc_lo, 0, v32
	v_min_u32_e32 v29, 32, v29
	v_subrev_nc_u32_e32 v30, 29, v29
	v_sub_nc_u32_e32 v29, 30, v29
	v_lshlrev_b32_e32 v13, v30, v13
	v_cndmask_b32_e32 v29, v32, v29, vcc_lo
	v_and_b32_e32 v13, 3, v13
	v_cndmask_b32_e32 v13, v14, v13, vcc_lo
	v_lshl_add_u32 v14, v29, 23, 0x37800000
	v_lshlrev_b32_e32 v13, 21, v13
	v_or3_b32 v3, v3, v14, v13
	v_cvt_f64_f32_e32 v[13:14], v3
.LBB7_1614:
	s_or_b32 exec_lo, exec_lo, s6
	s_mov_b32 s5, 0
	s_branch .LBB7_1618
.LBB7_1615:
	s_mov_b32 s5, -1
                                        ; implicit-def: $vgpr13_vgpr14
	s_branch .LBB7_1624
.LBB7_1616:
	s_mov_b32 s5, -1
                                        ; implicit-def: $vgpr13_vgpr14
	s_branch .LBB7_1621
.LBB7_1617:
	s_mov_b32 s5, -1
                                        ; implicit-def: $vgpr13_vgpr14
.LBB7_1618:
	s_and_b32 vcc_lo, exec_lo, s5
	s_cbranch_vccz .LBB7_1620
; %bb.1619:
	global_load_ubyte v3, v[25:26], off
	s_waitcnt vmcnt(0)
	v_lshlrev_b32_e32 v3, 24, v3
	v_and_b32_e32 v13, 0x7f000000, v3
	v_ffbh_u32_e32 v14, v13
	v_add_nc_u32_e32 v30, 0x1000000, v13
	v_cmp_ne_u32_e32 vcc_lo, 0, v13
	v_min_u32_e32 v14, 32, v14
	v_sub_nc_u32_e64 v14, v14, 4 clamp
	v_lshlrev_b32_e32 v29, v14, v13
	v_lshlrev_b32_e32 v14, 23, v14
	v_lshrrev_b32_e32 v29, 4, v29
	v_sub_nc_u32_e32 v14, v29, v14
	v_ashrrev_i32_e32 v29, 8, v30
	v_add_nc_u32_e32 v14, 0x3c000000, v14
	v_and_or_b32 v14, 0x7f800000, v29, v14
	v_cndmask_b32_e32 v13, 0, v14, vcc_lo
	v_and_or_b32 v3, 0x80000000, v3, v13
	v_cvt_f64_f32_e32 v[13:14], v3
.LBB7_1620:
	s_mov_b32 s5, 0
.LBB7_1621:
	s_andn2_b32 vcc_lo, exec_lo, s5
	s_cbranch_vccnz .LBB7_1623
; %bb.1622:
	global_load_ubyte v3, v[25:26], off
	s_waitcnt vmcnt(0)
	v_lshlrev_b32_e32 v13, 25, v3
	v_lshlrev_b16 v3, 8, v3
	v_lshrrev_b32_e32 v14, 4, v13
	v_and_or_b32 v29, 0x7f00, v3, 0.5
	v_cmp_gt_u32_e32 vcc_lo, 0x8000000, v13
	v_bfe_i32 v3, v3, 0, 16
	v_or_b32_e32 v14, 0x70000000, v14
	v_add_f32_e32 v29, -0.5, v29
	v_mul_f32_e32 v14, 0x7800000, v14
	v_cndmask_b32_e32 v13, v14, v29, vcc_lo
	v_and_or_b32 v3, 0x80000000, v3, v13
	v_cvt_f64_f32_e32 v[13:14], v3
.LBB7_1623:
	s_mov_b32 s5, 0
	s_mov_b32 s6, -1
.LBB7_1624:
	s_andn2_b32 vcc_lo, exec_lo, s5
	s_mov_b32 s5, 0
	s_cbranch_vccnz .LBB7_1633
; %bb.1625:
	s_cmp_gt_i32 s3, 14
	s_cbranch_scc0 .LBB7_1628
; %bb.1626:
	s_cmp_eq_u32 s3, 15
	s_cbranch_scc0 .LBB7_1629
; %bb.1627:
	global_load_ushort v3, v[25:26], off
	s_mov_b32 s4, 0
	s_mov_b32 s6, -1
	s_waitcnt vmcnt(0)
	v_lshlrev_b32_e32 v3, 16, v3
	v_cvt_f64_f32_e32 v[13:14], v3
	s_branch .LBB7_1631
.LBB7_1628:
	s_mov_b32 s5, -1
	s_branch .LBB7_1630
.LBB7_1629:
	s_mov_b32 s4, -1
.LBB7_1630:
                                        ; implicit-def: $vgpr13_vgpr14
.LBB7_1631:
	s_and_b32 vcc_lo, exec_lo, s5
	s_mov_b32 s5, 0
	s_cbranch_vccz .LBB7_1633
; %bb.1632:
	s_cmp_lg_u32 s3, 11
	s_mov_b32 s5, -1
	s_cselect_b32 s4, -1, 0
.LBB7_1633:
	s_and_b32 vcc_lo, exec_lo, s4
	s_cbranch_vccnz .LBB7_2166
; %bb.1634:
	s_andn2_b32 vcc_lo, exec_lo, s5
	s_cbranch_vccnz .LBB7_1636
.LBB7_1635:
	global_load_ubyte v3, v[25:26], off
	v_mov_b32_e32 v13, 0
	s_mov_b32 s6, -1
	s_waitcnt vmcnt(0)
	v_cmp_ne_u16_e32 vcc_lo, 0, v3
	v_cndmask_b32_e64 v14, 0, 0x3ff00000, vcc_lo
.LBB7_1636:
	s_mov_b32 s3, 0
.LBB7_1637:
	s_and_b32 vcc_lo, exec_lo, s3
	s_cbranch_vccz .LBB7_1686
; %bb.1638:
	s_and_b32 s0, 0xffff, s0
	s_cmp_lt_i32 s0, 5
	s_cbranch_scc1 .LBB7_1643
; %bb.1639:
	s_cmp_lt_i32 s0, 8
	s_cbranch_scc1 .LBB7_1644
; %bb.1640:
	;; [unrolled: 3-line block ×3, first 2 shown]
	s_cmp_gt_i32 s0, 9
	s_cbranch_scc0 .LBB7_1646
; %bb.1642:
	global_load_dwordx2 v[13:14], v[25:26], off
	s_mov_b32 s3, 0
	s_branch .LBB7_1647
.LBB7_1643:
	s_mov_b32 s3, -1
                                        ; implicit-def: $vgpr13_vgpr14
	s_branch .LBB7_1665
.LBB7_1644:
	s_mov_b32 s3, -1
                                        ; implicit-def: $vgpr13_vgpr14
	s_branch .LBB7_1653
.LBB7_1645:
	s_mov_b32 s3, -1
                                        ; implicit-def: $vgpr13_vgpr14
	s_branch .LBB7_1650
.LBB7_1646:
	s_mov_b32 s3, -1
                                        ; implicit-def: $vgpr13_vgpr14
.LBB7_1647:
	s_andn2_b32 vcc_lo, exec_lo, s3
	s_cbranch_vccnz .LBB7_1649
; %bb.1648:
	global_load_dword v3, v[25:26], off
	s_waitcnt vmcnt(0)
	v_cvt_f64_f32_e32 v[13:14], v3
.LBB7_1649:
	s_mov_b32 s3, 0
.LBB7_1650:
	s_andn2_b32 vcc_lo, exec_lo, s3
	s_cbranch_vccnz .LBB7_1652
; %bb.1651:
	global_load_dword v3, v[25:26], off
	s_waitcnt vmcnt(0)
	v_cvt_f32_f16_e32 v3, v3
	v_cvt_f64_f32_e32 v[13:14], v3
.LBB7_1652:
	s_mov_b32 s3, 0
.LBB7_1653:
	s_andn2_b32 vcc_lo, exec_lo, s3
	s_cbranch_vccnz .LBB7_1664
; %bb.1654:
	s_cmp_lt_i32 s0, 6
	s_cbranch_scc1 .LBB7_1657
; %bb.1655:
	s_cmp_gt_i32 s0, 6
	s_cbranch_scc0 .LBB7_1658
; %bb.1656:
	global_load_dwordx2 v[13:14], v[25:26], off
	s_mov_b32 s3, 0
	s_branch .LBB7_1659
.LBB7_1657:
	s_mov_b32 s3, -1
                                        ; implicit-def: $vgpr13_vgpr14
	s_branch .LBB7_1662
.LBB7_1658:
	s_mov_b32 s3, -1
                                        ; implicit-def: $vgpr13_vgpr14
.LBB7_1659:
	s_andn2_b32 vcc_lo, exec_lo, s3
	s_cbranch_vccnz .LBB7_1661
; %bb.1660:
	global_load_dword v3, v[25:26], off
	s_waitcnt vmcnt(0)
	v_cvt_f64_f32_e32 v[13:14], v3
.LBB7_1661:
	s_mov_b32 s3, 0
.LBB7_1662:
	s_andn2_b32 vcc_lo, exec_lo, s3
	s_cbranch_vccnz .LBB7_1664
; %bb.1663:
	global_load_ushort v3, v[25:26], off
	s_waitcnt vmcnt(0)
	v_cvt_f32_f16_e32 v3, v3
	v_cvt_f64_f32_e32 v[13:14], v3
.LBB7_1664:
	s_mov_b32 s3, 0
.LBB7_1665:
	s_andn2_b32 vcc_lo, exec_lo, s3
	s_cbranch_vccnz .LBB7_1685
; %bb.1666:
	s_cmp_lt_i32 s0, 2
	s_cbranch_scc1 .LBB7_1670
; %bb.1667:
	s_cmp_lt_i32 s0, 3
	s_cbranch_scc1 .LBB7_1671
; %bb.1668:
	s_cmp_gt_i32 s0, 3
	s_cbranch_scc0 .LBB7_1672
; %bb.1669:
	global_load_dwordx2 v[13:14], v[25:26], off
	s_mov_b32 s3, 0
	s_waitcnt vmcnt(0)
	v_cvt_f64_i32_e32 v[29:30], v14
	v_cvt_f64_u32_e32 v[13:14], v13
	v_ldexp_f64 v[29:30], v[29:30], 32
	v_add_f64 v[13:14], v[29:30], v[13:14]
	s_branch .LBB7_1673
.LBB7_1670:
	s_mov_b32 s3, -1
                                        ; implicit-def: $vgpr13_vgpr14
	s_branch .LBB7_1679
.LBB7_1671:
	s_mov_b32 s3, -1
                                        ; implicit-def: $vgpr13_vgpr14
	s_branch .LBB7_1676
.LBB7_1672:
	s_mov_b32 s3, -1
                                        ; implicit-def: $vgpr13_vgpr14
.LBB7_1673:
	s_andn2_b32 vcc_lo, exec_lo, s3
	s_cbranch_vccnz .LBB7_1675
; %bb.1674:
	global_load_dword v3, v[25:26], off
	s_waitcnt vmcnt(0)
	v_cvt_f64_i32_e32 v[13:14], v3
.LBB7_1675:
	s_mov_b32 s3, 0
.LBB7_1676:
	s_andn2_b32 vcc_lo, exec_lo, s3
	s_cbranch_vccnz .LBB7_1678
; %bb.1677:
	global_load_sshort v3, v[25:26], off
	s_waitcnt vmcnt(0)
	v_cvt_f64_i32_e32 v[13:14], v3
.LBB7_1678:
	s_mov_b32 s3, 0
.LBB7_1679:
	s_andn2_b32 vcc_lo, exec_lo, s3
	s_cbranch_vccnz .LBB7_1685
; %bb.1680:
	s_cmp_gt_i32 s0, 0
	s_mov_b32 s0, 0
	s_cbranch_scc0 .LBB7_1682
; %bb.1681:
	global_load_sbyte v3, v[25:26], off
	s_waitcnt vmcnt(0)
	v_cvt_f64_i32_e32 v[13:14], v3
	s_branch .LBB7_1683
.LBB7_1682:
	s_mov_b32 s0, -1
                                        ; implicit-def: $vgpr13_vgpr14
.LBB7_1683:
	s_andn2_b32 vcc_lo, exec_lo, s0
	s_cbranch_vccnz .LBB7_1685
; %bb.1684:
	global_load_ubyte v3, v[25:26], off
	s_waitcnt vmcnt(0)
	v_cvt_f64_u32_e32 v[13:14], v3
.LBB7_1685:
	s_mov_b32 s6, -1
.LBB7_1686:
	s_andn2_b32 vcc_lo, exec_lo, s6
	s_cbranch_vccnz .LBB7_2121
; %bb.1687:
	s_waitcnt vmcnt(0)
	v_cmp_ngt_f64_e64 s0, 0x41d00000, |v[13:14]|
                                        ; implicit-def: $vgpr32
                                        ; implicit-def: $vgpr25_vgpr26
                                        ; implicit-def: $vgpr29_vgpr30
	s_and_saveexec_b32 s3, s0
	s_xor_b32 s0, exec_lo, s3
	s_cbranch_execz .LBB7_1689
; %bb.1688:
	v_ldexp_f64 v[25:26], |v[13:14]|, 0xffffff80
	v_cmp_le_f64_e64 vcc_lo, 0x7b000000, |v[13:14]|
	v_trig_preop_f64 v[29:30], |v[13:14]|, 0
	v_and_b32_e32 v3, 0x7fffffff, v14
	v_trig_preop_f64 v[32:33], |v[13:14]|, 1
	v_trig_preop_f64 v[42:43], |v[13:14]|, 2
	v_mov_b32_e32 v50, 0
	s_mov_b32 s4, 0x54442d18
	s_mov_b32 s5, 0x3ff921fb
	;; [unrolled: 1-line block ×4, first 2 shown]
	v_cndmask_b32_e32 v26, v3, v26, vcc_lo
	v_cndmask_b32_e32 v25, v13, v25, vcc_lo
	v_mul_f64 v[34:35], v[29:30], v[25:26]
	v_mul_f64 v[36:37], v[32:33], v[25:26]
	;; [unrolled: 1-line block ×3, first 2 shown]
	v_fma_f64 v[29:30], v[29:30], v[25:26], -v[34:35]
	v_fma_f64 v[32:33], v[32:33], v[25:26], -v[36:37]
	v_fma_f64 v[25:26], v[42:43], v[25:26], -v[48:49]
	v_add_f64 v[38:39], v[36:37], v[29:30]
	v_add_f64 v[40:41], v[38:39], -v[36:37]
	v_add_f64 v[46:47], v[34:35], v[38:39]
	v_add_f64 v[44:45], v[38:39], -v[40:41]
	v_add_f64 v[29:30], v[29:30], -v[40:41]
	v_ldexp_f64 v[40:41], v[46:47], -2
	v_add_f64 v[34:35], v[46:47], -v[34:35]
	v_add_f64 v[36:37], v[36:37], -v[44:45]
	v_add_f64 v[44:45], v[48:49], v[32:33]
	v_cmp_neq_f64_e64 vcc_lo, 0x7ff00000, |v[40:41]|
	v_add_f64 v[34:35], v[38:39], -v[34:35]
	v_add_f64 v[29:30], v[29:30], v[36:37]
	v_fract_f64_e32 v[36:37], v[40:41]
	v_add_f64 v[38:39], v[44:45], v[29:30]
	v_ldexp_f64 v[36:37], v[36:37], 2
	v_add_f64 v[40:41], v[34:35], v[38:39]
	v_cndmask_b32_e32 v37, 0, v37, vcc_lo
	v_cndmask_b32_e32 v36, 0, v36, vcc_lo
	v_add_f64 v[46:47], v[40:41], v[36:37]
	v_add_f64 v[34:35], v[40:41], -v[34:35]
	v_cmp_gt_f64_e32 vcc_lo, 0, v[46:47]
	v_add_f64 v[46:47], v[44:45], -v[48:49]
	v_cndmask_b32_e64 v51, 0, 0x40100000, vcc_lo
	v_add_f64 v[55:56], v[44:45], -v[46:47]
	v_add_f64 v[32:33], v[32:33], -v[46:47]
	v_add_f64 v[36:37], v[36:37], v[50:51]
	v_add_f64 v[51:52], v[38:39], -v[44:45]
	v_add_f64 v[46:47], v[48:49], -v[55:56]
	v_add_f64 v[53:54], v[40:41], v[36:37]
	;; [unrolled: 3-line block ×3, first 2 shown]
	v_cvt_i32_f64_e32 v3, v[53:54]
	v_add_f64 v[44:45], v[44:45], -v[57:58]
	v_cvt_f64_i32_e32 v[51:52], v3
	v_add_f64 v[29:30], v[29:30], v[44:45]
	v_add_f64 v[36:37], v[36:37], -v[51:52]
	v_add_f64 v[29:30], v[32:33], v[29:30]
	v_add_f64 v[32:33], v[38:39], -v[34:35]
	v_add_f64 v[42:43], v[40:41], v[36:37]
	v_add_f64 v[25:26], v[25:26], v[29:30]
	v_add_f64 v[29:30], v[42:43], -v[36:37]
	v_cmp_le_f64_e32 vcc_lo, 0.5, v[42:43]
	v_add_f64 v[25:26], v[32:33], v[25:26]
	v_add_f64 v[29:30], v[40:41], -v[29:30]
	v_cndmask_b32_e64 v51, 0, 0x3ff00000, vcc_lo
	v_add_co_ci_u32_e64 v32, null, 0, v3, vcc_lo
	v_add_f64 v[25:26], v[25:26], v[29:30]
	v_add_f64 v[29:30], v[42:43], -v[50:51]
	v_add_f64 v[33:34], v[29:30], v[25:26]
	v_mul_f64 v[35:36], v[33:34], s[4:5]
	v_add_f64 v[29:30], v[33:34], -v[29:30]
	v_fma_f64 v[37:38], v[33:34], s[4:5], -v[35:36]
	v_add_f64 v[25:26], v[25:26], -v[29:30]
	v_fma_f64 v[29:30], v[33:34], s[6:7], v[37:38]
	v_fma_f64 v[29:30], v[25:26], s[4:5], v[29:30]
	v_add_f64 v[25:26], v[35:36], v[29:30]
	v_add_f64 v[33:34], v[25:26], -v[35:36]
	v_add_f64 v[29:30], v[29:30], -v[33:34]
.LBB7_1689:
	s_andn2_saveexec_b32 s0, s0
	s_cbranch_execz .LBB7_1691
; %bb.1690:
	s_mov_b32 s4, 0x6dc9c883
	s_mov_b32 s5, 0x3fe45f30
	;; [unrolled: 1-line block ×3, first 2 shown]
	v_mul_f64 v[25:26], |v[13:14]|, s[4:5]
	s_mov_b32 s4, 0x54442d18
	s_mov_b32 s5, 0xbff921fb
	s_mov_b32 s6, 0x33145c00
	v_rndne_f64_e32 v[32:33], v[25:26]
	v_fma_f64 v[25:26], v[32:33], s[4:5], |v[13:14]|
	v_mul_f64 v[29:30], v[32:33], s[6:7]
	s_mov_b32 s4, 0x252049c0
	s_mov_b32 s5, 0xb97b839a
	v_fma_f64 v[36:37], v[32:33], s[6:7], v[25:26]
	v_add_f64 v[34:35], v[25:26], v[29:30]
	s_mov_b32 s7, 0x3c91a626
	v_add_f64 v[25:26], v[25:26], -v[34:35]
	v_add_f64 v[34:35], v[34:35], -v[36:37]
	v_add_f64 v[25:26], v[25:26], v[29:30]
	v_fma_f64 v[29:30], v[32:33], s[6:7], v[29:30]
	v_add_f64 v[25:26], v[34:35], v[25:26]
	v_add_f64 v[25:26], v[25:26], -v[29:30]
	v_fma_f64 v[29:30], v[32:33], s[4:5], v[25:26]
	v_cvt_i32_f64_e32 v32, v[32:33]
	v_add_f64 v[25:26], v[36:37], v[29:30]
	v_add_f64 v[34:35], v[25:26], -v[36:37]
	v_add_f64 v[29:30], v[29:30], -v[34:35]
.LBB7_1691:
	s_or_b32 exec_lo, exec_lo, s0
	v_mul_f64 v[33:34], v[15:16], v[15:16]
	s_mov_b32 s4, 0xb42fdfa7
	s_mov_b32 s6, 0xf9a43bb8
	s_mov_b32 s5, 0xbe5ae600
	s_mov_b32 s7, 0x3de5e0b2
	s_mov_b32 s10, 0x796cde01
	s_mov_b32 s11, 0x3ec71de3
	v_mul_f64 v[43:44], v[21:22], 0.5
	v_cmp_class_f64_e64 s0, v[0:1], 0x1f8
	v_and_b32_e32 v3, 1, v5
	v_lshlrev_b32_e32 v0, 30, v5
	s_bfe_u32 s3, s2, 0x80008
	s_cmp_lt_i32 s3, 11
	v_cmp_eq_u32_e32 vcc_lo, 0, v3
	v_xor_b32_e32 v0, v0, v1
	v_and_b32_e32 v0, 0x80000000, v0
	v_fma_f64 v[35:36], v[33:34], s[6:7], s[4:5]
	s_mov_b32 s4, 0x9037ab78
	s_mov_b32 s6, 0x46cc5e42
	;; [unrolled: 1-line block ×4, first 2 shown]
	v_mul_f64 v[39:40], v[33:34], 0.5
	v_fma_f64 v[37:38], v[33:34], s[6:7], s[4:5]
	s_mov_b32 s4, 0xa17f65f6
	s_mov_b32 s6, 0x19e83e5c
	s_mov_b32 s5, 0xbe927e4f
	s_mov_b32 s7, 0xbf2a01a0
	v_mul_f64 v[45:46], v[15:16], -v[33:34]
	v_fma_f64 v[35:36], v[33:34], v[35:36], s[10:11]
	v_add_f64 v[41:42], -v[39:40], 1.0
	v_fma_f64 v[37:38], v[33:34], v[37:38], s[4:5]
	s_mov_b32 s4, 0x19f4ec90
	s_mov_b32 s5, 0x3efa01a0
	v_fma_f64 v[35:36], v[33:34], v[35:36], s[6:7]
	s_mov_b32 s6, 0x11110bb3
	s_mov_b32 s7, 0x3f811111
	v_add_f64 v[47:48], -v[41:42], 1.0
	v_fma_f64 v[37:38], v[33:34], v[37:38], s[4:5]
	s_mov_b32 s4, 0x16c16967
	s_mov_b32 s5, 0xbf56c16c
	v_fma_f64 v[35:36], v[33:34], v[35:36], s[6:7]
	s_mov_b32 s6, 0
	v_add_f64 v[39:40], v[47:48], -v[39:40]
	v_fma_f64 v[37:38], v[33:34], v[37:38], s[4:5]
	s_mov_b32 s5, 0x3fa55555
	s_mov_b32 s4, 0x55555555
	v_fma_f64 v[35:36], v[45:46], v[35:36], v[43:44]
	v_mul_f64 v[43:44], v[33:34], v[33:34]
	v_fma_f64 v[39:40], v[15:16], -v[21:22], v[39:40]
	v_fma_f64 v[37:38], v[33:34], v[37:38], s[4:5]
	s_mov_b32 s5, 0xbfc55555
	v_fma_f64 v[21:22], v[33:34], v[35:36], -v[21:22]
	v_fma_f64 v[33:34], v[43:44], v[37:38], v[39:40]
	v_fma_f64 v[21:22], v[45:46], s[4:5], v[21:22]
	v_add_f64 v[33:34], v[41:42], v[33:34]
	v_add_f64 v[15:16], v[15:16], -v[21:22]
	v_cndmask_b32_e32 v1, v34, v16, vcc_lo
	v_cndmask_b32_e32 v3, v33, v15, vcc_lo
	v_xor_b32_e32 v1, v1, v0
	v_cndmask_b32_e64 v0, 0, v3, s0
	v_cndmask_b32_e64 v1, 0x7ff80000, v1, s0
	v_add_co_u32 v15, s0, s8, v2
	v_add_co_ci_u32_e64 v16, null, s9, 0, s0
	s_mov_b32 s0, -1
	s_cbranch_scc1 .LBB7_1770
; %bb.1692:
	s_and_b32 s4, 0xffff, s3
	s_mov_b32 s7, -1
	s_mov_b32 s5, 0
	s_cmp_gt_i32 s4, 25
	s_mov_b32 s0, 0
	s_cbranch_scc0 .LBB7_1725
; %bb.1693:
	s_cmp_gt_i32 s4, 28
	s_cbranch_scc0 .LBB7_1708
; %bb.1694:
	s_cmp_gt_i32 s4, 43
	;; [unrolled: 3-line block ×3, first 2 shown]
	s_cbranch_scc0 .LBB7_1698
; %bb.1696:
	s_mov_b32 s0, -1
	s_mov_b32 s7, 0
	s_cmp_eq_u32 s4, 46
	s_cbranch_scc0 .LBB7_1698
; %bb.1697:
	v_cvt_f32_f64_e32 v2, v[0:1]
	s_mov_b32 s0, 0
	s_mov_b32 s6, -1
	v_bfe_u32 v3, v2, 16, 1
	v_cmp_o_f32_e32 vcc_lo, v2, v2
	v_add3_u32 v2, v2, v3, 0x7fff
	v_mov_b32_e32 v3, 0x7fc0
	v_cndmask_b32_sdwa v2, v3, v2, vcc_lo dst_sel:DWORD dst_unused:UNUSED_PAD src0_sel:DWORD src1_sel:WORD_1
	global_store_dword v[15:16], v2, off
.LBB7_1698:
	s_and_b32 vcc_lo, exec_lo, s7
	s_cbranch_vccz .LBB7_1703
; %bb.1699:
	s_cmp_eq_u32 s4, 44
	s_mov_b32 s0, -1
	s_cbranch_scc0 .LBB7_1703
; %bb.1700:
	v_cvt_f32_f64_e32 v2, v[0:1]
	v_mov_b32_e32 v3, 0xff
	s_mov_b32 s6, exec_lo
	v_bfe_u32 v5, v2, 23, 8
	v_cmpx_ne_u32_e32 0xff, v5
	s_cbranch_execz .LBB7_1702
; %bb.1701:
	v_and_b32_e32 v3, 0x400000, v2
	v_and_or_b32 v5, 0x3fffff, v2, v5
	v_lshrrev_b32_e32 v2, 23, v2
	v_cmp_ne_u32_e32 vcc_lo, 0, v3
	v_cmp_ne_u32_e64 s0, 0, v5
	s_and_b32 s0, vcc_lo, s0
	v_cndmask_b32_e64 v3, 0, 1, s0
	v_add_nc_u32_e32 v3, v2, v3
.LBB7_1702:
	s_or_b32 exec_lo, exec_lo, s6
	s_mov_b32 s0, 0
	s_mov_b32 s6, -1
	global_store_byte v[15:16], v3, off
.LBB7_1703:
	s_mov_b32 s7, 0
.LBB7_1704:
	s_and_b32 vcc_lo, exec_lo, s7
	s_cbranch_vccz .LBB7_1707
; %bb.1705:
	s_cmp_eq_u32 s4, 29
	s_mov_b32 s0, -1
	s_cbranch_scc0 .LBB7_1707
; %bb.1706:
	v_trunc_f64_e32 v[2:3], v[0:1]
	s_mov_b32 s0, 0
	s_mov_b32 s6, -1
	v_ldexp_f64 v[21:22], v[2:3], 0xffffffe0
	v_floor_f64_e32 v[21:22], v[21:22]
	v_fma_f64 v[2:3], 0xc1f00000, v[21:22], v[2:3]
	v_cvt_u32_f64_e32 v22, v[21:22]
	v_cvt_u32_f64_e32 v21, v[2:3]
	global_store_dwordx2 v[15:16], v[21:22], off
.LBB7_1707:
	s_mov_b32 s7, 0
.LBB7_1708:
	s_and_b32 vcc_lo, exec_lo, s7
	s_cbranch_vccz .LBB7_1724
; %bb.1709:
	s_cmp_lt_i32 s4, 27
	s_mov_b32 s6, -1
	s_cbranch_scc1 .LBB7_1715
; %bb.1710:
	v_cvt_u32_f64_e32 v2, v[0:1]
	s_cmp_gt_i32 s4, 27
	s_cbranch_scc0 .LBB7_1712
; %bb.1711:
	s_mov_b32 s6, 0
	global_store_dword v[15:16], v2, off
.LBB7_1712:
	s_andn2_b32 vcc_lo, exec_lo, s6
	s_cbranch_vccnz .LBB7_1714
; %bb.1713:
	global_store_short v[15:16], v2, off
.LBB7_1714:
	s_mov_b32 s6, 0
.LBB7_1715:
	s_andn2_b32 vcc_lo, exec_lo, s6
	s_cbranch_vccnz .LBB7_1723
; %bb.1716:
	v_cvt_f32_f64_e32 v2, v[0:1]
	v_mov_b32_e32 v5, 0x80
	s_mov_b32 s6, exec_lo
	v_and_b32_e32 v3, 0x7fffffff, v2
	v_cmpx_gt_u32_e32 0x43800000, v3
	s_cbranch_execz .LBB7_1722
; %bb.1717:
	v_cmp_lt_u32_e32 vcc_lo, 0x3bffffff, v3
	s_mov_b32 s7, 0
                                        ; implicit-def: $vgpr3
	s_and_saveexec_b32 s10, vcc_lo
	s_xor_b32 s10, exec_lo, s10
	s_cbranch_execz .LBB7_2167
; %bb.1718:
	v_bfe_u32 v3, v2, 20, 1
	s_mov_b32 s7, exec_lo
	v_add3_u32 v3, v2, v3, 0x487ffff
	v_lshrrev_b32_e32 v3, 20, v3
	s_andn2_saveexec_b32 s10, s10
	s_cbranch_execnz .LBB7_2168
.LBB7_1719:
	s_or_b32 exec_lo, exec_lo, s10
	v_mov_b32_e32 v5, 0
	s_and_saveexec_b32 s10, s7
.LBB7_1720:
	v_lshrrev_b32_e32 v2, 24, v2
	v_and_or_b32 v5, 0x80, v2, v3
.LBB7_1721:
	s_or_b32 exec_lo, exec_lo, s10
.LBB7_1722:
	s_or_b32 exec_lo, exec_lo, s6
	global_store_byte v[15:16], v5, off
.LBB7_1723:
	s_mov_b32 s6, -1
.LBB7_1724:
	s_mov_b32 s7, 0
.LBB7_1725:
	s_and_b32 vcc_lo, exec_lo, s7
	s_cbranch_vccz .LBB7_1765
; %bb.1726:
	s_cmp_gt_i32 s4, 22
	s_mov_b32 s5, -1
	s_cbranch_scc0 .LBB7_1758
; %bb.1727:
	s_cmp_lt_i32 s4, 24
	s_cbranch_scc1 .LBB7_1747
; %bb.1728:
	s_cmp_gt_i32 s4, 24
	s_cbranch_scc0 .LBB7_1736
; %bb.1729:
	v_cvt_f32_f64_e32 v2, v[0:1]
	v_mov_b32_e32 v5, 0x80
	s_mov_b32 s5, exec_lo
	v_and_b32_e32 v3, 0x7fffffff, v2
	v_cmpx_gt_u32_e32 0x47800000, v3
	s_cbranch_execz .LBB7_1735
; %bb.1730:
	v_cmp_lt_u32_e32 vcc_lo, 0x37ffffff, v3
	s_mov_b32 s6, 0
                                        ; implicit-def: $vgpr3
	s_and_saveexec_b32 s7, vcc_lo
	s_xor_b32 s7, exec_lo, s7
	s_cbranch_execz .LBB7_2170
; %bb.1731:
	v_bfe_u32 v3, v2, 21, 1
	s_mov_b32 s6, exec_lo
	v_add3_u32 v3, v2, v3, 0x88fffff
	v_lshrrev_b32_e32 v3, 21, v3
	s_andn2_saveexec_b32 s7, s7
	s_cbranch_execnz .LBB7_2171
.LBB7_1732:
	s_or_b32 exec_lo, exec_lo, s7
	v_mov_b32_e32 v5, 0
	s_and_saveexec_b32 s7, s6
.LBB7_1733:
	v_lshrrev_b32_e32 v2, 24, v2
	v_and_or_b32 v5, 0x80, v2, v3
.LBB7_1734:
	s_or_b32 exec_lo, exec_lo, s7
.LBB7_1735:
	s_or_b32 exec_lo, exec_lo, s5
	s_mov_b32 s5, 0
	global_store_byte v[15:16], v5, off
.LBB7_1736:
	s_and_b32 vcc_lo, exec_lo, s5
	s_cbranch_vccz .LBB7_1746
; %bb.1737:
	v_cvt_f32_f64_e32 v2, v[0:1]
	s_mov_b32 s5, exec_lo
                                        ; implicit-def: $vgpr3
	v_and_b32_e32 v5, 0x7fffffff, v2
	v_cmpx_gt_u32_e32 0x43f00000, v5
	s_xor_b32 s5, exec_lo, s5
	s_cbranch_execz .LBB7_1743
; %bb.1738:
	s_mov_b32 s6, exec_lo
                                        ; implicit-def: $vgpr3
	v_cmpx_lt_u32_e32 0x3c7fffff, v5
	s_xor_b32 s6, exec_lo, s6
; %bb.1739:
	v_bfe_u32 v3, v2, 20, 1
	v_add3_u32 v3, v2, v3, 0x407ffff
	v_and_b32_e32 v5, 0xff00000, v3
	v_lshrrev_b32_e32 v3, 20, v3
	v_cmp_ne_u32_e32 vcc_lo, 0x7f00000, v5
	v_cndmask_b32_e32 v3, 0x7e, v3, vcc_lo
; %bb.1740:
	s_andn2_saveexec_b32 s6, s6
; %bb.1741:
	v_add_f32_e64 v3, 0x46800000, |v2|
; %bb.1742:
	s_or_b32 exec_lo, exec_lo, s6
                                        ; implicit-def: $vgpr5
.LBB7_1743:
	s_andn2_saveexec_b32 s5, s5
; %bb.1744:
	v_mov_b32_e32 v3, 0x7f
	v_cmp_lt_u32_e32 vcc_lo, 0x7f800000, v5
	v_cndmask_b32_e32 v3, 0x7e, v3, vcc_lo
; %bb.1745:
	s_or_b32 exec_lo, exec_lo, s5
	v_lshrrev_b32_e32 v2, 24, v2
	v_and_or_b32 v2, 0x80, v2, v3
	global_store_byte v[15:16], v2, off
.LBB7_1746:
	s_mov_b32 s5, 0
.LBB7_1747:
	s_andn2_b32 vcc_lo, exec_lo, s5
	s_cbranch_vccnz .LBB7_1757
; %bb.1748:
	v_cvt_f32_f64_e32 v2, v[0:1]
	s_mov_b32 s5, exec_lo
                                        ; implicit-def: $vgpr3
	v_and_b32_e32 v5, 0x7fffffff, v2
	v_cmpx_gt_u32_e32 0x47800000, v5
	s_xor_b32 s5, exec_lo, s5
	s_cbranch_execz .LBB7_1754
; %bb.1749:
	s_mov_b32 s6, exec_lo
                                        ; implicit-def: $vgpr3
	v_cmpx_lt_u32_e32 0x387fffff, v5
	s_xor_b32 s6, exec_lo, s6
; %bb.1750:
	v_bfe_u32 v3, v2, 21, 1
	v_add3_u32 v3, v2, v3, 0x80fffff
	v_lshrrev_b32_e32 v3, 21, v3
; %bb.1751:
	s_andn2_saveexec_b32 s6, s6
; %bb.1752:
	v_add_f32_e64 v3, 0x43000000, |v2|
; %bb.1753:
	s_or_b32 exec_lo, exec_lo, s6
                                        ; implicit-def: $vgpr5
.LBB7_1754:
	s_andn2_saveexec_b32 s5, s5
; %bb.1755:
	v_mov_b32_e32 v3, 0x7f
	v_cmp_lt_u32_e32 vcc_lo, 0x7f800000, v5
	v_cndmask_b32_e32 v3, 0x7c, v3, vcc_lo
; %bb.1756:
	s_or_b32 exec_lo, exec_lo, s5
	v_lshrrev_b32_e32 v2, 24, v2
	v_and_or_b32 v2, 0x80, v2, v3
	global_store_byte v[15:16], v2, off
.LBB7_1757:
	s_mov_b32 s5, 0
	s_mov_b32 s6, -1
.LBB7_1758:
	s_andn2_b32 vcc_lo, exec_lo, s5
	s_mov_b32 s5, 0
	s_cbranch_vccnz .LBB7_1765
; %bb.1759:
	s_cmp_gt_i32 s4, 14
	s_mov_b32 s5, -1
	s_cbranch_scc0 .LBB7_1763
; %bb.1760:
	s_cmp_eq_u32 s4, 15
	s_mov_b32 s0, -1
	s_cbranch_scc0 .LBB7_1762
; %bb.1761:
	v_cvt_f32_f64_e32 v2, v[0:1]
	s_mov_b32 s0, 0
	s_mov_b32 s6, -1
	v_bfe_u32 v3, v2, 16, 1
	v_cmp_o_f32_e32 vcc_lo, v2, v2
	v_add3_u32 v2, v2, v3, 0x7fff
	v_mov_b32_e32 v3, 0x7fc0
	v_cndmask_b32_sdwa v2, v3, v2, vcc_lo dst_sel:DWORD dst_unused:UNUSED_PAD src0_sel:DWORD src1_sel:WORD_1
	global_store_short v[15:16], v2, off
.LBB7_1762:
	s_mov_b32 s5, 0
.LBB7_1763:
	s_and_b32 vcc_lo, exec_lo, s5
	s_mov_b32 s5, 0
	s_cbranch_vccz .LBB7_1765
; %bb.1764:
	s_cmp_lg_u32 s4, 11
	s_mov_b32 s5, -1
	s_cselect_b32 s0, -1, 0
.LBB7_1765:
	s_and_b32 vcc_lo, exec_lo, s0
	s_cbranch_vccnz .LBB7_2169
; %bb.1766:
	s_andn2_b32 vcc_lo, exec_lo, s5
	s_cbranch_vccnz .LBB7_1768
.LBB7_1767:
	v_cmp_neq_f64_e32 vcc_lo, 0, v[0:1]
	s_mov_b32 s6, -1
	v_cndmask_b32_e64 v2, 0, 1, vcc_lo
	global_store_byte v[15:16], v2, off
.LBB7_1768:
.LBB7_1769:
	s_andn2_b32 vcc_lo, exec_lo, s6
	s_cbranch_vccz .LBB7_1809
	s_branch .LBB7_2121
.LBB7_1770:
	s_and_b32 vcc_lo, exec_lo, s0
	s_cbranch_vccz .LBB7_1769
; %bb.1771:
	s_and_b32 s0, 0xffff, s3
	s_mov_b32 s3, -1
	s_cmp_lt_i32 s0, 5
	s_cbranch_scc1 .LBB7_1792
; %bb.1772:
	s_cmp_lt_i32 s0, 8
	s_cbranch_scc1 .LBB7_1782
; %bb.1773:
	;; [unrolled: 3-line block ×3, first 2 shown]
	s_cmp_gt_i32 s0, 9
	s_cbranch_scc0 .LBB7_1776
; %bb.1775:
	v_mov_b32_e32 v2, 0
	s_mov_b32 s3, 0
	v_mov_b32_e32 v3, v2
	global_store_dwordx4 v[15:16], v[0:3], off
.LBB7_1776:
	s_andn2_b32 vcc_lo, exec_lo, s3
	s_cbranch_vccnz .LBB7_1778
; %bb.1777:
	v_cvt_f32_f64_e32 v2, v[0:1]
	v_mov_b32_e32 v3, 0
	global_store_dwordx2 v[15:16], v[2:3], off
.LBB7_1778:
	s_mov_b32 s3, 0
.LBB7_1779:
	s_andn2_b32 vcc_lo, exec_lo, s3
	s_cbranch_vccnz .LBB7_1781
; %bb.1780:
	v_and_or_b32 v2, 0x1ff, v1, v0
	v_lshrrev_b32_e32 v3, 8, v1
	v_bfe_u32 v5, v1, 20, 11
	v_cmp_ne_u32_e32 vcc_lo, 0, v2
	v_sub_nc_u32_e32 v21, 0x3f1, v5
	v_add_nc_u32_e32 v5, 0xfffffc10, v5
	v_cndmask_b32_e64 v2, 0, 1, vcc_lo
	v_and_or_b32 v2, 0xffe, v3, v2
	v_med3_i32 v3, v21, 0, 13
	v_or_b32_e32 v21, 0x1000, v2
	v_lshrrev_b32_e32 v22, v3, v21
	v_lshlrev_b32_e32 v3, v3, v22
	v_cmp_ne_u32_e32 vcc_lo, v3, v21
	v_lshl_or_b32 v21, v5, 12, v2
	v_cndmask_b32_e64 v3, 0, 1, vcc_lo
	v_cmp_gt_i32_e32 vcc_lo, 1, v5
	v_or_b32_e32 v3, v22, v3
	v_cndmask_b32_e32 v3, v21, v3, vcc_lo
	v_and_b32_e32 v21, 7, v3
	v_lshrrev_b32_e32 v3, 2, v3
	v_cmp_lt_i32_e32 vcc_lo, 5, v21
	v_cndmask_b32_e64 v22, 0, 1, vcc_lo
	v_cmp_eq_u32_e32 vcc_lo, 3, v21
	v_cndmask_b32_e64 v21, 0, 1, vcc_lo
	v_cmp_ne_u32_e32 vcc_lo, 0, v2
	v_or_b32_e32 v21, v21, v22
	v_mov_b32_e32 v22, 0x7e00
	v_add_nc_u32_e32 v3, v3, v21
	v_cndmask_b32_e32 v2, 0x7c00, v22, vcc_lo
	v_cmp_gt_i32_e32 vcc_lo, 31, v5
	v_cndmask_b32_e32 v3, 0x7c00, v3, vcc_lo
	v_cmp_eq_u32_e32 vcc_lo, 0x40f, v5
	v_cndmask_b32_e32 v2, v3, v2, vcc_lo
	v_lshrrev_b32_e32 v3, 16, v1
	v_and_or_b32 v2, 0x8000, v3, v2
	v_and_b32_e32 v2, 0xffff, v2
	global_store_dword v[15:16], v2, off
.LBB7_1781:
	s_mov_b32 s3, 0
.LBB7_1782:
	s_andn2_b32 vcc_lo, exec_lo, s3
	s_cbranch_vccnz .LBB7_1791
; %bb.1783:
	s_cmp_lt_i32 s0, 6
	s_mov_b32 s3, -1
	s_cbranch_scc1 .LBB7_1789
; %bb.1784:
	s_cmp_gt_i32 s0, 6
	s_cbranch_scc0 .LBB7_1786
; %bb.1785:
	s_mov_b32 s3, 0
	global_store_dwordx2 v[15:16], v[0:1], off
.LBB7_1786:
	s_andn2_b32 vcc_lo, exec_lo, s3
	s_cbranch_vccnz .LBB7_1788
; %bb.1787:
	v_cvt_f32_f64_e32 v2, v[0:1]
	global_store_dword v[15:16], v2, off
.LBB7_1788:
	s_mov_b32 s3, 0
.LBB7_1789:
	s_andn2_b32 vcc_lo, exec_lo, s3
	s_cbranch_vccnz .LBB7_1791
; %bb.1790:
	v_and_or_b32 v2, 0x1ff, v1, v0
	v_lshrrev_b32_e32 v3, 8, v1
	v_bfe_u32 v5, v1, 20, 11
	v_cmp_ne_u32_e32 vcc_lo, 0, v2
	v_sub_nc_u32_e32 v21, 0x3f1, v5
	v_add_nc_u32_e32 v5, 0xfffffc10, v5
	v_cndmask_b32_e64 v2, 0, 1, vcc_lo
	v_and_or_b32 v2, 0xffe, v3, v2
	v_med3_i32 v3, v21, 0, 13
	v_or_b32_e32 v21, 0x1000, v2
	v_lshrrev_b32_e32 v22, v3, v21
	v_lshlrev_b32_e32 v3, v3, v22
	v_cmp_ne_u32_e32 vcc_lo, v3, v21
	v_lshl_or_b32 v21, v5, 12, v2
	v_cndmask_b32_e64 v3, 0, 1, vcc_lo
	v_cmp_gt_i32_e32 vcc_lo, 1, v5
	v_or_b32_e32 v3, v22, v3
	v_cndmask_b32_e32 v3, v21, v3, vcc_lo
	v_and_b32_e32 v21, 7, v3
	v_lshrrev_b32_e32 v3, 2, v3
	v_cmp_lt_i32_e32 vcc_lo, 5, v21
	v_cndmask_b32_e64 v22, 0, 1, vcc_lo
	v_cmp_eq_u32_e32 vcc_lo, 3, v21
	v_cndmask_b32_e64 v21, 0, 1, vcc_lo
	v_cmp_ne_u32_e32 vcc_lo, 0, v2
	v_or_b32_e32 v21, v21, v22
	v_mov_b32_e32 v22, 0x7e00
	v_add_nc_u32_e32 v3, v3, v21
	v_cndmask_b32_e32 v2, 0x7c00, v22, vcc_lo
	v_cmp_gt_i32_e32 vcc_lo, 31, v5
	v_cndmask_b32_e32 v3, 0x7c00, v3, vcc_lo
	v_cmp_eq_u32_e32 vcc_lo, 0x40f, v5
	v_cndmask_b32_e32 v2, v3, v2, vcc_lo
	v_lshrrev_b32_e32 v3, 16, v1
	v_and_or_b32 v2, 0x8000, v3, v2
	global_store_short v[15:16], v2, off
.LBB7_1791:
	s_mov_b32 s3, 0
.LBB7_1792:
	s_andn2_b32 vcc_lo, exec_lo, s3
	s_cbranch_vccnz .LBB7_1808
; %bb.1793:
	s_cmp_lt_i32 s0, 2
	s_mov_b32 s3, -1
	s_cbranch_scc1 .LBB7_1803
; %bb.1794:
	s_cmp_lt_i32 s0, 3
	s_cbranch_scc1 .LBB7_1800
; %bb.1795:
	s_cmp_gt_i32 s0, 3
	s_cbranch_scc0 .LBB7_1797
; %bb.1796:
	v_trunc_f64_e32 v[2:3], v[0:1]
	s_mov_b32 s3, 0
	v_ldexp_f64 v[21:22], v[2:3], 0xffffffe0
	v_floor_f64_e32 v[21:22], v[21:22]
	v_fma_f64 v[2:3], 0xc1f00000, v[21:22], v[2:3]
	v_cvt_i32_f64_e32 v22, v[21:22]
	v_cvt_u32_f64_e32 v21, v[2:3]
	global_store_dwordx2 v[15:16], v[21:22], off
.LBB7_1797:
	s_andn2_b32 vcc_lo, exec_lo, s3
	s_cbranch_vccnz .LBB7_1799
; %bb.1798:
	v_cvt_i32_f64_e32 v2, v[0:1]
	global_store_dword v[15:16], v2, off
.LBB7_1799:
	s_mov_b32 s3, 0
.LBB7_1800:
	s_andn2_b32 vcc_lo, exec_lo, s3
	s_cbranch_vccnz .LBB7_1802
; %bb.1801:
	v_cvt_i32_f64_e32 v2, v[0:1]
	global_store_short v[15:16], v2, off
.LBB7_1802:
	s_mov_b32 s3, 0
.LBB7_1803:
	s_andn2_b32 vcc_lo, exec_lo, s3
	s_cbranch_vccnz .LBB7_1808
; %bb.1804:
	s_cmp_gt_i32 s0, 0
	s_mov_b32 s0, -1
	s_cbranch_scc0 .LBB7_1806
; %bb.1805:
	v_cvt_i32_f64_e32 v2, v[0:1]
	s_mov_b32 s0, 0
	global_store_byte v[15:16], v2, off
.LBB7_1806:
	s_andn2_b32 vcc_lo, exec_lo, s0
	s_cbranch_vccnz .LBB7_1808
; %bb.1807:
	v_trunc_f64_e32 v[0:1], v[0:1]
	v_ldexp_f64 v[2:3], v[0:1], 0xffffffe0
	v_floor_f64_e32 v[2:3], v[2:3]
	v_fma_f64 v[0:1], 0xc1f00000, v[2:3], v[0:1]
	v_cvt_u32_f64_e32 v0, v[0:1]
	global_store_byte v[15:16], v0, off
.LBB7_1808:
.LBB7_1809:
	v_mul_f64 v[0:1], v[17:18], v[17:18]
	s_mov_b32 s4, 0xb42fdfa7
	s_mov_b32 s6, 0xf9a43bb8
	;; [unrolled: 1-line block ×6, first 2 shown]
	v_mul_f64 v[35:36], v[23:24], 0.5
	v_and_b32_e32 v5, 1, v7
	v_cmp_class_f64_e64 s0, v[9:10], 0x1f8
	s_lshr_b32 s2, s2, 8
	v_cmp_eq_u32_e32 vcc_lo, 0, v5
	v_fma_f64 v[2:3], v[0:1], s[6:7], s[4:5]
	s_mov_b32 s4, 0x9037ab78
	s_mov_b32 s6, 0x46cc5e42
	;; [unrolled: 1-line block ×4, first 2 shown]
	v_mul_f64 v[21:22], v[0:1], 0.5
	v_fma_f64 v[15:16], v[0:1], s[6:7], s[4:5]
	s_mov_b32 s4, 0xa17f65f6
	s_mov_b32 s6, 0x19e83e5c
	;; [unrolled: 1-line block ×4, first 2 shown]
	v_mul_f64 v[37:38], v[17:18], -v[0:1]
	v_fma_f64 v[2:3], v[0:1], v[2:3], s[10:11]
	v_add_f64 v[33:34], -v[21:22], 1.0
	v_fma_f64 v[15:16], v[0:1], v[15:16], s[4:5]
	s_mov_b32 s4, 0x19f4ec90
	s_mov_b32 s5, 0x3efa01a0
	v_fma_f64 v[2:3], v[0:1], v[2:3], s[6:7]
	s_mov_b32 s6, 0x11110bb3
	s_mov_b32 s7, 0x3f811111
	v_add_f64 v[39:40], -v[33:34], 1.0
	v_fma_f64 v[15:16], v[0:1], v[15:16], s[4:5]
	s_mov_b32 s4, 0x16c16967
	s_mov_b32 s5, 0xbf56c16c
	v_fma_f64 v[2:3], v[0:1], v[2:3], s[6:7]
	s_and_b32 s6, s2, 0xff
	s_cmp_lt_i32 s6, 11
	v_add_f64 v[21:22], v[39:40], -v[21:22]
	v_fma_f64 v[15:16], v[0:1], v[15:16], s[4:5]
	s_mov_b32 s5, 0x3fa55555
	s_mov_b32 s4, 0x55555555
	v_fma_f64 v[2:3], v[37:38], v[2:3], v[35:36]
	v_mul_f64 v[35:36], v[0:1], v[0:1]
	v_fma_f64 v[21:22], v[17:18], -v[23:24], v[21:22]
	v_fma_f64 v[15:16], v[0:1], v[15:16], s[4:5]
	s_mov_b32 s5, 0xbfc55555
	v_fma_f64 v[0:1], v[0:1], v[2:3], -v[23:24]
	v_fma_f64 v[2:3], v[35:36], v[15:16], v[21:22]
	v_fma_f64 v[0:1], v[37:38], s[4:5], v[0:1]
	s_mov_b32 s4, 0
	v_add_f64 v[2:3], v[33:34], v[2:3]
	v_add_f64 v[0:1], v[17:18], -v[0:1]
	v_cndmask_b32_e32 v0, v2, v0, vcc_lo
	v_lshlrev_b32_e32 v2, 30, v7
	v_cndmask_b32_e32 v1, v3, v1, vcc_lo
	v_cndmask_b32_e64 v0, 0, v0, s0
	v_xor_b32_e32 v2, v2, v10
	v_and_b32_e32 v2, 0x80000000, v2
	v_xor_b32_e32 v1, v1, v2
	v_cndmask_b32_e64 v1, 0x7ff80000, v1, s0
	v_add_co_u32 v7, s0, s8, v8
	v_add_co_ci_u32_e64 v8, null, s9, 0, s0
	s_mov_b32 s0, -1
	s_cbranch_scc1 .LBB7_1888
; %bb.1810:
	s_and_b32 s2, 0xffff, s6
	s_mov_b32 s5, -1
	s_mov_b32 s3, 0
	s_cmp_gt_i32 s2, 25
	s_mov_b32 s0, 0
	s_cbranch_scc0 .LBB7_1843
; %bb.1811:
	s_cmp_gt_i32 s2, 28
	s_cbranch_scc0 .LBB7_1826
; %bb.1812:
	s_cmp_gt_i32 s2, 43
	;; [unrolled: 3-line block ×3, first 2 shown]
	s_cbranch_scc0 .LBB7_1816
; %bb.1814:
	s_mov_b32 s0, -1
	s_mov_b32 s5, 0
	s_cmp_eq_u32 s2, 46
	s_cbranch_scc0 .LBB7_1816
; %bb.1815:
	v_cvt_f32_f64_e32 v2, v[0:1]
	s_mov_b32 s0, 0
	s_mov_b32 s4, -1
	v_bfe_u32 v3, v2, 16, 1
	v_cmp_o_f32_e32 vcc_lo, v2, v2
	v_add3_u32 v2, v2, v3, 0x7fff
	v_mov_b32_e32 v3, 0x7fc0
	v_cndmask_b32_sdwa v2, v3, v2, vcc_lo dst_sel:DWORD dst_unused:UNUSED_PAD src0_sel:DWORD src1_sel:WORD_1
	global_store_dword v[7:8], v2, off
.LBB7_1816:
	s_and_b32 vcc_lo, exec_lo, s5
	s_cbranch_vccz .LBB7_1821
; %bb.1817:
	s_cmp_eq_u32 s2, 44
	s_mov_b32 s0, -1
	s_cbranch_scc0 .LBB7_1821
; %bb.1818:
	v_cvt_f32_f64_e32 v2, v[0:1]
	v_mov_b32_e32 v3, 0xff
	s_mov_b32 s4, exec_lo
	v_bfe_u32 v5, v2, 23, 8
	v_cmpx_ne_u32_e32 0xff, v5
	s_cbranch_execz .LBB7_1820
; %bb.1819:
	v_and_b32_e32 v3, 0x400000, v2
	v_and_or_b32 v5, 0x3fffff, v2, v5
	v_lshrrev_b32_e32 v2, 23, v2
	v_cmp_ne_u32_e32 vcc_lo, 0, v3
	v_cmp_ne_u32_e64 s0, 0, v5
	s_and_b32 s0, vcc_lo, s0
	v_cndmask_b32_e64 v3, 0, 1, s0
	v_add_nc_u32_e32 v3, v2, v3
.LBB7_1820:
	s_or_b32 exec_lo, exec_lo, s4
	s_mov_b32 s0, 0
	s_mov_b32 s4, -1
	global_store_byte v[7:8], v3, off
.LBB7_1821:
	s_mov_b32 s5, 0
.LBB7_1822:
	s_and_b32 vcc_lo, exec_lo, s5
	s_cbranch_vccz .LBB7_1825
; %bb.1823:
	s_cmp_eq_u32 s2, 29
	s_mov_b32 s0, -1
	s_cbranch_scc0 .LBB7_1825
; %bb.1824:
	v_trunc_f64_e32 v[2:3], v[0:1]
	s_mov_b32 s0, 0
	s_mov_b32 s4, -1
	v_ldexp_f64 v[9:10], v[2:3], 0xffffffe0
	v_floor_f64_e32 v[9:10], v[9:10]
	v_fma_f64 v[2:3], 0xc1f00000, v[9:10], v[2:3]
	v_cvt_u32_f64_e32 v10, v[9:10]
	v_cvt_u32_f64_e32 v9, v[2:3]
	global_store_dwordx2 v[7:8], v[9:10], off
.LBB7_1825:
	s_mov_b32 s5, 0
.LBB7_1826:
	s_and_b32 vcc_lo, exec_lo, s5
	s_cbranch_vccz .LBB7_1842
; %bb.1827:
	s_cmp_lt_i32 s2, 27
	s_mov_b32 s4, -1
	s_cbranch_scc1 .LBB7_1833
; %bb.1828:
	s_cmp_gt_i32 s2, 27
	s_cbranch_scc0 .LBB7_1830
; %bb.1829:
	v_cvt_u32_f64_e32 v2, v[0:1]
	s_mov_b32 s4, 0
	global_store_dword v[7:8], v2, off
.LBB7_1830:
	s_andn2_b32 vcc_lo, exec_lo, s4
	s_cbranch_vccnz .LBB7_1832
; %bb.1831:
	v_cvt_u32_f64_e32 v2, v[0:1]
	global_store_short v[7:8], v2, off
.LBB7_1832:
	s_mov_b32 s4, 0
.LBB7_1833:
	s_andn2_b32 vcc_lo, exec_lo, s4
	s_cbranch_vccnz .LBB7_1841
; %bb.1834:
	v_cvt_f32_f64_e32 v2, v[0:1]
	v_mov_b32_e32 v5, 0x80
	s_mov_b32 s4, exec_lo
	v_and_b32_e32 v3, 0x7fffffff, v2
	v_cmpx_gt_u32_e32 0x43800000, v3
	s_cbranch_execz .LBB7_1840
; %bb.1835:
	v_cmp_lt_u32_e32 vcc_lo, 0x3bffffff, v3
	s_mov_b32 s5, 0
                                        ; implicit-def: $vgpr3
	s_and_saveexec_b32 s7, vcc_lo
	s_xor_b32 s7, exec_lo, s7
	s_cbranch_execz .LBB7_2172
; %bb.1836:
	v_bfe_u32 v3, v2, 20, 1
	s_mov_b32 s5, exec_lo
	v_add3_u32 v3, v2, v3, 0x487ffff
	v_lshrrev_b32_e32 v3, 20, v3
	s_andn2_saveexec_b32 s7, s7
	s_cbranch_execnz .LBB7_2173
.LBB7_1837:
	s_or_b32 exec_lo, exec_lo, s7
	v_mov_b32_e32 v5, 0
	s_and_saveexec_b32 s7, s5
.LBB7_1838:
	v_lshrrev_b32_e32 v2, 24, v2
	v_and_or_b32 v5, 0x80, v2, v3
.LBB7_1839:
	s_or_b32 exec_lo, exec_lo, s7
.LBB7_1840:
	s_or_b32 exec_lo, exec_lo, s4
	global_store_byte v[7:8], v5, off
.LBB7_1841:
	s_mov_b32 s4, -1
.LBB7_1842:
	s_mov_b32 s5, 0
.LBB7_1843:
	s_and_b32 vcc_lo, exec_lo, s5
	s_cbranch_vccz .LBB7_1883
; %bb.1844:
	s_cmp_gt_i32 s2, 22
	s_mov_b32 s3, -1
	s_cbranch_scc0 .LBB7_1876
; %bb.1845:
	s_cmp_lt_i32 s2, 24
	s_cbranch_scc1 .LBB7_1865
; %bb.1846:
	s_cmp_gt_i32 s2, 24
	s_cbranch_scc0 .LBB7_1854
; %bb.1847:
	v_cvt_f32_f64_e32 v2, v[0:1]
	v_mov_b32_e32 v5, 0x80
	s_mov_b32 s3, exec_lo
	v_and_b32_e32 v3, 0x7fffffff, v2
	v_cmpx_gt_u32_e32 0x47800000, v3
	s_cbranch_execz .LBB7_1853
; %bb.1848:
	v_cmp_lt_u32_e32 vcc_lo, 0x37ffffff, v3
	s_mov_b32 s4, 0
                                        ; implicit-def: $vgpr3
	s_and_saveexec_b32 s5, vcc_lo
	s_xor_b32 s5, exec_lo, s5
	s_cbranch_execz .LBB7_2175
; %bb.1849:
	v_bfe_u32 v3, v2, 21, 1
	s_mov_b32 s4, exec_lo
	v_add3_u32 v3, v2, v3, 0x88fffff
	v_lshrrev_b32_e32 v3, 21, v3
	s_andn2_saveexec_b32 s5, s5
	s_cbranch_execnz .LBB7_2176
.LBB7_1850:
	s_or_b32 exec_lo, exec_lo, s5
	v_mov_b32_e32 v5, 0
	s_and_saveexec_b32 s5, s4
.LBB7_1851:
	v_lshrrev_b32_e32 v2, 24, v2
	v_and_or_b32 v5, 0x80, v2, v3
.LBB7_1852:
	s_or_b32 exec_lo, exec_lo, s5
.LBB7_1853:
	s_or_b32 exec_lo, exec_lo, s3
	s_mov_b32 s3, 0
	global_store_byte v[7:8], v5, off
.LBB7_1854:
	s_and_b32 vcc_lo, exec_lo, s3
	s_cbranch_vccz .LBB7_1864
; %bb.1855:
	v_cvt_f32_f64_e32 v2, v[0:1]
	s_mov_b32 s3, exec_lo
                                        ; implicit-def: $vgpr3
	v_and_b32_e32 v5, 0x7fffffff, v2
	v_cmpx_gt_u32_e32 0x43f00000, v5
	s_xor_b32 s3, exec_lo, s3
	s_cbranch_execz .LBB7_1861
; %bb.1856:
	s_mov_b32 s4, exec_lo
                                        ; implicit-def: $vgpr3
	v_cmpx_lt_u32_e32 0x3c7fffff, v5
	s_xor_b32 s4, exec_lo, s4
; %bb.1857:
	v_bfe_u32 v3, v2, 20, 1
	v_add3_u32 v3, v2, v3, 0x407ffff
	v_and_b32_e32 v5, 0xff00000, v3
	v_lshrrev_b32_e32 v3, 20, v3
	v_cmp_ne_u32_e32 vcc_lo, 0x7f00000, v5
	v_cndmask_b32_e32 v3, 0x7e, v3, vcc_lo
; %bb.1858:
	s_andn2_saveexec_b32 s4, s4
; %bb.1859:
	v_add_f32_e64 v3, 0x46800000, |v2|
; %bb.1860:
	s_or_b32 exec_lo, exec_lo, s4
                                        ; implicit-def: $vgpr5
.LBB7_1861:
	s_andn2_saveexec_b32 s3, s3
; %bb.1862:
	v_mov_b32_e32 v3, 0x7f
	v_cmp_lt_u32_e32 vcc_lo, 0x7f800000, v5
	v_cndmask_b32_e32 v3, 0x7e, v3, vcc_lo
; %bb.1863:
	s_or_b32 exec_lo, exec_lo, s3
	v_lshrrev_b32_e32 v2, 24, v2
	v_and_or_b32 v2, 0x80, v2, v3
	global_store_byte v[7:8], v2, off
.LBB7_1864:
	s_mov_b32 s3, 0
.LBB7_1865:
	s_andn2_b32 vcc_lo, exec_lo, s3
	s_cbranch_vccnz .LBB7_1875
; %bb.1866:
	v_cvt_f32_f64_e32 v2, v[0:1]
	s_mov_b32 s3, exec_lo
                                        ; implicit-def: $vgpr3
	v_and_b32_e32 v5, 0x7fffffff, v2
	v_cmpx_gt_u32_e32 0x47800000, v5
	s_xor_b32 s3, exec_lo, s3
	s_cbranch_execz .LBB7_1872
; %bb.1867:
	s_mov_b32 s4, exec_lo
                                        ; implicit-def: $vgpr3
	v_cmpx_lt_u32_e32 0x387fffff, v5
	s_xor_b32 s4, exec_lo, s4
; %bb.1868:
	v_bfe_u32 v3, v2, 21, 1
	v_add3_u32 v3, v2, v3, 0x80fffff
	v_lshrrev_b32_e32 v3, 21, v3
; %bb.1869:
	s_andn2_saveexec_b32 s4, s4
; %bb.1870:
	v_add_f32_e64 v3, 0x43000000, |v2|
; %bb.1871:
	s_or_b32 exec_lo, exec_lo, s4
                                        ; implicit-def: $vgpr5
.LBB7_1872:
	s_andn2_saveexec_b32 s3, s3
; %bb.1873:
	v_mov_b32_e32 v3, 0x7f
	v_cmp_lt_u32_e32 vcc_lo, 0x7f800000, v5
	v_cndmask_b32_e32 v3, 0x7c, v3, vcc_lo
; %bb.1874:
	s_or_b32 exec_lo, exec_lo, s3
	v_lshrrev_b32_e32 v2, 24, v2
	v_and_or_b32 v2, 0x80, v2, v3
	global_store_byte v[7:8], v2, off
.LBB7_1875:
	s_mov_b32 s3, 0
	s_mov_b32 s4, -1
.LBB7_1876:
	s_andn2_b32 vcc_lo, exec_lo, s3
	s_mov_b32 s3, 0
	s_cbranch_vccnz .LBB7_1883
; %bb.1877:
	s_cmp_gt_i32 s2, 14
	s_mov_b32 s3, -1
	s_cbranch_scc0 .LBB7_1881
; %bb.1878:
	s_cmp_eq_u32 s2, 15
	s_mov_b32 s0, -1
	s_cbranch_scc0 .LBB7_1880
; %bb.1879:
	v_cvt_f32_f64_e32 v2, v[0:1]
	s_mov_b32 s0, 0
	s_mov_b32 s4, -1
	v_bfe_u32 v3, v2, 16, 1
	v_cmp_o_f32_e32 vcc_lo, v2, v2
	v_add3_u32 v2, v2, v3, 0x7fff
	v_mov_b32_e32 v3, 0x7fc0
	v_cndmask_b32_sdwa v2, v3, v2, vcc_lo dst_sel:DWORD dst_unused:UNUSED_PAD src0_sel:DWORD src1_sel:WORD_1
	global_store_short v[7:8], v2, off
.LBB7_1880:
	s_mov_b32 s3, 0
.LBB7_1881:
	s_and_b32 vcc_lo, exec_lo, s3
	s_mov_b32 s3, 0
	s_cbranch_vccz .LBB7_1883
; %bb.1882:
	s_cmp_lg_u32 s2, 11
	s_mov_b32 s3, -1
	s_cselect_b32 s0, -1, 0
.LBB7_1883:
	s_and_b32 vcc_lo, exec_lo, s0
	s_cbranch_vccnz .LBB7_2174
; %bb.1884:
	s_andn2_b32 vcc_lo, exec_lo, s3
	s_cbranch_vccnz .LBB7_1886
.LBB7_1885:
	v_cmp_neq_f64_e32 vcc_lo, 0, v[0:1]
	s_mov_b32 s4, -1
	v_cndmask_b32_e64 v2, 0, 1, vcc_lo
	global_store_byte v[7:8], v2, off
.LBB7_1886:
.LBB7_1887:
	s_andn2_b32 vcc_lo, exec_lo, s4
	s_cbranch_vccz .LBB7_1927
	s_branch .LBB7_2121
.LBB7_1888:
	s_and_b32 vcc_lo, exec_lo, s0
	s_cbranch_vccz .LBB7_1887
; %bb.1889:
	s_and_b32 s0, 0xffff, s6
	s_mov_b32 s2, -1
	s_cmp_lt_i32 s0, 5
	s_cbranch_scc1 .LBB7_1910
; %bb.1890:
	s_cmp_lt_i32 s0, 8
	s_cbranch_scc1 .LBB7_1900
; %bb.1891:
	;; [unrolled: 3-line block ×3, first 2 shown]
	s_cmp_gt_i32 s0, 9
	s_cbranch_scc0 .LBB7_1894
; %bb.1893:
	v_mov_b32_e32 v2, 0
	s_mov_b32 s2, 0
	v_mov_b32_e32 v3, v2
	global_store_dwordx4 v[7:8], v[0:3], off
.LBB7_1894:
	s_andn2_b32 vcc_lo, exec_lo, s2
	s_cbranch_vccnz .LBB7_1896
; %bb.1895:
	v_cvt_f32_f64_e32 v2, v[0:1]
	v_mov_b32_e32 v3, 0
	global_store_dwordx2 v[7:8], v[2:3], off
.LBB7_1896:
	s_mov_b32 s2, 0
.LBB7_1897:
	s_andn2_b32 vcc_lo, exec_lo, s2
	s_cbranch_vccnz .LBB7_1899
; %bb.1898:
	v_and_or_b32 v2, 0x1ff, v1, v0
	v_lshrrev_b32_e32 v3, 8, v1
	v_bfe_u32 v5, v1, 20, 11
	v_cmp_ne_u32_e32 vcc_lo, 0, v2
	v_sub_nc_u32_e32 v9, 0x3f1, v5
	v_add_nc_u32_e32 v5, 0xfffffc10, v5
	v_cndmask_b32_e64 v2, 0, 1, vcc_lo
	v_and_or_b32 v2, 0xffe, v3, v2
	v_med3_i32 v3, v9, 0, 13
	v_or_b32_e32 v9, 0x1000, v2
	v_lshrrev_b32_e32 v10, v3, v9
	v_lshlrev_b32_e32 v3, v3, v10
	v_cmp_ne_u32_e32 vcc_lo, v3, v9
	v_lshl_or_b32 v9, v5, 12, v2
	v_cndmask_b32_e64 v3, 0, 1, vcc_lo
	v_cmp_gt_i32_e32 vcc_lo, 1, v5
	v_or_b32_e32 v3, v10, v3
	v_cndmask_b32_e32 v3, v9, v3, vcc_lo
	v_and_b32_e32 v9, 7, v3
	v_lshrrev_b32_e32 v3, 2, v3
	v_cmp_lt_i32_e32 vcc_lo, 5, v9
	v_cndmask_b32_e64 v10, 0, 1, vcc_lo
	v_cmp_eq_u32_e32 vcc_lo, 3, v9
	v_cndmask_b32_e64 v9, 0, 1, vcc_lo
	v_cmp_ne_u32_e32 vcc_lo, 0, v2
	v_or_b32_e32 v9, v9, v10
	v_mov_b32_e32 v10, 0x7e00
	v_add_nc_u32_e32 v3, v3, v9
	v_cndmask_b32_e32 v2, 0x7c00, v10, vcc_lo
	v_cmp_gt_i32_e32 vcc_lo, 31, v5
	v_cndmask_b32_e32 v3, 0x7c00, v3, vcc_lo
	v_cmp_eq_u32_e32 vcc_lo, 0x40f, v5
	v_cndmask_b32_e32 v2, v3, v2, vcc_lo
	v_lshrrev_b32_e32 v3, 16, v1
	v_and_or_b32 v2, 0x8000, v3, v2
	v_and_b32_e32 v2, 0xffff, v2
	global_store_dword v[7:8], v2, off
.LBB7_1899:
	s_mov_b32 s2, 0
.LBB7_1900:
	s_andn2_b32 vcc_lo, exec_lo, s2
	s_cbranch_vccnz .LBB7_1909
; %bb.1901:
	s_cmp_lt_i32 s0, 6
	s_mov_b32 s2, -1
	s_cbranch_scc1 .LBB7_1907
; %bb.1902:
	s_cmp_gt_i32 s0, 6
	s_cbranch_scc0 .LBB7_1904
; %bb.1903:
	s_mov_b32 s2, 0
	global_store_dwordx2 v[7:8], v[0:1], off
.LBB7_1904:
	s_andn2_b32 vcc_lo, exec_lo, s2
	s_cbranch_vccnz .LBB7_1906
; %bb.1905:
	v_cvt_f32_f64_e32 v2, v[0:1]
	global_store_dword v[7:8], v2, off
.LBB7_1906:
	s_mov_b32 s2, 0
.LBB7_1907:
	s_andn2_b32 vcc_lo, exec_lo, s2
	s_cbranch_vccnz .LBB7_1909
; %bb.1908:
	v_and_or_b32 v2, 0x1ff, v1, v0
	v_lshrrev_b32_e32 v3, 8, v1
	v_bfe_u32 v5, v1, 20, 11
	v_cmp_ne_u32_e32 vcc_lo, 0, v2
	v_sub_nc_u32_e32 v9, 0x3f1, v5
	v_add_nc_u32_e32 v5, 0xfffffc10, v5
	v_cndmask_b32_e64 v2, 0, 1, vcc_lo
	v_and_or_b32 v2, 0xffe, v3, v2
	v_med3_i32 v3, v9, 0, 13
	v_or_b32_e32 v9, 0x1000, v2
	v_lshrrev_b32_e32 v10, v3, v9
	v_lshlrev_b32_e32 v3, v3, v10
	v_cmp_ne_u32_e32 vcc_lo, v3, v9
	v_lshl_or_b32 v9, v5, 12, v2
	v_cndmask_b32_e64 v3, 0, 1, vcc_lo
	v_cmp_gt_i32_e32 vcc_lo, 1, v5
	v_or_b32_e32 v3, v10, v3
	v_cndmask_b32_e32 v3, v9, v3, vcc_lo
	v_and_b32_e32 v9, 7, v3
	v_lshrrev_b32_e32 v3, 2, v3
	v_cmp_lt_i32_e32 vcc_lo, 5, v9
	v_cndmask_b32_e64 v10, 0, 1, vcc_lo
	v_cmp_eq_u32_e32 vcc_lo, 3, v9
	v_cndmask_b32_e64 v9, 0, 1, vcc_lo
	v_cmp_ne_u32_e32 vcc_lo, 0, v2
	v_or_b32_e32 v9, v9, v10
	v_mov_b32_e32 v10, 0x7e00
	v_add_nc_u32_e32 v3, v3, v9
	v_cndmask_b32_e32 v2, 0x7c00, v10, vcc_lo
	v_cmp_gt_i32_e32 vcc_lo, 31, v5
	v_cndmask_b32_e32 v3, 0x7c00, v3, vcc_lo
	v_cmp_eq_u32_e32 vcc_lo, 0x40f, v5
	v_cndmask_b32_e32 v2, v3, v2, vcc_lo
	v_lshrrev_b32_e32 v3, 16, v1
	v_and_or_b32 v2, 0x8000, v3, v2
	global_store_short v[7:8], v2, off
.LBB7_1909:
	s_mov_b32 s2, 0
.LBB7_1910:
	s_andn2_b32 vcc_lo, exec_lo, s2
	s_cbranch_vccnz .LBB7_1926
; %bb.1911:
	s_cmp_lt_i32 s0, 2
	s_mov_b32 s2, -1
	s_cbranch_scc1 .LBB7_1921
; %bb.1912:
	s_cmp_lt_i32 s0, 3
	s_cbranch_scc1 .LBB7_1918
; %bb.1913:
	s_cmp_gt_i32 s0, 3
	s_cbranch_scc0 .LBB7_1915
; %bb.1914:
	v_trunc_f64_e32 v[2:3], v[0:1]
	s_mov_b32 s2, 0
	v_ldexp_f64 v[9:10], v[2:3], 0xffffffe0
	v_floor_f64_e32 v[9:10], v[9:10]
	v_fma_f64 v[2:3], 0xc1f00000, v[9:10], v[2:3]
	v_cvt_i32_f64_e32 v10, v[9:10]
	v_cvt_u32_f64_e32 v9, v[2:3]
	global_store_dwordx2 v[7:8], v[9:10], off
.LBB7_1915:
	s_andn2_b32 vcc_lo, exec_lo, s2
	s_cbranch_vccnz .LBB7_1917
; %bb.1916:
	v_cvt_i32_f64_e32 v2, v[0:1]
	global_store_dword v[7:8], v2, off
.LBB7_1917:
	s_mov_b32 s2, 0
.LBB7_1918:
	s_andn2_b32 vcc_lo, exec_lo, s2
	s_cbranch_vccnz .LBB7_1920
; %bb.1919:
	v_cvt_i32_f64_e32 v2, v[0:1]
	global_store_short v[7:8], v2, off
.LBB7_1920:
	s_mov_b32 s2, 0
.LBB7_1921:
	s_andn2_b32 vcc_lo, exec_lo, s2
	s_cbranch_vccnz .LBB7_1926
; %bb.1922:
	s_cmp_gt_i32 s0, 0
	s_mov_b32 s0, -1
	s_cbranch_scc0 .LBB7_1924
; %bb.1923:
	v_cvt_i32_f64_e32 v2, v[0:1]
	s_mov_b32 s0, 0
	global_store_byte v[7:8], v2, off
.LBB7_1924:
	s_andn2_b32 vcc_lo, exec_lo, s0
	s_cbranch_vccnz .LBB7_1926
; %bb.1925:
	v_trunc_f64_e32 v[0:1], v[0:1]
	v_ldexp_f64 v[2:3], v[0:1], 0xffffffe0
	v_floor_f64_e32 v[2:3], v[2:3]
	v_fma_f64 v[0:1], 0xc1f00000, v[2:3], v[0:1]
	v_cvt_u32_f64_e32 v0, v[0:1]
	global_store_byte v[7:8], v0, off
.LBB7_1926:
.LBB7_1927:
	v_mul_f64 v[0:1], v[19:20], v[19:20]
	s_mov_b32 s2, 0xb42fdfa7
	s_mov_b32 s4, 0xf9a43bb8
	;; [unrolled: 1-line block ×6, first 2 shown]
	v_mul_f64 v[17:18], v[27:28], 0.5
	v_and_b32_e32 v5, 1, v31
	v_cmp_class_f64_e64 s0, v[11:12], 0x1f8
	s_cmp_lt_i32 s6, 11
	v_cmp_eq_u32_e32 vcc_lo, 0, v5
	v_fma_f64 v[2:3], v[0:1], s[4:5], s[2:3]
	s_mov_b32 s2, 0x9037ab78
	s_mov_b32 s4, 0x46cc5e42
	;; [unrolled: 1-line block ×4, first 2 shown]
	v_mul_f64 v[9:10], v[0:1], 0.5
	v_fma_f64 v[7:8], v[0:1], s[4:5], s[2:3]
	s_mov_b32 s2, 0xa17f65f6
	s_mov_b32 s4, 0x19e83e5c
	;; [unrolled: 1-line block ×4, first 2 shown]
	v_mul_f64 v[21:22], v[19:20], -v[0:1]
	v_fma_f64 v[2:3], v[0:1], v[2:3], s[10:11]
	v_add_f64 v[15:16], -v[9:10], 1.0
	v_fma_f64 v[7:8], v[0:1], v[7:8], s[2:3]
	s_mov_b32 s2, 0x19f4ec90
	s_mov_b32 s3, 0x3efa01a0
	v_fma_f64 v[2:3], v[0:1], v[2:3], s[4:5]
	s_mov_b32 s4, 0x11110bb3
	s_mov_b32 s5, 0x3f811111
	v_add_f64 v[23:24], -v[15:16], 1.0
	v_fma_f64 v[7:8], v[0:1], v[7:8], s[2:3]
	s_mov_b32 s2, 0x16c16967
	s_mov_b32 s3, 0xbf56c16c
	v_fma_f64 v[2:3], v[0:1], v[2:3], s[4:5]
	s_mov_b32 s4, 0
	v_add_f64 v[9:10], v[23:24], -v[9:10]
	v_fma_f64 v[7:8], v[0:1], v[7:8], s[2:3]
	s_mov_b32 s3, 0x3fa55555
	s_mov_b32 s2, 0x55555555
	v_fma_f64 v[2:3], v[21:22], v[2:3], v[17:18]
	v_mul_f64 v[17:18], v[0:1], v[0:1]
	v_fma_f64 v[9:10], v[19:20], -v[27:28], v[9:10]
	v_fma_f64 v[7:8], v[0:1], v[7:8], s[2:3]
	s_mov_b32 s3, 0xbfc55555
	v_fma_f64 v[0:1], v[0:1], v[2:3], -v[27:28]
	v_fma_f64 v[2:3], v[17:18], v[7:8], v[9:10]
	v_fma_f64 v[0:1], v[21:22], s[2:3], v[0:1]
	v_add_f64 v[2:3], v[15:16], v[2:3]
	v_add_f64 v[0:1], v[19:20], -v[0:1]
	v_cndmask_b32_e32 v0, v2, v0, vcc_lo
	v_lshlrev_b32_e32 v2, 30, v31
	v_cndmask_b32_e32 v1, v3, v1, vcc_lo
	v_cndmask_b32_e64 v0, 0, v0, s0
	v_xor_b32_e32 v2, v2, v12
	v_and_b32_e32 v2, 0x80000000, v2
	v_xor_b32_e32 v1, v1, v2
	v_cndmask_b32_e64 v1, 0x7ff80000, v1, s0
	v_add_co_u32 v5, s0, s8, v6
	v_add_co_ci_u32_e64 v6, null, s9, 0, s0
	s_mov_b32 s0, -1
	s_cbranch_scc1 .LBB7_2082
; %bb.1928:
	s_and_b32 s2, 0xffff, s6
	s_mov_b32 s5, -1
	s_mov_b32 s3, 0
	s_cmp_gt_i32 s2, 25
	s_mov_b32 s0, 0
	s_cbranch_scc0 .LBB7_1961
; %bb.1929:
	s_cmp_gt_i32 s2, 28
	s_cbranch_scc0 .LBB7_1944
; %bb.1930:
	s_cmp_gt_i32 s2, 43
	;; [unrolled: 3-line block ×3, first 2 shown]
	s_cbranch_scc0 .LBB7_1934
; %bb.1932:
	s_mov_b32 s0, -1
	s_mov_b32 s5, 0
	s_cmp_eq_u32 s2, 46
	s_cbranch_scc0 .LBB7_1934
; %bb.1933:
	v_cvt_f32_f64_e32 v2, v[0:1]
	s_mov_b32 s0, 0
	s_mov_b32 s4, -1
	v_bfe_u32 v3, v2, 16, 1
	v_cmp_o_f32_e32 vcc_lo, v2, v2
	v_add3_u32 v2, v2, v3, 0x7fff
	v_mov_b32_e32 v3, 0x7fc0
	v_cndmask_b32_sdwa v2, v3, v2, vcc_lo dst_sel:DWORD dst_unused:UNUSED_PAD src0_sel:DWORD src1_sel:WORD_1
	global_store_dword v[5:6], v2, off
.LBB7_1934:
	s_and_b32 vcc_lo, exec_lo, s5
	s_cbranch_vccz .LBB7_1939
; %bb.1935:
	s_cmp_eq_u32 s2, 44
	s_mov_b32 s0, -1
	s_cbranch_scc0 .LBB7_1939
; %bb.1936:
	v_cvt_f32_f64_e32 v2, v[0:1]
	v_mov_b32_e32 v3, 0xff
	s_mov_b32 s4, exec_lo
	v_bfe_u32 v7, v2, 23, 8
	v_cmpx_ne_u32_e32 0xff, v7
	s_cbranch_execz .LBB7_1938
; %bb.1937:
	v_and_b32_e32 v3, 0x400000, v2
	v_and_or_b32 v7, 0x3fffff, v2, v7
	v_lshrrev_b32_e32 v2, 23, v2
	v_cmp_ne_u32_e32 vcc_lo, 0, v3
	v_cmp_ne_u32_e64 s0, 0, v7
	s_and_b32 s0, vcc_lo, s0
	v_cndmask_b32_e64 v3, 0, 1, s0
	v_add_nc_u32_e32 v3, v2, v3
.LBB7_1938:
	s_or_b32 exec_lo, exec_lo, s4
	s_mov_b32 s0, 0
	s_mov_b32 s4, -1
	global_store_byte v[5:6], v3, off
.LBB7_1939:
	s_mov_b32 s5, 0
.LBB7_1940:
	s_and_b32 vcc_lo, exec_lo, s5
	s_cbranch_vccz .LBB7_1943
; %bb.1941:
	s_cmp_eq_u32 s2, 29
	s_mov_b32 s0, -1
	s_cbranch_scc0 .LBB7_1943
; %bb.1942:
	v_trunc_f64_e32 v[2:3], v[0:1]
	s_mov_b32 s0, 0
	s_mov_b32 s4, -1
	v_ldexp_f64 v[7:8], v[2:3], 0xffffffe0
	v_floor_f64_e32 v[7:8], v[7:8]
	v_fma_f64 v[2:3], 0xc1f00000, v[7:8], v[2:3]
	v_cvt_u32_f64_e32 v8, v[7:8]
	v_cvt_u32_f64_e32 v7, v[2:3]
	global_store_dwordx2 v[5:6], v[7:8], off
.LBB7_1943:
	s_mov_b32 s5, 0
.LBB7_1944:
	s_and_b32 vcc_lo, exec_lo, s5
	s_cbranch_vccz .LBB7_1960
; %bb.1945:
	s_cmp_lt_i32 s2, 27
	s_mov_b32 s4, -1
	s_cbranch_scc1 .LBB7_1951
; %bb.1946:
	v_cvt_u32_f64_e32 v2, v[0:1]
	s_cmp_gt_i32 s2, 27
	s_cbranch_scc0 .LBB7_1948
; %bb.1947:
	s_mov_b32 s4, 0
	global_store_dword v[5:6], v2, off
.LBB7_1948:
	s_andn2_b32 vcc_lo, exec_lo, s4
	s_cbranch_vccnz .LBB7_1950
; %bb.1949:
	global_store_short v[5:6], v2, off
.LBB7_1950:
	s_mov_b32 s4, 0
.LBB7_1951:
	s_andn2_b32 vcc_lo, exec_lo, s4
	s_cbranch_vccnz .LBB7_1959
; %bb.1952:
	v_cvt_f32_f64_e32 v2, v[0:1]
	v_mov_b32_e32 v7, 0x80
	s_mov_b32 s4, exec_lo
	v_and_b32_e32 v3, 0x7fffffff, v2
	v_cmpx_gt_u32_e32 0x43800000, v3
	s_cbranch_execz .LBB7_1958
; %bb.1953:
	v_cmp_lt_u32_e32 vcc_lo, 0x3bffffff, v3
	s_mov_b32 s5, 0
                                        ; implicit-def: $vgpr3
	s_and_saveexec_b32 s7, vcc_lo
	s_xor_b32 s7, exec_lo, s7
	s_cbranch_execz .LBB7_2177
; %bb.1954:
	v_bfe_u32 v3, v2, 20, 1
	s_mov_b32 s5, exec_lo
	v_add3_u32 v3, v2, v3, 0x487ffff
	v_lshrrev_b32_e32 v3, 20, v3
	s_andn2_saveexec_b32 s7, s7
	s_cbranch_execnz .LBB7_2178
.LBB7_1955:
	s_or_b32 exec_lo, exec_lo, s7
	v_mov_b32_e32 v7, 0
	s_and_saveexec_b32 s7, s5
.LBB7_1956:
	v_lshrrev_b32_e32 v2, 24, v2
	v_and_or_b32 v7, 0x80, v2, v3
.LBB7_1957:
	s_or_b32 exec_lo, exec_lo, s7
.LBB7_1958:
	s_or_b32 exec_lo, exec_lo, s4
	global_store_byte v[5:6], v7, off
.LBB7_1959:
	s_mov_b32 s4, -1
.LBB7_1960:
	s_mov_b32 s5, 0
.LBB7_1961:
	s_and_b32 vcc_lo, exec_lo, s5
	s_cbranch_vccz .LBB7_2001
; %bb.1962:
	s_cmp_gt_i32 s2, 22
	s_mov_b32 s3, -1
	s_cbranch_scc0 .LBB7_1994
; %bb.1963:
	s_cmp_lt_i32 s2, 24
	s_cbranch_scc1 .LBB7_1983
; %bb.1964:
	s_cmp_gt_i32 s2, 24
	s_cbranch_scc0 .LBB7_1972
; %bb.1965:
	v_cvt_f32_f64_e32 v2, v[0:1]
	v_mov_b32_e32 v7, 0x80
	s_mov_b32 s3, exec_lo
	v_and_b32_e32 v3, 0x7fffffff, v2
	v_cmpx_gt_u32_e32 0x47800000, v3
	s_cbranch_execz .LBB7_1971
; %bb.1966:
	v_cmp_lt_u32_e32 vcc_lo, 0x37ffffff, v3
	s_mov_b32 s4, 0
                                        ; implicit-def: $vgpr3
	s_and_saveexec_b32 s5, vcc_lo
	s_xor_b32 s5, exec_lo, s5
	s_cbranch_execz .LBB7_2180
; %bb.1967:
	v_bfe_u32 v3, v2, 21, 1
	s_mov_b32 s4, exec_lo
	v_add3_u32 v3, v2, v3, 0x88fffff
	v_lshrrev_b32_e32 v3, 21, v3
	s_andn2_saveexec_b32 s5, s5
	s_cbranch_execnz .LBB7_2181
.LBB7_1968:
	s_or_b32 exec_lo, exec_lo, s5
	v_mov_b32_e32 v7, 0
	s_and_saveexec_b32 s5, s4
.LBB7_1969:
	v_lshrrev_b32_e32 v2, 24, v2
	v_and_or_b32 v7, 0x80, v2, v3
.LBB7_1970:
	s_or_b32 exec_lo, exec_lo, s5
.LBB7_1971:
	s_or_b32 exec_lo, exec_lo, s3
	s_mov_b32 s3, 0
	global_store_byte v[5:6], v7, off
.LBB7_1972:
	s_and_b32 vcc_lo, exec_lo, s3
	s_cbranch_vccz .LBB7_1982
; %bb.1973:
	v_cvt_f32_f64_e32 v2, v[0:1]
	s_mov_b32 s3, exec_lo
                                        ; implicit-def: $vgpr3
	v_and_b32_e32 v7, 0x7fffffff, v2
	v_cmpx_gt_u32_e32 0x43f00000, v7
	s_xor_b32 s3, exec_lo, s3
	s_cbranch_execz .LBB7_1979
; %bb.1974:
	s_mov_b32 s4, exec_lo
                                        ; implicit-def: $vgpr3
	v_cmpx_lt_u32_e32 0x3c7fffff, v7
	s_xor_b32 s4, exec_lo, s4
; %bb.1975:
	v_bfe_u32 v3, v2, 20, 1
	v_add3_u32 v3, v2, v3, 0x407ffff
	v_and_b32_e32 v7, 0xff00000, v3
	v_lshrrev_b32_e32 v3, 20, v3
	v_cmp_ne_u32_e32 vcc_lo, 0x7f00000, v7
	v_cndmask_b32_e32 v3, 0x7e, v3, vcc_lo
; %bb.1976:
	s_andn2_saveexec_b32 s4, s4
; %bb.1977:
	v_add_f32_e64 v3, 0x46800000, |v2|
; %bb.1978:
	s_or_b32 exec_lo, exec_lo, s4
                                        ; implicit-def: $vgpr7
.LBB7_1979:
	s_andn2_saveexec_b32 s3, s3
; %bb.1980:
	v_mov_b32_e32 v3, 0x7f
	v_cmp_lt_u32_e32 vcc_lo, 0x7f800000, v7
	v_cndmask_b32_e32 v3, 0x7e, v3, vcc_lo
; %bb.1981:
	s_or_b32 exec_lo, exec_lo, s3
	v_lshrrev_b32_e32 v2, 24, v2
	v_and_or_b32 v2, 0x80, v2, v3
	global_store_byte v[5:6], v2, off
.LBB7_1982:
	s_mov_b32 s3, 0
.LBB7_1983:
	s_andn2_b32 vcc_lo, exec_lo, s3
	s_cbranch_vccnz .LBB7_1993
; %bb.1984:
	v_cvt_f32_f64_e32 v2, v[0:1]
	s_mov_b32 s3, exec_lo
                                        ; implicit-def: $vgpr3
	v_and_b32_e32 v7, 0x7fffffff, v2
	v_cmpx_gt_u32_e32 0x47800000, v7
	s_xor_b32 s3, exec_lo, s3
	s_cbranch_execz .LBB7_1990
; %bb.1985:
	s_mov_b32 s4, exec_lo
                                        ; implicit-def: $vgpr3
	v_cmpx_lt_u32_e32 0x387fffff, v7
	s_xor_b32 s4, exec_lo, s4
; %bb.1986:
	v_bfe_u32 v3, v2, 21, 1
	v_add3_u32 v3, v2, v3, 0x80fffff
	v_lshrrev_b32_e32 v3, 21, v3
; %bb.1987:
	s_andn2_saveexec_b32 s4, s4
; %bb.1988:
	v_add_f32_e64 v3, 0x43000000, |v2|
; %bb.1989:
	s_or_b32 exec_lo, exec_lo, s4
                                        ; implicit-def: $vgpr7
.LBB7_1990:
	s_andn2_saveexec_b32 s3, s3
; %bb.1991:
	v_mov_b32_e32 v3, 0x7f
	v_cmp_lt_u32_e32 vcc_lo, 0x7f800000, v7
	v_cndmask_b32_e32 v3, 0x7c, v3, vcc_lo
; %bb.1992:
	s_or_b32 exec_lo, exec_lo, s3
	v_lshrrev_b32_e32 v2, 24, v2
	v_and_or_b32 v2, 0x80, v2, v3
	global_store_byte v[5:6], v2, off
.LBB7_1993:
	s_mov_b32 s3, 0
	s_mov_b32 s4, -1
.LBB7_1994:
	s_andn2_b32 vcc_lo, exec_lo, s3
	s_mov_b32 s3, 0
	s_cbranch_vccnz .LBB7_2001
; %bb.1995:
	s_cmp_gt_i32 s2, 14
	s_mov_b32 s3, -1
	s_cbranch_scc0 .LBB7_1999
; %bb.1996:
	s_cmp_eq_u32 s2, 15
	s_mov_b32 s0, -1
	s_cbranch_scc0 .LBB7_1998
; %bb.1997:
	v_cvt_f32_f64_e32 v2, v[0:1]
	s_mov_b32 s0, 0
	s_mov_b32 s4, -1
	v_bfe_u32 v3, v2, 16, 1
	v_cmp_o_f32_e32 vcc_lo, v2, v2
	v_add3_u32 v2, v2, v3, 0x7fff
	v_mov_b32_e32 v3, 0x7fc0
	v_cndmask_b32_sdwa v2, v3, v2, vcc_lo dst_sel:DWORD dst_unused:UNUSED_PAD src0_sel:DWORD src1_sel:WORD_1
	global_store_short v[5:6], v2, off
.LBB7_1998:
	s_mov_b32 s3, 0
.LBB7_1999:
	s_and_b32 vcc_lo, exec_lo, s3
	s_mov_b32 s3, 0
	s_cbranch_vccz .LBB7_2001
; %bb.2000:
	s_cmp_lg_u32 s2, 11
	s_mov_b32 s3, -1
	s_cselect_b32 s0, -1, 0
.LBB7_2001:
	s_and_b32 vcc_lo, exec_lo, s0
	s_cbranch_vccnz .LBB7_2179
; %bb.2002:
	s_andn2_b32 vcc_lo, exec_lo, s3
	s_cbranch_vccnz .LBB7_2004
.LBB7_2003:
	v_cmp_neq_f64_e32 vcc_lo, 0, v[0:1]
	s_mov_b32 s4, -1
	v_cndmask_b32_e64 v2, 0, 1, vcc_lo
	global_store_byte v[5:6], v2, off
.LBB7_2004:
.LBB7_2005:
	s_andn2_b32 vcc_lo, exec_lo, s4
	s_cbranch_vccnz .LBB7_2121
.LBB7_2006:
	v_mul_f64 v[0:1], v[25:26], v[25:26]
	s_mov_b32 s2, 0xb42fdfa7
	s_mov_b32 s4, 0xf9a43bb8
	;; [unrolled: 1-line block ×6, first 2 shown]
	v_mul_f64 v[11:12], v[29:30], 0.5
	v_cmp_class_f64_e64 s0, v[13:14], 0x1f8
	s_cmp_lt_i32 s6, 11
	v_fma_f64 v[2:3], v[0:1], s[4:5], s[2:3]
	s_mov_b32 s2, 0x9037ab78
	s_mov_b32 s4, 0x46cc5e42
	;; [unrolled: 1-line block ×4, first 2 shown]
	v_mul_f64 v[7:8], v[0:1], 0.5
	v_fma_f64 v[5:6], v[0:1], s[4:5], s[2:3]
	s_mov_b32 s2, 0xa17f65f6
	s_mov_b32 s4, 0x19e83e5c
	;; [unrolled: 1-line block ×4, first 2 shown]
	v_mul_f64 v[15:16], v[25:26], -v[0:1]
	v_fma_f64 v[2:3], v[0:1], v[2:3], s[10:11]
	v_add_f64 v[9:10], -v[7:8], 1.0
	v_fma_f64 v[5:6], v[0:1], v[5:6], s[2:3]
	s_mov_b32 s2, 0x19f4ec90
	s_mov_b32 s3, 0x3efa01a0
	v_fma_f64 v[2:3], v[0:1], v[2:3], s[4:5]
	s_mov_b32 s4, 0x11110bb3
	s_mov_b32 s5, 0x3f811111
	v_add_f64 v[17:18], -v[9:10], 1.0
	v_fma_f64 v[5:6], v[0:1], v[5:6], s[2:3]
	s_mov_b32 s2, 0x16c16967
	s_mov_b32 s3, 0xbf56c16c
	v_fma_f64 v[2:3], v[0:1], v[2:3], s[4:5]
	v_add_f64 v[7:8], v[17:18], -v[7:8]
	v_fma_f64 v[5:6], v[0:1], v[5:6], s[2:3]
	s_mov_b32 s3, 0x3fa55555
	s_mov_b32 s2, 0x55555555
	v_fma_f64 v[2:3], v[15:16], v[2:3], v[11:12]
	v_mul_f64 v[11:12], v[0:1], v[0:1]
	v_fma_f64 v[7:8], v[25:26], -v[29:30], v[7:8]
	v_fma_f64 v[5:6], v[0:1], v[5:6], s[2:3]
	s_mov_b32 s3, 0xbfc55555
	v_fma_f64 v[0:1], v[0:1], v[2:3], -v[29:30]
	v_fma_f64 v[2:3], v[11:12], v[5:6], v[7:8]
	v_and_b32_e32 v5, 1, v32
	v_cmp_eq_u32_e32 vcc_lo, 0, v5
	v_fma_f64 v[0:1], v[15:16], s[2:3], v[0:1]
	s_mov_b32 s3, 0
	v_add_f64 v[2:3], v[9:10], v[2:3]
	v_add_f64 v[0:1], v[25:26], -v[0:1]
	v_cndmask_b32_e32 v0, v2, v0, vcc_lo
	v_lshlrev_b32_e32 v2, 30, v32
	v_cndmask_b32_e32 v1, v3, v1, vcc_lo
	v_cndmask_b32_e64 v0, 0, v0, s0
	v_xor_b32_e32 v2, v2, v14
	v_and_b32_e32 v2, 0x80000000, v2
	v_xor_b32_e32 v1, v1, v2
	v_cndmask_b32_e64 v1, 0x7ff80000, v1, s0
	v_add_co_u32 v4, s0, s8, v4
	v_add_co_ci_u32_e64 v5, null, s9, 0, s0
	s_mov_b32 s0, -1
	s_cbranch_scc1 .LBB7_2122
; %bb.2007:
	s_and_b32 s2, 0xffff, s6
	s_mov_b32 s4, -1
	s_cmp_gt_i32 s2, 25
	s_mov_b32 s0, 0
	s_cbranch_scc0 .LBB7_2040
; %bb.2008:
	s_cmp_gt_i32 s2, 28
	s_cbranch_scc0 .LBB7_2024
; %bb.2009:
	s_cmp_gt_i32 s2, 43
	;; [unrolled: 3-line block ×3, first 2 shown]
	s_cbranch_scc0 .LBB7_2014
; %bb.2011:
	s_cmp_eq_u32 s2, 46
	s_mov_b32 s0, -1
	s_cbranch_scc0 .LBB7_2013
; %bb.2012:
	v_cvt_f32_f64_e32 v2, v[0:1]
	s_mov_b32 s0, 0
	v_bfe_u32 v3, v2, 16, 1
	v_cmp_o_f32_e32 vcc_lo, v2, v2
	v_add3_u32 v2, v2, v3, 0x7fff
	v_mov_b32_e32 v3, 0x7fc0
	v_cndmask_b32_sdwa v2, v3, v2, vcc_lo dst_sel:DWORD dst_unused:UNUSED_PAD src0_sel:DWORD src1_sel:WORD_1
	global_store_dword v[4:5], v2, off
.LBB7_2013:
	s_mov_b32 s4, 0
.LBB7_2014:
	s_and_b32 vcc_lo, exec_lo, s4
	s_cbranch_vccz .LBB7_2019
; %bb.2015:
	s_cmp_eq_u32 s2, 44
	s_mov_b32 s0, -1
	s_cbranch_scc0 .LBB7_2019
; %bb.2016:
	v_cvt_f32_f64_e32 v2, v[0:1]
	v_mov_b32_e32 v3, 0xff
	s_mov_b32 s4, exec_lo
	v_bfe_u32 v6, v2, 23, 8
	v_cmpx_ne_u32_e32 0xff, v6
	s_cbranch_execz .LBB7_2018
; %bb.2017:
	v_and_b32_e32 v3, 0x400000, v2
	v_and_or_b32 v6, 0x3fffff, v2, v6
	v_lshrrev_b32_e32 v2, 23, v2
	v_cmp_ne_u32_e32 vcc_lo, 0, v3
	v_cmp_ne_u32_e64 s0, 0, v6
	s_and_b32 s0, vcc_lo, s0
	v_cndmask_b32_e64 v3, 0, 1, s0
	v_add_nc_u32_e32 v3, v2, v3
.LBB7_2018:
	s_or_b32 exec_lo, exec_lo, s4
	s_mov_b32 s0, 0
	global_store_byte v[4:5], v3, off
.LBB7_2019:
	s_mov_b32 s4, 0
.LBB7_2020:
	s_and_b32 vcc_lo, exec_lo, s4
	s_cbranch_vccz .LBB7_2023
; %bb.2021:
	s_cmp_eq_u32 s2, 29
	s_mov_b32 s0, -1
	s_cbranch_scc0 .LBB7_2023
; %bb.2022:
	v_trunc_f64_e32 v[2:3], v[0:1]
	s_mov_b32 s0, 0
	v_ldexp_f64 v[6:7], v[2:3], 0xffffffe0
	v_floor_f64_e32 v[6:7], v[6:7]
	v_fma_f64 v[2:3], 0xc1f00000, v[6:7], v[2:3]
	v_cvt_u32_f64_e32 v7, v[6:7]
	v_cvt_u32_f64_e32 v6, v[2:3]
	global_store_dwordx2 v[4:5], v[6:7], off
.LBB7_2023:
	s_mov_b32 s4, 0
.LBB7_2024:
	s_and_b32 vcc_lo, exec_lo, s4
	s_cbranch_vccz .LBB7_2039
; %bb.2025:
	s_cmp_lt_i32 s2, 27
	s_mov_b32 s4, -1
	s_cbranch_scc1 .LBB7_2031
; %bb.2026:
	s_cmp_gt_i32 s2, 27
	s_cbranch_scc0 .LBB7_2028
; %bb.2027:
	v_cvt_u32_f64_e32 v2, v[0:1]
	s_mov_b32 s4, 0
	global_store_dword v[4:5], v2, off
.LBB7_2028:
	s_andn2_b32 vcc_lo, exec_lo, s4
	s_cbranch_vccnz .LBB7_2030
; %bb.2029:
	v_cvt_u32_f64_e32 v2, v[0:1]
	global_store_short v[4:5], v2, off
.LBB7_2030:
	s_mov_b32 s4, 0
.LBB7_2031:
	s_andn2_b32 vcc_lo, exec_lo, s4
	s_cbranch_vccnz .LBB7_2039
; %bb.2032:
	v_cvt_f32_f64_e32 v2, v[0:1]
	v_mov_b32_e32 v6, 0x80
	s_mov_b32 s4, exec_lo
	v_and_b32_e32 v3, 0x7fffffff, v2
	v_cmpx_gt_u32_e32 0x43800000, v3
	s_cbranch_execz .LBB7_2038
; %bb.2033:
	v_cmp_lt_u32_e32 vcc_lo, 0x3bffffff, v3
	s_mov_b32 s5, 0
                                        ; implicit-def: $vgpr3
	s_and_saveexec_b32 s7, vcc_lo
	s_xor_b32 s7, exec_lo, s7
	s_cbranch_execz .LBB7_2182
; %bb.2034:
	v_bfe_u32 v3, v2, 20, 1
	s_mov_b32 s5, exec_lo
	v_add3_u32 v3, v2, v3, 0x487ffff
	v_lshrrev_b32_e32 v3, 20, v3
	s_andn2_saveexec_b32 s7, s7
	s_cbranch_execnz .LBB7_2183
.LBB7_2035:
	s_or_b32 exec_lo, exec_lo, s7
	v_mov_b32_e32 v6, 0
	s_and_saveexec_b32 s7, s5
.LBB7_2036:
	v_lshrrev_b32_e32 v2, 24, v2
	v_and_or_b32 v6, 0x80, v2, v3
.LBB7_2037:
	s_or_b32 exec_lo, exec_lo, s7
.LBB7_2038:
	s_or_b32 exec_lo, exec_lo, s4
	global_store_byte v[4:5], v6, off
.LBB7_2039:
	s_mov_b32 s4, 0
.LBB7_2040:
	s_and_b32 vcc_lo, exec_lo, s4
	s_cbranch_vccz .LBB7_2080
; %bb.2041:
	s_cmp_gt_i32 s2, 22
	s_mov_b32 s3, -1
	s_cbranch_scc0 .LBB7_2073
; %bb.2042:
	s_cmp_lt_i32 s2, 24
	s_cbranch_scc1 .LBB7_2062
; %bb.2043:
	s_cmp_gt_i32 s2, 24
	s_cbranch_scc0 .LBB7_2051
; %bb.2044:
	v_cvt_f32_f64_e32 v2, v[0:1]
	v_mov_b32_e32 v6, 0x80
	s_mov_b32 s3, exec_lo
	v_and_b32_e32 v3, 0x7fffffff, v2
	v_cmpx_gt_u32_e32 0x47800000, v3
	s_cbranch_execz .LBB7_2050
; %bb.2045:
	v_cmp_lt_u32_e32 vcc_lo, 0x37ffffff, v3
	s_mov_b32 s4, 0
                                        ; implicit-def: $vgpr3
	s_and_saveexec_b32 s5, vcc_lo
	s_xor_b32 s5, exec_lo, s5
	s_cbranch_execz .LBB7_2185
; %bb.2046:
	v_bfe_u32 v3, v2, 21, 1
	s_mov_b32 s4, exec_lo
	v_add3_u32 v3, v2, v3, 0x88fffff
	v_lshrrev_b32_e32 v3, 21, v3
	s_andn2_saveexec_b32 s5, s5
	s_cbranch_execnz .LBB7_2186
.LBB7_2047:
	s_or_b32 exec_lo, exec_lo, s5
	v_mov_b32_e32 v6, 0
	s_and_saveexec_b32 s5, s4
.LBB7_2048:
	v_lshrrev_b32_e32 v2, 24, v2
	v_and_or_b32 v6, 0x80, v2, v3
.LBB7_2049:
	s_or_b32 exec_lo, exec_lo, s5
.LBB7_2050:
	s_or_b32 exec_lo, exec_lo, s3
	s_mov_b32 s3, 0
	global_store_byte v[4:5], v6, off
.LBB7_2051:
	s_and_b32 vcc_lo, exec_lo, s3
	s_cbranch_vccz .LBB7_2061
; %bb.2052:
	v_cvt_f32_f64_e32 v2, v[0:1]
	s_mov_b32 s3, exec_lo
                                        ; implicit-def: $vgpr3
	v_and_b32_e32 v6, 0x7fffffff, v2
	v_cmpx_gt_u32_e32 0x43f00000, v6
	s_xor_b32 s3, exec_lo, s3
	s_cbranch_execz .LBB7_2058
; %bb.2053:
	s_mov_b32 s4, exec_lo
                                        ; implicit-def: $vgpr3
	v_cmpx_lt_u32_e32 0x3c7fffff, v6
	s_xor_b32 s4, exec_lo, s4
; %bb.2054:
	v_bfe_u32 v3, v2, 20, 1
	v_add3_u32 v3, v2, v3, 0x407ffff
	v_and_b32_e32 v6, 0xff00000, v3
	v_lshrrev_b32_e32 v3, 20, v3
	v_cmp_ne_u32_e32 vcc_lo, 0x7f00000, v6
	v_cndmask_b32_e32 v3, 0x7e, v3, vcc_lo
; %bb.2055:
	s_andn2_saveexec_b32 s4, s4
; %bb.2056:
	v_add_f32_e64 v3, 0x46800000, |v2|
; %bb.2057:
	s_or_b32 exec_lo, exec_lo, s4
                                        ; implicit-def: $vgpr6
.LBB7_2058:
	s_andn2_saveexec_b32 s3, s3
; %bb.2059:
	v_mov_b32_e32 v3, 0x7f
	v_cmp_lt_u32_e32 vcc_lo, 0x7f800000, v6
	v_cndmask_b32_e32 v3, 0x7e, v3, vcc_lo
; %bb.2060:
	s_or_b32 exec_lo, exec_lo, s3
	v_lshrrev_b32_e32 v2, 24, v2
	v_and_or_b32 v2, 0x80, v2, v3
	global_store_byte v[4:5], v2, off
.LBB7_2061:
	s_mov_b32 s3, 0
.LBB7_2062:
	s_andn2_b32 vcc_lo, exec_lo, s3
	s_cbranch_vccnz .LBB7_2072
; %bb.2063:
	v_cvt_f32_f64_e32 v2, v[0:1]
	s_mov_b32 s3, exec_lo
                                        ; implicit-def: $vgpr3
	v_and_b32_e32 v6, 0x7fffffff, v2
	v_cmpx_gt_u32_e32 0x47800000, v6
	s_xor_b32 s3, exec_lo, s3
	s_cbranch_execz .LBB7_2069
; %bb.2064:
	s_mov_b32 s4, exec_lo
                                        ; implicit-def: $vgpr3
	v_cmpx_lt_u32_e32 0x387fffff, v6
	s_xor_b32 s4, exec_lo, s4
; %bb.2065:
	v_bfe_u32 v3, v2, 21, 1
	v_add3_u32 v3, v2, v3, 0x80fffff
	v_lshrrev_b32_e32 v3, 21, v3
; %bb.2066:
	s_andn2_saveexec_b32 s4, s4
; %bb.2067:
	v_add_f32_e64 v3, 0x43000000, |v2|
; %bb.2068:
	s_or_b32 exec_lo, exec_lo, s4
                                        ; implicit-def: $vgpr6
.LBB7_2069:
	s_andn2_saveexec_b32 s3, s3
; %bb.2070:
	v_mov_b32_e32 v3, 0x7f
	v_cmp_lt_u32_e32 vcc_lo, 0x7f800000, v6
	v_cndmask_b32_e32 v3, 0x7c, v3, vcc_lo
; %bb.2071:
	s_or_b32 exec_lo, exec_lo, s3
	v_lshrrev_b32_e32 v2, 24, v2
	v_and_or_b32 v2, 0x80, v2, v3
	global_store_byte v[4:5], v2, off
.LBB7_2072:
	s_mov_b32 s3, 0
.LBB7_2073:
	s_andn2_b32 vcc_lo, exec_lo, s3
	s_mov_b32 s3, 0
	s_cbranch_vccnz .LBB7_2080
; %bb.2074:
	s_cmp_gt_i32 s2, 14
	s_mov_b32 s3, -1
	s_cbranch_scc0 .LBB7_2078
; %bb.2075:
	s_cmp_eq_u32 s2, 15
	s_mov_b32 s0, -1
	s_cbranch_scc0 .LBB7_2077
; %bb.2076:
	v_cvt_f32_f64_e32 v2, v[0:1]
	s_mov_b32 s0, 0
	v_bfe_u32 v3, v2, 16, 1
	v_cmp_o_f32_e32 vcc_lo, v2, v2
	v_add3_u32 v2, v2, v3, 0x7fff
	v_mov_b32_e32 v3, 0x7fc0
	v_cndmask_b32_sdwa v2, v3, v2, vcc_lo dst_sel:DWORD dst_unused:UNUSED_PAD src0_sel:DWORD src1_sel:WORD_1
	global_store_short v[4:5], v2, off
.LBB7_2077:
	s_mov_b32 s3, 0
.LBB7_2078:
	s_and_b32 vcc_lo, exec_lo, s3
	s_mov_b32 s3, 0
	s_cbranch_vccz .LBB7_2080
; %bb.2079:
	s_cmp_lg_u32 s2, 11
	s_mov_b32 s3, -1
	s_cselect_b32 s0, -1, 0
.LBB7_2080:
	s_and_b32 vcc_lo, exec_lo, s0
	s_cbranch_vccnz .LBB7_2184
.LBB7_2081:
	s_mov_b32 s0, 0
	s_branch .LBB7_2122
.LBB7_2082:
	s_and_b32 vcc_lo, exec_lo, s0
	s_cbranch_vccz .LBB7_2005
; %bb.2083:
	s_and_b32 s0, 0xffff, s6
	s_mov_b32 s2, -1
	s_cmp_lt_i32 s0, 5
	s_cbranch_scc1 .LBB7_2104
; %bb.2084:
	s_cmp_lt_i32 s0, 8
	s_cbranch_scc1 .LBB7_2094
; %bb.2085:
	;; [unrolled: 3-line block ×3, first 2 shown]
	s_cmp_gt_i32 s0, 9
	s_cbranch_scc0 .LBB7_2088
; %bb.2087:
	v_mov_b32_e32 v2, 0
	s_mov_b32 s2, 0
	v_mov_b32_e32 v3, v2
	global_store_dwordx4 v[5:6], v[0:3], off
.LBB7_2088:
	s_andn2_b32 vcc_lo, exec_lo, s2
	s_cbranch_vccnz .LBB7_2090
; %bb.2089:
	v_cvt_f32_f64_e32 v2, v[0:1]
	v_mov_b32_e32 v3, 0
	global_store_dwordx2 v[5:6], v[2:3], off
.LBB7_2090:
	s_mov_b32 s2, 0
.LBB7_2091:
	s_andn2_b32 vcc_lo, exec_lo, s2
	s_cbranch_vccnz .LBB7_2093
; %bb.2092:
	v_and_or_b32 v2, 0x1ff, v1, v0
	v_lshrrev_b32_e32 v3, 8, v1
	v_bfe_u32 v7, v1, 20, 11
	v_cmp_ne_u32_e32 vcc_lo, 0, v2
	v_sub_nc_u32_e32 v8, 0x3f1, v7
	v_add_nc_u32_e32 v7, 0xfffffc10, v7
	v_cndmask_b32_e64 v2, 0, 1, vcc_lo
	v_and_or_b32 v2, 0xffe, v3, v2
	v_med3_i32 v3, v8, 0, 13
	v_or_b32_e32 v8, 0x1000, v2
	v_lshrrev_b32_e32 v9, v3, v8
	v_lshlrev_b32_e32 v3, v3, v9
	v_cmp_ne_u32_e32 vcc_lo, v3, v8
	v_lshl_or_b32 v8, v7, 12, v2
	v_cndmask_b32_e64 v3, 0, 1, vcc_lo
	v_cmp_gt_i32_e32 vcc_lo, 1, v7
	v_or_b32_e32 v3, v9, v3
	v_cndmask_b32_e32 v3, v8, v3, vcc_lo
	v_and_b32_e32 v8, 7, v3
	v_lshrrev_b32_e32 v3, 2, v3
	v_cmp_lt_i32_e32 vcc_lo, 5, v8
	v_cndmask_b32_e64 v9, 0, 1, vcc_lo
	v_cmp_eq_u32_e32 vcc_lo, 3, v8
	v_cndmask_b32_e64 v8, 0, 1, vcc_lo
	v_cmp_ne_u32_e32 vcc_lo, 0, v2
	v_or_b32_e32 v8, v8, v9
	v_mov_b32_e32 v9, 0x7e00
	v_add_nc_u32_e32 v3, v3, v8
	v_cndmask_b32_e32 v2, 0x7c00, v9, vcc_lo
	v_cmp_gt_i32_e32 vcc_lo, 31, v7
	v_cndmask_b32_e32 v3, 0x7c00, v3, vcc_lo
	v_cmp_eq_u32_e32 vcc_lo, 0x40f, v7
	v_cndmask_b32_e32 v2, v3, v2, vcc_lo
	v_lshrrev_b32_e32 v3, 16, v1
	v_and_or_b32 v2, 0x8000, v3, v2
	v_and_b32_e32 v2, 0xffff, v2
	global_store_dword v[5:6], v2, off
.LBB7_2093:
	s_mov_b32 s2, 0
.LBB7_2094:
	s_andn2_b32 vcc_lo, exec_lo, s2
	s_cbranch_vccnz .LBB7_2103
; %bb.2095:
	s_cmp_lt_i32 s0, 6
	s_mov_b32 s2, -1
	s_cbranch_scc1 .LBB7_2101
; %bb.2096:
	s_cmp_gt_i32 s0, 6
	s_cbranch_scc0 .LBB7_2098
; %bb.2097:
	s_mov_b32 s2, 0
	global_store_dwordx2 v[5:6], v[0:1], off
.LBB7_2098:
	s_andn2_b32 vcc_lo, exec_lo, s2
	s_cbranch_vccnz .LBB7_2100
; %bb.2099:
	v_cvt_f32_f64_e32 v2, v[0:1]
	global_store_dword v[5:6], v2, off
.LBB7_2100:
	s_mov_b32 s2, 0
.LBB7_2101:
	s_andn2_b32 vcc_lo, exec_lo, s2
	s_cbranch_vccnz .LBB7_2103
; %bb.2102:
	v_and_or_b32 v2, 0x1ff, v1, v0
	v_lshrrev_b32_e32 v3, 8, v1
	v_bfe_u32 v7, v1, 20, 11
	v_cmp_ne_u32_e32 vcc_lo, 0, v2
	v_sub_nc_u32_e32 v8, 0x3f1, v7
	v_add_nc_u32_e32 v7, 0xfffffc10, v7
	v_cndmask_b32_e64 v2, 0, 1, vcc_lo
	v_and_or_b32 v2, 0xffe, v3, v2
	v_med3_i32 v3, v8, 0, 13
	v_or_b32_e32 v8, 0x1000, v2
	v_lshrrev_b32_e32 v9, v3, v8
	v_lshlrev_b32_e32 v3, v3, v9
	v_cmp_ne_u32_e32 vcc_lo, v3, v8
	v_lshl_or_b32 v8, v7, 12, v2
	v_cndmask_b32_e64 v3, 0, 1, vcc_lo
	v_cmp_gt_i32_e32 vcc_lo, 1, v7
	v_or_b32_e32 v3, v9, v3
	v_cndmask_b32_e32 v3, v8, v3, vcc_lo
	v_and_b32_e32 v8, 7, v3
	v_lshrrev_b32_e32 v3, 2, v3
	v_cmp_lt_i32_e32 vcc_lo, 5, v8
	v_cndmask_b32_e64 v9, 0, 1, vcc_lo
	v_cmp_eq_u32_e32 vcc_lo, 3, v8
	v_cndmask_b32_e64 v8, 0, 1, vcc_lo
	v_cmp_ne_u32_e32 vcc_lo, 0, v2
	v_or_b32_e32 v8, v8, v9
	v_mov_b32_e32 v9, 0x7e00
	v_add_nc_u32_e32 v3, v3, v8
	v_cndmask_b32_e32 v2, 0x7c00, v9, vcc_lo
	v_cmp_gt_i32_e32 vcc_lo, 31, v7
	v_cndmask_b32_e32 v3, 0x7c00, v3, vcc_lo
	v_cmp_eq_u32_e32 vcc_lo, 0x40f, v7
	v_cndmask_b32_e32 v2, v3, v2, vcc_lo
	v_lshrrev_b32_e32 v3, 16, v1
	v_and_or_b32 v2, 0x8000, v3, v2
	global_store_short v[5:6], v2, off
.LBB7_2103:
	s_mov_b32 s2, 0
.LBB7_2104:
	s_andn2_b32 vcc_lo, exec_lo, s2
	s_cbranch_vccnz .LBB7_2120
; %bb.2105:
	s_cmp_lt_i32 s0, 2
	s_mov_b32 s2, -1
	s_cbranch_scc1 .LBB7_2115
; %bb.2106:
	s_cmp_lt_i32 s0, 3
	s_cbranch_scc1 .LBB7_2112
; %bb.2107:
	s_cmp_gt_i32 s0, 3
	s_cbranch_scc0 .LBB7_2109
; %bb.2108:
	v_trunc_f64_e32 v[2:3], v[0:1]
	s_mov_b32 s2, 0
	v_ldexp_f64 v[7:8], v[2:3], 0xffffffe0
	v_floor_f64_e32 v[7:8], v[7:8]
	v_fma_f64 v[2:3], 0xc1f00000, v[7:8], v[2:3]
	v_cvt_i32_f64_e32 v8, v[7:8]
	v_cvt_u32_f64_e32 v7, v[2:3]
	global_store_dwordx2 v[5:6], v[7:8], off
.LBB7_2109:
	s_andn2_b32 vcc_lo, exec_lo, s2
	s_cbranch_vccnz .LBB7_2111
; %bb.2110:
	v_cvt_i32_f64_e32 v2, v[0:1]
	global_store_dword v[5:6], v2, off
.LBB7_2111:
	s_mov_b32 s2, 0
.LBB7_2112:
	s_andn2_b32 vcc_lo, exec_lo, s2
	s_cbranch_vccnz .LBB7_2114
; %bb.2113:
	v_cvt_i32_f64_e32 v2, v[0:1]
	global_store_short v[5:6], v2, off
.LBB7_2114:
	s_mov_b32 s2, 0
.LBB7_2115:
	s_andn2_b32 vcc_lo, exec_lo, s2
	s_cbranch_vccnz .LBB7_2120
; %bb.2116:
	s_cmp_gt_i32 s0, 0
	s_mov_b32 s0, -1
	s_cbranch_scc0 .LBB7_2118
; %bb.2117:
	v_cvt_i32_f64_e32 v2, v[0:1]
	s_mov_b32 s0, 0
	global_store_byte v[5:6], v2, off
.LBB7_2118:
	s_andn2_b32 vcc_lo, exec_lo, s0
	s_cbranch_vccnz .LBB7_2120
; %bb.2119:
	v_trunc_f64_e32 v[0:1], v[0:1]
	v_ldexp_f64 v[2:3], v[0:1], 0xffffffe0
	v_floor_f64_e32 v[2:3], v[2:3]
	v_fma_f64 v[0:1], 0xc1f00000, v[2:3], v[0:1]
	v_cvt_u32_f64_e32 v0, v[0:1]
	global_store_byte v[5:6], v0, off
.LBB7_2120:
	s_branch .LBB7_2006
.LBB7_2121:
	s_mov_b32 s0, 0
	s_mov_b32 s3, 0
                                        ; implicit-def: $vgpr4_vgpr5
                                        ; implicit-def: $sgpr6
                                        ; implicit-def: $vgpr0_vgpr1
.LBB7_2122:
	s_andn2_b32 s2, s12, exec_lo
	s_and_b32 s1, s1, exec_lo
	s_and_b32 s0, s0, exec_lo
	;; [unrolled: 1-line block ×3, first 2 shown]
	s_or_b32 s12, s2, s1
.LBB7_2123:
	s_or_b32 exec_lo, exec_lo, s13
	s_and_saveexec_b32 s1, s12
	s_cbranch_execz .LBB7_2126
; %bb.2124:
	; divergent unreachable
	s_or_b32 exec_lo, exec_lo, s1
	s_and_saveexec_b32 s1, s26
	s_xor_b32 s1, exec_lo, s1
	s_cbranch_execnz .LBB7_2127
.LBB7_2125:
	s_or_b32 exec_lo, exec_lo, s1
	s_and_saveexec_b32 s1, s0
	s_cbranch_execnz .LBB7_2128
	s_branch .LBB7_2165
.LBB7_2126:
	s_or_b32 exec_lo, exec_lo, s1
	s_and_saveexec_b32 s1, s26
	s_xor_b32 s1, exec_lo, s1
	s_cbranch_execz .LBB7_2125
.LBB7_2127:
	s_waitcnt vmcnt(0)
	v_cmp_neq_f64_e32 vcc_lo, 0, v[0:1]
	v_cndmask_b32_e64 v2, 0, 1, vcc_lo
	global_store_byte v[4:5], v2, off
	s_or_b32 exec_lo, exec_lo, s1
	s_and_saveexec_b32 s1, s0
	s_cbranch_execz .LBB7_2165
.LBB7_2128:
	s_sext_i32_i16 s1, s6
	s_mov_b32 s0, -1
	s_cmp_lt_i32 s1, 5
	s_cbranch_scc1 .LBB7_2149
; %bb.2129:
	s_cmp_lt_i32 s1, 8
	s_cbranch_scc1 .LBB7_2139
; %bb.2130:
	;; [unrolled: 3-line block ×3, first 2 shown]
	s_cmp_gt_i32 s1, 9
	s_cbranch_scc0 .LBB7_2133
; %bb.2132:
	v_mov_b32_e32 v2, 0
	s_mov_b32 s0, 0
	s_waitcnt vmcnt(0)
	v_mov_b32_e32 v3, v2
	global_store_dwordx4 v[4:5], v[0:3], off
.LBB7_2133:
	s_andn2_b32 vcc_lo, exec_lo, s0
	s_cbranch_vccnz .LBB7_2135
; %bb.2134:
	s_waitcnt vmcnt(0)
	v_cvt_f32_f64_e32 v2, v[0:1]
	v_mov_b32_e32 v3, 0
	global_store_dwordx2 v[4:5], v[2:3], off
.LBB7_2135:
	s_mov_b32 s0, 0
.LBB7_2136:
	s_andn2_b32 vcc_lo, exec_lo, s0
	s_cbranch_vccnz .LBB7_2138
; %bb.2137:
	s_waitcnt vmcnt(0)
	v_and_or_b32 v2, 0x1ff, v1, v0
	v_lshrrev_b32_e32 v3, 8, v1
	v_bfe_u32 v6, v1, 20, 11
	v_cmp_ne_u32_e32 vcc_lo, 0, v2
	v_sub_nc_u32_e32 v7, 0x3f1, v6
	v_add_nc_u32_e32 v6, 0xfffffc10, v6
	v_cndmask_b32_e64 v2, 0, 1, vcc_lo
	v_and_or_b32 v2, 0xffe, v3, v2
	v_med3_i32 v3, v7, 0, 13
	v_or_b32_e32 v7, 0x1000, v2
	v_lshrrev_b32_e32 v8, v3, v7
	v_lshlrev_b32_e32 v3, v3, v8
	v_cmp_ne_u32_e32 vcc_lo, v3, v7
	v_lshl_or_b32 v7, v6, 12, v2
	v_cndmask_b32_e64 v3, 0, 1, vcc_lo
	v_cmp_gt_i32_e32 vcc_lo, 1, v6
	v_or_b32_e32 v3, v8, v3
	v_cndmask_b32_e32 v3, v7, v3, vcc_lo
	v_and_b32_e32 v7, 7, v3
	v_lshrrev_b32_e32 v3, 2, v3
	v_cmp_lt_i32_e32 vcc_lo, 5, v7
	v_cndmask_b32_e64 v8, 0, 1, vcc_lo
	v_cmp_eq_u32_e32 vcc_lo, 3, v7
	v_cndmask_b32_e64 v7, 0, 1, vcc_lo
	v_cmp_ne_u32_e32 vcc_lo, 0, v2
	v_or_b32_e32 v7, v7, v8
	v_mov_b32_e32 v8, 0x7e00
	v_add_nc_u32_e32 v3, v3, v7
	v_cndmask_b32_e32 v2, 0x7c00, v8, vcc_lo
	v_cmp_gt_i32_e32 vcc_lo, 31, v6
	v_cndmask_b32_e32 v3, 0x7c00, v3, vcc_lo
	v_cmp_eq_u32_e32 vcc_lo, 0x40f, v6
	v_cndmask_b32_e32 v2, v3, v2, vcc_lo
	v_lshrrev_b32_e32 v3, 16, v1
	v_and_or_b32 v2, 0x8000, v3, v2
	v_and_b32_e32 v2, 0xffff, v2
	global_store_dword v[4:5], v2, off
.LBB7_2138:
	s_mov_b32 s0, 0
.LBB7_2139:
	s_andn2_b32 vcc_lo, exec_lo, s0
	s_cbranch_vccnz .LBB7_2148
; %bb.2140:
	s_sext_i32_i16 s1, s6
	s_mov_b32 s0, -1
	s_cmp_lt_i32 s1, 6
	s_cbranch_scc1 .LBB7_2146
; %bb.2141:
	s_cmp_gt_i32 s1, 6
	s_cbranch_scc0 .LBB7_2143
; %bb.2142:
	s_mov_b32 s0, 0
	s_waitcnt vmcnt(0)
	global_store_dwordx2 v[4:5], v[0:1], off
.LBB7_2143:
	s_andn2_b32 vcc_lo, exec_lo, s0
	s_cbranch_vccnz .LBB7_2145
; %bb.2144:
	s_waitcnt vmcnt(0)
	v_cvt_f32_f64_e32 v2, v[0:1]
	global_store_dword v[4:5], v2, off
.LBB7_2145:
	s_mov_b32 s0, 0
.LBB7_2146:
	s_andn2_b32 vcc_lo, exec_lo, s0
	s_cbranch_vccnz .LBB7_2148
; %bb.2147:
	s_waitcnt vmcnt(0)
	v_and_or_b32 v2, 0x1ff, v1, v0
	v_lshrrev_b32_e32 v3, 8, v1
	v_bfe_u32 v6, v1, 20, 11
	v_cmp_ne_u32_e32 vcc_lo, 0, v2
	v_sub_nc_u32_e32 v7, 0x3f1, v6
	v_add_nc_u32_e32 v6, 0xfffffc10, v6
	v_cndmask_b32_e64 v2, 0, 1, vcc_lo
	v_and_or_b32 v2, 0xffe, v3, v2
	v_med3_i32 v3, v7, 0, 13
	v_or_b32_e32 v7, 0x1000, v2
	v_lshrrev_b32_e32 v8, v3, v7
	v_lshlrev_b32_e32 v3, v3, v8
	v_cmp_ne_u32_e32 vcc_lo, v3, v7
	v_lshl_or_b32 v7, v6, 12, v2
	v_cndmask_b32_e64 v3, 0, 1, vcc_lo
	v_cmp_gt_i32_e32 vcc_lo, 1, v6
	v_or_b32_e32 v3, v8, v3
	v_cndmask_b32_e32 v3, v7, v3, vcc_lo
	v_and_b32_e32 v7, 7, v3
	v_lshrrev_b32_e32 v3, 2, v3
	v_cmp_lt_i32_e32 vcc_lo, 5, v7
	v_cndmask_b32_e64 v8, 0, 1, vcc_lo
	v_cmp_eq_u32_e32 vcc_lo, 3, v7
	v_cndmask_b32_e64 v7, 0, 1, vcc_lo
	v_cmp_ne_u32_e32 vcc_lo, 0, v2
	v_or_b32_e32 v7, v7, v8
	v_mov_b32_e32 v8, 0x7e00
	v_add_nc_u32_e32 v3, v3, v7
	v_cndmask_b32_e32 v2, 0x7c00, v8, vcc_lo
	v_cmp_gt_i32_e32 vcc_lo, 31, v6
	v_cndmask_b32_e32 v3, 0x7c00, v3, vcc_lo
	v_cmp_eq_u32_e32 vcc_lo, 0x40f, v6
	v_cndmask_b32_e32 v2, v3, v2, vcc_lo
	v_lshrrev_b32_e32 v3, 16, v1
	v_and_or_b32 v2, 0x8000, v3, v2
	global_store_short v[4:5], v2, off
.LBB7_2148:
	s_mov_b32 s0, 0
.LBB7_2149:
	s_andn2_b32 vcc_lo, exec_lo, s0
	s_cbranch_vccnz .LBB7_2165
; %bb.2150:
	s_sext_i32_i16 s1, s6
	s_mov_b32 s0, -1
	s_cmp_lt_i32 s1, 2
	s_cbranch_scc1 .LBB7_2160
; %bb.2151:
	s_cmp_lt_i32 s1, 3
	s_cbranch_scc1 .LBB7_2157
; %bb.2152:
	s_cmp_gt_i32 s1, 3
	s_cbranch_scc0 .LBB7_2154
; %bb.2153:
	s_waitcnt vmcnt(0)
	v_trunc_f64_e32 v[2:3], v[0:1]
	s_mov_b32 s0, 0
	v_ldexp_f64 v[6:7], v[2:3], 0xffffffe0
	v_floor_f64_e32 v[6:7], v[6:7]
	v_fma_f64 v[2:3], 0xc1f00000, v[6:7], v[2:3]
	v_cvt_i32_f64_e32 v7, v[6:7]
	v_cvt_u32_f64_e32 v6, v[2:3]
	global_store_dwordx2 v[4:5], v[6:7], off
.LBB7_2154:
	s_andn2_b32 vcc_lo, exec_lo, s0
	s_cbranch_vccnz .LBB7_2156
; %bb.2155:
	s_waitcnt vmcnt(0)
	v_cvt_i32_f64_e32 v2, v[0:1]
	global_store_dword v[4:5], v2, off
.LBB7_2156:
	s_mov_b32 s0, 0
.LBB7_2157:
	s_andn2_b32 vcc_lo, exec_lo, s0
	s_cbranch_vccnz .LBB7_2159
; %bb.2158:
	s_waitcnt vmcnt(0)
	v_cvt_i32_f64_e32 v2, v[0:1]
	global_store_short v[4:5], v2, off
.LBB7_2159:
	s_mov_b32 s0, 0
.LBB7_2160:
	s_andn2_b32 vcc_lo, exec_lo, s0
	s_cbranch_vccnz .LBB7_2165
; %bb.2161:
	s_sext_i32_i16 s0, s6
	s_cmp_gt_i32 s0, 0
	s_mov_b32 s0, -1
	s_cbranch_scc0 .LBB7_2163
; %bb.2162:
	s_waitcnt vmcnt(0)
	v_cvt_i32_f64_e32 v2, v[0:1]
	s_mov_b32 s0, 0
	global_store_byte v[4:5], v2, off
.LBB7_2163:
	s_andn2_b32 vcc_lo, exec_lo, s0
	s_cbranch_vccnz .LBB7_2165
; %bb.2164:
	s_waitcnt vmcnt(0)
	v_trunc_f64_e32 v[0:1], v[0:1]
	v_ldexp_f64 v[2:3], v[0:1], 0xffffffe0
	v_floor_f64_e32 v[2:3], v[2:3]
	v_fma_f64 v[0:1], 0xc1f00000, v[2:3], v[0:1]
	v_cvt_u32_f64_e32 v0, v[0:1]
	global_store_byte v[4:5], v0, off
	s_endpgm
.LBB7_2165:
	s_endpgm
.LBB7_2166:
	s_or_b32 s1, s1, exec_lo
	s_trap 2
	s_cbranch_execz .LBB7_1635
	s_branch .LBB7_1636
.LBB7_2167:
	s_andn2_saveexec_b32 s10, s10
	s_cbranch_execz .LBB7_1719
.LBB7_2168:
	v_add_f32_e64 v3, 0x46000000, |v2|
	s_andn2_b32 s7, s7, exec_lo
	v_and_b32_e32 v3, 0xff, v3
	v_cmp_ne_u32_e32 vcc_lo, 0, v3
	s_and_b32 s11, vcc_lo, exec_lo
	s_or_b32 s7, s7, s11
	s_or_b32 exec_lo, exec_lo, s10
	v_mov_b32_e32 v5, 0
	s_and_saveexec_b32 s10, s7
	s_cbranch_execnz .LBB7_1720
	s_branch .LBB7_1721
.LBB7_2169:
	s_or_b32 s1, s1, exec_lo
	s_trap 2
	s_cbranch_execz .LBB7_1767
	s_branch .LBB7_1768
.LBB7_2170:
	s_andn2_saveexec_b32 s7, s7
	s_cbranch_execz .LBB7_1732
.LBB7_2171:
	v_add_f32_e64 v3, 0x42800000, |v2|
	s_andn2_b32 s6, s6, exec_lo
	v_and_b32_e32 v3, 0xff, v3
	v_cmp_ne_u32_e32 vcc_lo, 0, v3
	s_and_b32 s10, vcc_lo, exec_lo
	s_or_b32 s6, s6, s10
	s_or_b32 exec_lo, exec_lo, s7
	v_mov_b32_e32 v5, 0
	s_and_saveexec_b32 s7, s6
	s_cbranch_execnz .LBB7_1733
	s_branch .LBB7_1734
.LBB7_2172:
	s_andn2_saveexec_b32 s7, s7
	s_cbranch_execz .LBB7_1837
.LBB7_2173:
	v_add_f32_e64 v3, 0x46000000, |v2|
	s_andn2_b32 s5, s5, exec_lo
	v_and_b32_e32 v3, 0xff, v3
	v_cmp_ne_u32_e32 vcc_lo, 0, v3
	s_and_b32 s10, vcc_lo, exec_lo
	s_or_b32 s5, s5, s10
	s_or_b32 exec_lo, exec_lo, s7
	v_mov_b32_e32 v5, 0
	s_and_saveexec_b32 s7, s5
	s_cbranch_execnz .LBB7_1838
	s_branch .LBB7_1839
.LBB7_2174:
	s_or_b32 s1, s1, exec_lo
	s_trap 2
	s_cbranch_execz .LBB7_1885
	s_branch .LBB7_1886
.LBB7_2175:
	s_andn2_saveexec_b32 s5, s5
	s_cbranch_execz .LBB7_1850
.LBB7_2176:
	v_add_f32_e64 v3, 0x42800000, |v2|
	s_andn2_b32 s4, s4, exec_lo
	v_and_b32_e32 v3, 0xff, v3
	v_cmp_ne_u32_e32 vcc_lo, 0, v3
	s_and_b32 s7, vcc_lo, exec_lo
	s_or_b32 s4, s4, s7
	s_or_b32 exec_lo, exec_lo, s5
	v_mov_b32_e32 v5, 0
	s_and_saveexec_b32 s5, s4
	s_cbranch_execnz .LBB7_1851
	s_branch .LBB7_1852
.LBB7_2177:
	s_andn2_saveexec_b32 s7, s7
	s_cbranch_execz .LBB7_1955
.LBB7_2178:
	v_add_f32_e64 v3, 0x46000000, |v2|
	s_andn2_b32 s5, s5, exec_lo
	v_and_b32_e32 v3, 0xff, v3
	v_cmp_ne_u32_e32 vcc_lo, 0, v3
	s_and_b32 s10, vcc_lo, exec_lo
	s_or_b32 s5, s5, s10
	s_or_b32 exec_lo, exec_lo, s7
	v_mov_b32_e32 v7, 0
	s_and_saveexec_b32 s7, s5
	s_cbranch_execnz .LBB7_1956
	s_branch .LBB7_1957
.LBB7_2179:
	s_or_b32 s1, s1, exec_lo
	s_trap 2
	s_cbranch_execz .LBB7_2003
	s_branch .LBB7_2004
.LBB7_2180:
	s_andn2_saveexec_b32 s5, s5
	s_cbranch_execz .LBB7_1968
.LBB7_2181:
	v_add_f32_e64 v3, 0x42800000, |v2|
	s_andn2_b32 s4, s4, exec_lo
	v_and_b32_e32 v3, 0xff, v3
	v_cmp_ne_u32_e32 vcc_lo, 0, v3
	s_and_b32 s7, vcc_lo, exec_lo
	s_or_b32 s4, s4, s7
	s_or_b32 exec_lo, exec_lo, s5
	v_mov_b32_e32 v7, 0
	s_and_saveexec_b32 s5, s4
	s_cbranch_execnz .LBB7_1969
	s_branch .LBB7_1970
.LBB7_2182:
	s_andn2_saveexec_b32 s7, s7
	s_cbranch_execz .LBB7_2035
.LBB7_2183:
	v_add_f32_e64 v3, 0x46000000, |v2|
	s_andn2_b32 s5, s5, exec_lo
	v_and_b32_e32 v3, 0xff, v3
	v_cmp_ne_u32_e32 vcc_lo, 0, v3
	s_and_b32 s8, vcc_lo, exec_lo
	s_or_b32 s5, s5, s8
	s_or_b32 exec_lo, exec_lo, s7
	v_mov_b32_e32 v6, 0
	s_and_saveexec_b32 s7, s5
	s_cbranch_execnz .LBB7_2036
	s_branch .LBB7_2037
.LBB7_2184:
	s_mov_b32 s3, 0
	s_or_b32 s1, s1, exec_lo
	s_trap 2
	s_branch .LBB7_2081
.LBB7_2185:
	s_andn2_saveexec_b32 s5, s5
	s_cbranch_execz .LBB7_2047
.LBB7_2186:
	v_add_f32_e64 v3, 0x42800000, |v2|
	s_andn2_b32 s4, s4, exec_lo
	v_and_b32_e32 v3, 0xff, v3
	v_cmp_ne_u32_e32 vcc_lo, 0, v3
	s_and_b32 s7, vcc_lo, exec_lo
	s_or_b32 s4, s4, s7
	s_or_b32 exec_lo, exec_lo, s5
	v_mov_b32_e32 v6, 0
	s_and_saveexec_b32 s5, s4
	s_cbranch_execnz .LBB7_2048
	s_branch .LBB7_2049
	.section	.rodata,"a",@progbits
	.p2align	6, 0x0
	.amdhsa_kernel _ZN2at6native32elementwise_kernel_manual_unrollILi128ELi4EZNS0_15gpu_kernel_implIZZZNS0_15sin_kernel_cudaERNS_18TensorIteratorBaseEENKUlvE0_clEvENKUlvE_clEvEUldE_EEvS4_RKT_EUlibE0_EEviT1_
		.amdhsa_group_segment_fixed_size 0
		.amdhsa_private_segment_fixed_size 0
		.amdhsa_kernarg_size 360
		.amdhsa_user_sgpr_count 6
		.amdhsa_user_sgpr_private_segment_buffer 1
		.amdhsa_user_sgpr_dispatch_ptr 0
		.amdhsa_user_sgpr_queue_ptr 0
		.amdhsa_user_sgpr_kernarg_segment_ptr 1
		.amdhsa_user_sgpr_dispatch_id 0
		.amdhsa_user_sgpr_flat_scratch_init 0
		.amdhsa_user_sgpr_private_segment_size 0
		.amdhsa_wavefront_size32 1
		.amdhsa_uses_dynamic_stack 0
		.amdhsa_system_sgpr_private_segment_wavefront_offset 0
		.amdhsa_system_sgpr_workgroup_id_x 1
		.amdhsa_system_sgpr_workgroup_id_y 0
		.amdhsa_system_sgpr_workgroup_id_z 0
		.amdhsa_system_sgpr_workgroup_info 0
		.amdhsa_system_vgpr_workitem_id 0
		.amdhsa_next_free_vgpr 59
		.amdhsa_next_free_sgpr 68
		.amdhsa_reserve_vcc 1
		.amdhsa_reserve_flat_scratch 0
		.amdhsa_float_round_mode_32 0
		.amdhsa_float_round_mode_16_64 0
		.amdhsa_float_denorm_mode_32 3
		.amdhsa_float_denorm_mode_16_64 3
		.amdhsa_dx10_clamp 1
		.amdhsa_ieee_mode 1
		.amdhsa_fp16_overflow 0
		.amdhsa_workgroup_processor_mode 1
		.amdhsa_memory_ordered 1
		.amdhsa_forward_progress 1
		.amdhsa_shared_vgpr_count 0
		.amdhsa_exception_fp_ieee_invalid_op 0
		.amdhsa_exception_fp_denorm_src 0
		.amdhsa_exception_fp_ieee_div_zero 0
		.amdhsa_exception_fp_ieee_overflow 0
		.amdhsa_exception_fp_ieee_underflow 0
		.amdhsa_exception_fp_ieee_inexact 0
		.amdhsa_exception_int_div_zero 0
	.end_amdhsa_kernel
	.section	.text._ZN2at6native32elementwise_kernel_manual_unrollILi128ELi4EZNS0_15gpu_kernel_implIZZZNS0_15sin_kernel_cudaERNS_18TensorIteratorBaseEENKUlvE0_clEvENKUlvE_clEvEUldE_EEvS4_RKT_EUlibE0_EEviT1_,"axG",@progbits,_ZN2at6native32elementwise_kernel_manual_unrollILi128ELi4EZNS0_15gpu_kernel_implIZZZNS0_15sin_kernel_cudaERNS_18TensorIteratorBaseEENKUlvE0_clEvENKUlvE_clEvEUldE_EEvS4_RKT_EUlibE0_EEviT1_,comdat
.Lfunc_end7:
	.size	_ZN2at6native32elementwise_kernel_manual_unrollILi128ELi4EZNS0_15gpu_kernel_implIZZZNS0_15sin_kernel_cudaERNS_18TensorIteratorBaseEENKUlvE0_clEvENKUlvE_clEvEUldE_EEvS4_RKT_EUlibE0_EEviT1_, .Lfunc_end7-_ZN2at6native32elementwise_kernel_manual_unrollILi128ELi4EZNS0_15gpu_kernel_implIZZZNS0_15sin_kernel_cudaERNS_18TensorIteratorBaseEENKUlvE0_clEvENKUlvE_clEvEUldE_EEvS4_RKT_EUlibE0_EEviT1_
                                        ; -- End function
	.set _ZN2at6native32elementwise_kernel_manual_unrollILi128ELi4EZNS0_15gpu_kernel_implIZZZNS0_15sin_kernel_cudaERNS_18TensorIteratorBaseEENKUlvE0_clEvENKUlvE_clEvEUldE_EEvS4_RKT_EUlibE0_EEviT1_.num_vgpr, 59
	.set _ZN2at6native32elementwise_kernel_manual_unrollILi128ELi4EZNS0_15gpu_kernel_implIZZZNS0_15sin_kernel_cudaERNS_18TensorIteratorBaseEENKUlvE0_clEvENKUlvE_clEvEUldE_EEvS4_RKT_EUlibE0_EEviT1_.num_agpr, 0
	.set _ZN2at6native32elementwise_kernel_manual_unrollILi128ELi4EZNS0_15gpu_kernel_implIZZZNS0_15sin_kernel_cudaERNS_18TensorIteratorBaseEENKUlvE0_clEvENKUlvE_clEvEUldE_EEvS4_RKT_EUlibE0_EEviT1_.numbered_sgpr, 68
	.set _ZN2at6native32elementwise_kernel_manual_unrollILi128ELi4EZNS0_15gpu_kernel_implIZZZNS0_15sin_kernel_cudaERNS_18TensorIteratorBaseEENKUlvE0_clEvENKUlvE_clEvEUldE_EEvS4_RKT_EUlibE0_EEviT1_.num_named_barrier, 0
	.set _ZN2at6native32elementwise_kernel_manual_unrollILi128ELi4EZNS0_15gpu_kernel_implIZZZNS0_15sin_kernel_cudaERNS_18TensorIteratorBaseEENKUlvE0_clEvENKUlvE_clEvEUldE_EEvS4_RKT_EUlibE0_EEviT1_.private_seg_size, 0
	.set _ZN2at6native32elementwise_kernel_manual_unrollILi128ELi4EZNS0_15gpu_kernel_implIZZZNS0_15sin_kernel_cudaERNS_18TensorIteratorBaseEENKUlvE0_clEvENKUlvE_clEvEUldE_EEvS4_RKT_EUlibE0_EEviT1_.uses_vcc, 1
	.set _ZN2at6native32elementwise_kernel_manual_unrollILi128ELi4EZNS0_15gpu_kernel_implIZZZNS0_15sin_kernel_cudaERNS_18TensorIteratorBaseEENKUlvE0_clEvENKUlvE_clEvEUldE_EEvS4_RKT_EUlibE0_EEviT1_.uses_flat_scratch, 0
	.set _ZN2at6native32elementwise_kernel_manual_unrollILi128ELi4EZNS0_15gpu_kernel_implIZZZNS0_15sin_kernel_cudaERNS_18TensorIteratorBaseEENKUlvE0_clEvENKUlvE_clEvEUldE_EEvS4_RKT_EUlibE0_EEviT1_.has_dyn_sized_stack, 0
	.set _ZN2at6native32elementwise_kernel_manual_unrollILi128ELi4EZNS0_15gpu_kernel_implIZZZNS0_15sin_kernel_cudaERNS_18TensorIteratorBaseEENKUlvE0_clEvENKUlvE_clEvEUldE_EEvS4_RKT_EUlibE0_EEviT1_.has_recursion, 0
	.set _ZN2at6native32elementwise_kernel_manual_unrollILi128ELi4EZNS0_15gpu_kernel_implIZZZNS0_15sin_kernel_cudaERNS_18TensorIteratorBaseEENKUlvE0_clEvENKUlvE_clEvEUldE_EEvS4_RKT_EUlibE0_EEviT1_.has_indirect_call, 0
	.section	.AMDGPU.csdata,"",@progbits
; Kernel info:
; codeLenInByte = 50324
; TotalNumSgprs: 70
; NumVgprs: 59
; ScratchSize: 0
; MemoryBound: 1
; FloatMode: 240
; IeeeMode: 1
; LDSByteSize: 0 bytes/workgroup (compile time only)
; SGPRBlocks: 0
; VGPRBlocks: 7
; NumSGPRsForWavesPerEU: 70
; NumVGPRsForWavesPerEU: 59
; Occupancy: 16
; WaveLimiterHint : 1
; COMPUTE_PGM_RSRC2:SCRATCH_EN: 0
; COMPUTE_PGM_RSRC2:USER_SGPR: 6
; COMPUTE_PGM_RSRC2:TRAP_HANDLER: 0
; COMPUTE_PGM_RSRC2:TGID_X_EN: 1
; COMPUTE_PGM_RSRC2:TGID_Y_EN: 0
; COMPUTE_PGM_RSRC2:TGID_Z_EN: 0
; COMPUTE_PGM_RSRC2:TIDIG_COMP_CNT: 0
	.section	.text._ZN2at6native29vectorized_elementwise_kernelILi16EZZZNS0_15sin_kernel_cudaERNS_18TensorIteratorBaseEENKUlvE0_clEvENKUlvE0_clEvEUlfE_St5arrayIPcLm2EEEEviT0_T1_,"axG",@progbits,_ZN2at6native29vectorized_elementwise_kernelILi16EZZZNS0_15sin_kernel_cudaERNS_18TensorIteratorBaseEENKUlvE0_clEvENKUlvE0_clEvEUlfE_St5arrayIPcLm2EEEEviT0_T1_,comdat
	.globl	_ZN2at6native29vectorized_elementwise_kernelILi16EZZZNS0_15sin_kernel_cudaERNS_18TensorIteratorBaseEENKUlvE0_clEvENKUlvE0_clEvEUlfE_St5arrayIPcLm2EEEEviT0_T1_ ; -- Begin function _ZN2at6native29vectorized_elementwise_kernelILi16EZZZNS0_15sin_kernel_cudaERNS_18TensorIteratorBaseEENKUlvE0_clEvENKUlvE0_clEvEUlfE_St5arrayIPcLm2EEEEviT0_T1_
	.p2align	8
	.type	_ZN2at6native29vectorized_elementwise_kernelILi16EZZZNS0_15sin_kernel_cudaERNS_18TensorIteratorBaseEENKUlvE0_clEvENKUlvE0_clEvEUlfE_St5arrayIPcLm2EEEEviT0_T1_,@function
_ZN2at6native29vectorized_elementwise_kernelILi16EZZZNS0_15sin_kernel_cudaERNS_18TensorIteratorBaseEENKUlvE0_clEvENKUlvE0_clEvEUlfE_St5arrayIPcLm2EEEEviT0_T1_: ; @_ZN2at6native29vectorized_elementwise_kernelILi16EZZZNS0_15sin_kernel_cudaERNS_18TensorIteratorBaseEENKUlvE0_clEvENKUlvE0_clEvEUlfE_St5arrayIPcLm2EEEEviT0_T1_
; %bb.0:
	s_clause 0x1
	s_load_dword s0, s[4:5], 0x0
	s_load_dwordx4 s[8:11], s[4:5], 0x8
	s_lshl_b32 s4, s6, 10
	s_waitcnt lgkmcnt(0)
	s_sub_i32 s6, s0, s4
	s_mov_b32 s0, -1
	s_cmpk_gt_i32 s6, 0x3ff
	s_cbranch_scc0 .LBB8_18
; %bb.1:
	s_ashr_i32 s5, s4, 31
	v_lshlrev_b32_e32 v7, 4, v0
	s_lshl_b64 s[2:3], s[4:5], 2
	v_mov_b32_e32 v6, 0
	s_add_u32 s0, s10, s2
	s_addc_u32 s1, s11, s3
                                        ; implicit-def: $vgpr9
                                        ; implicit-def: $vgpr5
	global_load_dwordx4 v[1:4], v7, s[0:1]
	s_mov_b32 s1, exec_lo
	s_waitcnt vmcnt(0)
	v_and_b32_e32 v8, 0x7fffffff, v1
	v_cmpx_ngt_f32_e64 0x48000000, |v1|
	s_xor_b32 s5, exec_lo, s1
	s_cbranch_execz .LBB8_3
; %bb.2:
	s_mov_b32 s0, 0x7fffff
	v_lshrrev_b32_e32 v14, 23, v8
	v_and_or_b32 v16, v8, s0, 0x800000
	v_add_nc_u32_e32 v15, 0xffffff88, v14
	v_mad_u64_u32 v[9:10], null, 0xfe5163ab, v16, 0
	v_cmp_lt_u32_e32 vcc_lo, 63, v15
	v_mov_b32_e32 v5, v10
	v_cndmask_b32_e64 v17, 0, 0xffffffc0, vcc_lo
	v_mad_u64_u32 v[10:11], null, 0x3c439041, v16, v[5:6]
	v_add_nc_u32_e32 v17, v17, v15
	v_cmp_lt_u32_e64 s0, 31, v17
	v_mov_b32_e32 v5, v11
	v_cndmask_b32_e64 v18, 0, 0xffffffe0, s0
	v_mad_u64_u32 v[11:12], null, 0xdb629599, v16, v[5:6]
	v_mov_b32_e32 v5, v12
	v_cndmask_b32_e32 v9, v11, v9, vcc_lo
	v_mad_u64_u32 v[12:13], null, 0xf534ddc0, v16, v[5:6]
	v_mov_b32_e32 v5, v13
	v_cndmask_b32_e32 v10, v12, v10, vcc_lo
	v_mad_u64_u32 v[13:14], null, 0xfc2757d1, v16, v[5:6]
	v_cndmask_b32_e64 v9, v10, v9, s0
	v_mov_b32_e32 v5, v14
	v_mad_u64_u32 v[14:15], null, 0x4e441529, v16, v[5:6]
	v_mov_b32_e32 v5, v15
	v_add_nc_u32_e32 v15, v18, v17
	v_cndmask_b32_e32 v17, v14, v12, vcc_lo
	v_mad_u64_u32 v[5:6], null, 0xa2f9836e, v16, v[5:6]
	v_cmp_lt_u32_e64 s1, 31, v15
	v_cndmask_b32_e64 v16, 0, 0xffffffe0, s1
	v_cndmask_b32_e32 v5, v5, v13, vcc_lo
	v_cndmask_b32_e32 v6, v6, v14, vcc_lo
	;; [unrolled: 1-line block ×3, first 2 shown]
	v_add_nc_u32_e32 v14, v16, v15
	v_cndmask_b32_e64 v12, v5, v17, s0
	v_cndmask_b32_e64 v5, v6, v5, s0
	;; [unrolled: 1-line block ×4, first 2 shown]
	v_sub_nc_u32_e32 v15, 32, v14
	v_cmp_eq_u32_e32 vcc_lo, 0, v14
	v_cndmask_b32_e64 v5, v5, v12, s1
	v_cndmask_b32_e64 v12, v12, v6, s1
	;; [unrolled: 1-line block ×4, first 2 shown]
	v_alignbit_b32 v16, v5, v12, v15
	v_alignbit_b32 v11, v12, v6, v15
	;; [unrolled: 1-line block ×3, first 2 shown]
	v_cndmask_b32_e32 v5, v16, v5, vcc_lo
	v_cndmask_b32_e32 v10, v11, v12, vcc_lo
	;; [unrolled: 1-line block ×3, first 2 shown]
	v_bfe_u32 v11, v5, 29, 1
	v_alignbit_b32 v12, v5, v10, 30
	v_alignbit_b32 v10, v10, v6, 30
	;; [unrolled: 1-line block ×3, first 2 shown]
	v_sub_nc_u32_e32 v13, 0, v11
	v_xor_b32_e32 v12, v12, v13
	v_xor_b32_e32 v9, v10, v13
	;; [unrolled: 1-line block ×3, first 2 shown]
	v_lshrrev_b32_e32 v13, 29, v5
	v_ffbh_u32_e32 v14, v12
	v_min_u32_e32 v14, 32, v14
	v_sub_nc_u32_e32 v10, 31, v14
	v_lshlrev_b32_e32 v15, 23, v14
	v_alignbit_b32 v12, v12, v9, v10
	v_alignbit_b32 v6, v9, v6, v10
	v_lshlrev_b32_e32 v9, 31, v13
	v_alignbit_b32 v10, v12, v6, 9
	v_or_b32_e32 v13, 0.5, v9
	v_lshrrev_b32_e32 v12, 9, v12
	v_or_b32_e32 v9, 0x33000000, v9
	v_ffbh_u32_e32 v16, v10
	v_sub_nc_u32_e32 v13, v13, v15
	v_min_u32_e32 v15, 32, v16
	v_or_b32_e32 v12, v12, v13
	v_not_b32_e32 v13, v15
	v_mul_f32_e32 v16, 0x3fc90fda, v12
	v_add_lshl_u32 v14, v15, v14, 23
	v_alignbit_b32 v6, v10, v6, v13
	v_fma_f32 v10, 0x3fc90fda, v12, -v16
	v_sub_nc_u32_e32 v9, v9, v14
	v_lshrrev_b32_e32 v6, 9, v6
	v_fmamk_f32 v10, v12, 0x33a22168, v10
	v_or_b32_e32 v6, v9, v6
	v_fmac_f32_e32 v10, 0x3fc90fda, v6
	v_lshrrev_b32_e32 v6, 30, v5
	v_add_f32_e32 v5, v16, v10
	v_add_nc_u32_e32 v9, v11, v6
.LBB8_3:
	s_andn2_saveexec_b32 s0, s5
; %bb.4:
	v_mul_f32_e64 v5, 0x3f22f983, |v1|
	v_rndne_f32_e32 v6, v5
	v_fma_f32 v5, 0xbfc90fda, v6, |v1|
	v_cvt_i32_f32_e32 v9, v6
	v_fmamk_f32 v5, v6, 0xb3a22168, v5
	v_fmamk_f32 v5, v6, 0xa7c234c4, v5
; %bb.5:
	s_or_b32 exec_lo, exec_lo, s0
	v_and_b32_e32 v6, 0x7fffffff, v2
                                        ; implicit-def: $vgpr11
                                        ; implicit-def: $vgpr10
	s_mov_b32 s1, exec_lo
	v_cmpx_ngt_f32_e64 0x48000000, |v2|
	s_xor_b32 s5, exec_lo, s1
	s_cbranch_execz .LBB8_7
; %bb.6:
	s_mov_b32 s0, 0x7fffff
	v_mov_b32_e32 v12, 0
	v_and_or_b32 v19, v6, s0, 0x800000
	v_lshrrev_b32_e32 v17, 23, v6
	v_mad_u64_u32 v[10:11], null, 0xfe5163ab, v19, 0
	v_add_nc_u32_e32 v18, 0xffffff88, v17
	v_cmp_lt_u32_e32 vcc_lo, 63, v18
	v_mad_u64_u32 v[13:14], null, 0x3c439041, v19, v[11:12]
	v_cndmask_b32_e64 v20, 0, 0xffffffc0, vcc_lo
	v_mov_b32_e32 v11, v14
	v_add_nc_u32_e32 v20, v20, v18
	v_mad_u64_u32 v[14:15], null, 0xdb629599, v19, v[11:12]
	v_cmp_lt_u32_e64 s0, 31, v20
	v_cndmask_b32_e64 v21, 0, 0xffffffe0, s0
	v_mov_b32_e32 v11, v15
	v_cndmask_b32_e32 v10, v14, v10, vcc_lo
	v_mad_u64_u32 v[15:16], null, 0xf534ddc0, v19, v[11:12]
	v_mov_b32_e32 v11, v16
	v_cndmask_b32_e32 v13, v15, v13, vcc_lo
	v_mad_u64_u32 v[16:17], null, 0xfc2757d1, v19, v[11:12]
	v_cndmask_b32_e64 v10, v13, v10, s0
	v_mov_b32_e32 v11, v17
	v_mad_u64_u32 v[17:18], null, 0x4e441529, v19, v[11:12]
	v_mov_b32_e32 v11, v18
	v_add_nc_u32_e32 v18, v21, v20
	v_cndmask_b32_e32 v20, v17, v15, vcc_lo
	v_mad_u64_u32 v[11:12], null, 0xa2f9836e, v19, v[11:12]
	v_cmp_lt_u32_e64 s1, 31, v18
	v_cndmask_b32_e64 v19, 0, 0xffffffe0, s1
	v_cndmask_b32_e32 v11, v11, v16, vcc_lo
	v_cndmask_b32_e32 v12, v12, v17, vcc_lo
	;; [unrolled: 1-line block ×3, first 2 shown]
	v_add_nc_u32_e32 v17, v19, v18
	v_cndmask_b32_e64 v15, v11, v20, s0
	v_cndmask_b32_e64 v11, v12, v11, s0
	;; [unrolled: 1-line block ×4, first 2 shown]
	v_sub_nc_u32_e32 v18, 32, v17
	v_cmp_eq_u32_e32 vcc_lo, 0, v17
	v_cndmask_b32_e64 v11, v11, v15, s1
	v_cndmask_b32_e64 v15, v15, v12, s1
	;; [unrolled: 1-line block ×4, first 2 shown]
	v_alignbit_b32 v19, v11, v15, v18
	v_alignbit_b32 v14, v15, v12, v18
	;; [unrolled: 1-line block ×3, first 2 shown]
	v_cndmask_b32_e32 v11, v19, v11, vcc_lo
	v_cndmask_b32_e32 v13, v14, v15, vcc_lo
	v_cndmask_b32_e32 v12, v17, v12, vcc_lo
	v_bfe_u32 v14, v11, 29, 1
	v_alignbit_b32 v15, v11, v13, 30
	v_alignbit_b32 v13, v13, v12, 30
	;; [unrolled: 1-line block ×3, first 2 shown]
	v_sub_nc_u32_e32 v16, 0, v14
	v_xor_b32_e32 v15, v15, v16
	v_xor_b32_e32 v12, v13, v16
	;; [unrolled: 1-line block ×3, first 2 shown]
	v_lshrrev_b32_e32 v16, 29, v11
	v_lshrrev_b32_e32 v11, 30, v11
	v_ffbh_u32_e32 v17, v15
	v_add_nc_u32_e32 v11, v14, v11
	v_min_u32_e32 v17, 32, v17
	v_sub_nc_u32_e32 v13, 31, v17
	v_lshlrev_b32_e32 v18, 23, v17
	v_alignbit_b32 v15, v15, v12, v13
	v_alignbit_b32 v10, v12, v10, v13
	v_lshlrev_b32_e32 v12, 31, v16
	v_alignbit_b32 v13, v15, v10, 9
	v_or_b32_e32 v16, 0.5, v12
	v_lshrrev_b32_e32 v15, 9, v15
	v_or_b32_e32 v12, 0x33000000, v12
	v_ffbh_u32_e32 v19, v13
	v_sub_nc_u32_e32 v16, v16, v18
	v_min_u32_e32 v18, 32, v19
	v_or_b32_e32 v15, v15, v16
	v_not_b32_e32 v16, v18
	v_mul_f32_e32 v19, 0x3fc90fda, v15
	v_add_lshl_u32 v17, v18, v17, 23
	v_alignbit_b32 v10, v13, v10, v16
	v_fma_f32 v13, 0x3fc90fda, v15, -v19
	v_sub_nc_u32_e32 v12, v12, v17
	v_lshrrev_b32_e32 v10, 9, v10
	v_fmamk_f32 v13, v15, 0x33a22168, v13
	v_or_b32_e32 v10, v12, v10
	v_fmac_f32_e32 v13, 0x3fc90fda, v10
	v_add_f32_e32 v10, v19, v13
.LBB8_7:
	s_andn2_saveexec_b32 s0, s5
; %bb.8:
	v_mul_f32_e64 v10, 0x3f22f983, |v2|
	v_rndne_f32_e32 v11, v10
	v_fma_f32 v10, 0xbfc90fda, v11, |v2|
	v_fmamk_f32 v10, v11, 0xb3a22168, v10
	v_fmamk_f32 v10, v11, 0xa7c234c4, v10
	v_cvt_i32_f32_e32 v11, v11
; %bb.9:
	s_or_b32 exec_lo, exec_lo, s0
	v_and_b32_e32 v12, 0x7fffffff, v3
                                        ; implicit-def: $vgpr15
                                        ; implicit-def: $vgpr14
	s_mov_b32 s1, exec_lo
	v_cmpx_ngt_f32_e64 0x48000000, |v3|
	s_xor_b32 s5, exec_lo, s1
	s_cbranch_execz .LBB8_11
; %bb.10:
	s_mov_b32 s0, 0x7fffff
	v_mov_b32_e32 v15, 0
	v_and_or_b32 v22, v12, s0, 0x800000
	v_lshrrev_b32_e32 v20, 23, v12
	v_mad_u64_u32 v[13:14], null, 0xfe5163ab, v22, 0
	v_add_nc_u32_e32 v21, 0xffffff88, v20
	v_cmp_lt_u32_e32 vcc_lo, 63, v21
	v_mad_u64_u32 v[16:17], null, 0x3c439041, v22, v[14:15]
	v_cndmask_b32_e64 v23, 0, 0xffffffc0, vcc_lo
	v_mov_b32_e32 v14, v17
	v_add_nc_u32_e32 v23, v23, v21
	v_mad_u64_u32 v[17:18], null, 0xdb629599, v22, v[14:15]
	v_cmp_lt_u32_e64 s0, 31, v23
	v_cndmask_b32_e64 v24, 0, 0xffffffe0, s0
	v_mov_b32_e32 v14, v18
	v_cndmask_b32_e32 v13, v17, v13, vcc_lo
	v_mad_u64_u32 v[18:19], null, 0xf534ddc0, v22, v[14:15]
	v_mov_b32_e32 v14, v19
	v_cndmask_b32_e32 v16, v18, v16, vcc_lo
	v_mad_u64_u32 v[19:20], null, 0xfc2757d1, v22, v[14:15]
	v_cndmask_b32_e64 v13, v16, v13, s0
	v_mov_b32_e32 v14, v20
	v_mad_u64_u32 v[20:21], null, 0x4e441529, v22, v[14:15]
	v_mov_b32_e32 v14, v21
	v_add_nc_u32_e32 v21, v24, v23
	v_cndmask_b32_e32 v23, v20, v18, vcc_lo
	v_mad_u64_u32 v[14:15], null, 0xa2f9836e, v22, v[14:15]
	v_cmp_lt_u32_e64 s1, 31, v21
	v_cndmask_b32_e64 v22, 0, 0xffffffe0, s1
	v_cndmask_b32_e32 v14, v14, v19, vcc_lo
	v_cndmask_b32_e32 v15, v15, v20, vcc_lo
	;; [unrolled: 1-line block ×3, first 2 shown]
	v_add_nc_u32_e32 v20, v22, v21
	v_cndmask_b32_e64 v18, v14, v23, s0
	v_cndmask_b32_e64 v14, v15, v14, s0
	;; [unrolled: 1-line block ×4, first 2 shown]
	v_sub_nc_u32_e32 v21, 32, v20
	v_cmp_eq_u32_e32 vcc_lo, 0, v20
	v_cndmask_b32_e64 v14, v14, v18, s1
	v_cndmask_b32_e64 v18, v18, v15, s1
	;; [unrolled: 1-line block ×4, first 2 shown]
	v_alignbit_b32 v22, v14, v18, v21
	v_alignbit_b32 v17, v18, v15, v21
	v_alignbit_b32 v20, v15, v13, v21
	v_cndmask_b32_e32 v14, v22, v14, vcc_lo
	v_cndmask_b32_e32 v16, v17, v18, vcc_lo
	;; [unrolled: 1-line block ×3, first 2 shown]
	v_bfe_u32 v17, v14, 29, 1
	v_alignbit_b32 v18, v14, v16, 30
	v_alignbit_b32 v16, v16, v15, 30
	;; [unrolled: 1-line block ×3, first 2 shown]
	v_sub_nc_u32_e32 v19, 0, v17
	v_xor_b32_e32 v18, v18, v19
	v_xor_b32_e32 v15, v16, v19
	;; [unrolled: 1-line block ×3, first 2 shown]
	v_lshrrev_b32_e32 v19, 29, v14
	v_ffbh_u32_e32 v20, v18
	v_min_u32_e32 v20, 32, v20
	v_sub_nc_u32_e32 v16, 31, v20
	v_lshlrev_b32_e32 v21, 23, v20
	v_alignbit_b32 v18, v18, v15, v16
	v_alignbit_b32 v13, v15, v13, v16
	v_lshlrev_b32_e32 v15, 31, v19
	v_alignbit_b32 v16, v18, v13, 9
	v_or_b32_e32 v19, 0.5, v15
	v_lshrrev_b32_e32 v18, 9, v18
	v_or_b32_e32 v15, 0x33000000, v15
	v_ffbh_u32_e32 v22, v16
	v_sub_nc_u32_e32 v19, v19, v21
	v_min_u32_e32 v21, 32, v22
	v_or_b32_e32 v18, v18, v19
	v_not_b32_e32 v19, v21
	v_mul_f32_e32 v22, 0x3fc90fda, v18
	v_add_lshl_u32 v20, v21, v20, 23
	v_alignbit_b32 v13, v16, v13, v19
	v_fma_f32 v16, 0x3fc90fda, v18, -v22
	v_sub_nc_u32_e32 v15, v15, v20
	v_lshrrev_b32_e32 v13, 9, v13
	v_fmamk_f32 v16, v18, 0x33a22168, v16
	v_or_b32_e32 v13, v15, v13
	v_fmac_f32_e32 v16, 0x3fc90fda, v13
	v_lshrrev_b32_e32 v13, 30, v14
	v_add_f32_e32 v14, v22, v16
	v_add_nc_u32_e32 v15, v17, v13
.LBB8_11:
	s_andn2_saveexec_b32 s0, s5
; %bb.12:
	v_mul_f32_e64 v13, 0x3f22f983, |v3|
	v_rndne_f32_e32 v13, v13
	v_fma_f32 v14, 0xbfc90fda, v13, |v3|
	v_cvt_i32_f32_e32 v15, v13
	v_fmamk_f32 v14, v13, 0xb3a22168, v14
	v_fmamk_f32 v14, v13, 0xa7c234c4, v14
; %bb.13:
	s_or_b32 exec_lo, exec_lo, s0
	v_and_b32_e32 v13, 0x7fffffff, v4
                                        ; implicit-def: $vgpr17
                                        ; implicit-def: $vgpr16
	s_mov_b32 s1, exec_lo
	v_cmpx_ngt_f32_e64 0x48000000, |v4|
	s_xor_b32 s5, exec_lo, s1
	s_cbranch_execz .LBB8_15
; %bb.14:
	s_mov_b32 s0, 0x7fffff
	v_mov_b32_e32 v18, 0
	v_and_or_b32 v25, v13, s0, 0x800000
	v_lshrrev_b32_e32 v23, 23, v13
	v_mad_u64_u32 v[16:17], null, 0xfe5163ab, v25, 0
	v_add_nc_u32_e32 v24, 0xffffff88, v23
	v_cmp_lt_u32_e32 vcc_lo, 63, v24
	v_mad_u64_u32 v[19:20], null, 0x3c439041, v25, v[17:18]
	v_cndmask_b32_e64 v26, 0, 0xffffffc0, vcc_lo
	v_mov_b32_e32 v17, v20
	v_add_nc_u32_e32 v26, v26, v24
	v_mad_u64_u32 v[20:21], null, 0xdb629599, v25, v[17:18]
	v_cmp_lt_u32_e64 s0, 31, v26
	v_cndmask_b32_e64 v27, 0, 0xffffffe0, s0
	v_mov_b32_e32 v17, v21
	v_cndmask_b32_e32 v16, v20, v16, vcc_lo
	v_mad_u64_u32 v[21:22], null, 0xf534ddc0, v25, v[17:18]
	v_mov_b32_e32 v17, v22
	v_cndmask_b32_e32 v19, v21, v19, vcc_lo
	v_mad_u64_u32 v[22:23], null, 0xfc2757d1, v25, v[17:18]
	v_cndmask_b32_e64 v16, v19, v16, s0
	v_mov_b32_e32 v17, v23
	v_mad_u64_u32 v[23:24], null, 0x4e441529, v25, v[17:18]
	v_mov_b32_e32 v17, v24
	v_add_nc_u32_e32 v24, v27, v26
	v_cndmask_b32_e32 v26, v23, v21, vcc_lo
	v_mad_u64_u32 v[17:18], null, 0xa2f9836e, v25, v[17:18]
	v_cmp_lt_u32_e64 s1, 31, v24
	v_cndmask_b32_e64 v25, 0, 0xffffffe0, s1
	v_cndmask_b32_e32 v17, v17, v22, vcc_lo
	v_cndmask_b32_e32 v18, v18, v23, vcc_lo
	;; [unrolled: 1-line block ×3, first 2 shown]
	v_add_nc_u32_e32 v23, v25, v24
	v_cndmask_b32_e64 v21, v17, v26, s0
	v_cndmask_b32_e64 v17, v18, v17, s0
	;; [unrolled: 1-line block ×4, first 2 shown]
	v_sub_nc_u32_e32 v24, 32, v23
	v_cmp_eq_u32_e32 vcc_lo, 0, v23
	v_cndmask_b32_e64 v17, v17, v21, s1
	v_cndmask_b32_e64 v21, v21, v18, s1
	;; [unrolled: 1-line block ×4, first 2 shown]
	v_alignbit_b32 v25, v17, v21, v24
	v_alignbit_b32 v20, v21, v18, v24
	;; [unrolled: 1-line block ×3, first 2 shown]
	v_cndmask_b32_e32 v17, v25, v17, vcc_lo
	v_cndmask_b32_e32 v19, v20, v21, vcc_lo
	;; [unrolled: 1-line block ×3, first 2 shown]
	v_bfe_u32 v20, v17, 29, 1
	v_alignbit_b32 v21, v17, v19, 30
	v_alignbit_b32 v19, v19, v18, 30
	v_alignbit_b32 v16, v18, v16, 30
	v_sub_nc_u32_e32 v22, 0, v20
	v_xor_b32_e32 v21, v21, v22
	v_xor_b32_e32 v18, v19, v22
	v_xor_b32_e32 v16, v16, v22
	v_lshrrev_b32_e32 v22, 29, v17
	v_lshrrev_b32_e32 v17, 30, v17
	v_ffbh_u32_e32 v23, v21
	v_add_nc_u32_e32 v17, v20, v17
	v_min_u32_e32 v23, 32, v23
	v_sub_nc_u32_e32 v19, 31, v23
	v_lshlrev_b32_e32 v24, 23, v23
	v_alignbit_b32 v21, v21, v18, v19
	v_alignbit_b32 v16, v18, v16, v19
	v_lshlrev_b32_e32 v18, 31, v22
	v_alignbit_b32 v19, v21, v16, 9
	v_or_b32_e32 v22, 0.5, v18
	v_lshrrev_b32_e32 v21, 9, v21
	v_or_b32_e32 v18, 0x33000000, v18
	v_ffbh_u32_e32 v25, v19
	v_sub_nc_u32_e32 v22, v22, v24
	v_min_u32_e32 v24, 32, v25
	v_or_b32_e32 v21, v21, v22
	v_not_b32_e32 v22, v24
	v_mul_f32_e32 v25, 0x3fc90fda, v21
	v_add_lshl_u32 v23, v24, v23, 23
	v_alignbit_b32 v16, v19, v16, v22
	v_fma_f32 v19, 0x3fc90fda, v21, -v25
	v_sub_nc_u32_e32 v18, v18, v23
	v_lshrrev_b32_e32 v16, 9, v16
	v_fmamk_f32 v19, v21, 0x33a22168, v19
	v_or_b32_e32 v16, v18, v16
	v_fmac_f32_e32 v19, 0x3fc90fda, v16
	v_add_f32_e32 v16, v25, v19
.LBB8_15:
	s_andn2_saveexec_b32 s0, s5
; %bb.16:
	v_mul_f32_e64 v16, 0x3f22f983, |v4|
	v_rndne_f32_e32 v17, v16
	v_fma_f32 v16, 0xbfc90fda, v17, |v4|
	v_fmamk_f32 v16, v17, 0xb3a22168, v16
	v_fmamk_f32 v16, v17, 0xa7c234c4, v16
	v_cvt_i32_f32_e32 v17, v17
; %bb.17:
	s_or_b32 exec_lo, exec_lo, s0
	v_mul_f32_e32 v18, v14, v14
	s_mov_b32 s0, 0xb94c1982
	s_mov_b32 s1, 0x37d75334
	v_mul_f32_e32 v22, v10, v10
	v_lshlrev_b32_e32 v21, 30, v15
	v_fmaak_f32 v19, s0, v18, 0x3c0881c4
	v_fmaak_f32 v20, s1, v18, 0xbab64f3b
	v_and_b32_e32 v15, 1, v15
	v_fmaak_f32 v23, s0, v22, 0x3c0881c4
	v_fmaak_f32 v24, s1, v22, 0xbab64f3b
	;; [unrolled: 1-line block ×4, first 2 shown]
	v_cmp_eq_u32_e32 vcc_lo, 0, v15
	v_fmaak_f32 v23, v22, v23, 0xbe2aaa9d
	v_fmaak_f32 v24, v22, v24, 0x3d2aabf7
	v_mul_f32_e32 v19, v18, v19
	v_fmaak_f32 v20, v18, v20, 0xbf000004
	v_xor_b32_e32 v12, v12, v3
	v_lshlrev_b32_e32 v25, 30, v11
	v_and_b32_e32 v11, 1, v11
	v_fmac_f32_e32 v14, v14, v19
	v_fma_f32 v18, v18, v20, 1.0
	v_and_b32_e32 v19, 0x80000000, v21
	v_mul_f32_e32 v20, v22, v23
	v_fmaak_f32 v21, v22, v24, 0xbf000004
	v_xor_b32_e32 v6, v6, v2
	v_cndmask_b32_e32 v14, v18, v14, vcc_lo
	v_cmp_eq_u32_e32 vcc_lo, 0, v11
	v_fmac_f32_e32 v10, v10, v20
	v_fma_f32 v18, v22, v21, 1.0
	v_lshlrev_b32_e32 v21, 30, v9
	v_xor3_b32 v12, v12, v19, v14
	v_mul_f32_e32 v14, v5, v5
	v_mul_f32_e32 v19, v16, v16
	v_cndmask_b32_e32 v10, v18, v10, vcc_lo
	v_and_b32_e32 v9, 1, v9
	v_and_b32_e32 v15, 0x80000000, v25
	v_fmaak_f32 v11, s0, v14, 0x3c0881c4
	v_fmaak_f32 v18, s1, v14, 0xbab64f3b
	;; [unrolled: 1-line block ×4, first 2 shown]
	v_cmp_eq_u32_e32 vcc_lo, 0, v9
	v_fmaak_f32 v11, v14, v11, 0xbe2aaa9d
	v_fmaak_f32 v18, v14, v18, 0x3d2aabf7
	;; [unrolled: 1-line block ×4, first 2 shown]
	v_xor_b32_e32 v8, v8, v1
	v_mul_f32_e32 v11, v14, v11
	v_fmaak_f32 v18, v14, v18, 0xbf000004
	v_mul_f32_e32 v20, v19, v20
	v_fmaak_f32 v22, v19, v22, 0xbf000004
	v_and_b32_e32 v21, 0x80000000, v21
	v_fmac_f32_e32 v5, v5, v11
	v_fma_f32 v11, v14, v18, 1.0
	v_and_b32_e32 v14, 1, v17
	v_fmac_f32_e32 v16, v16, v20
	v_fma_f32 v18, v19, v22, 1.0
	v_lshlrev_b32_e32 v17, 30, v17
	v_cndmask_b32_e32 v5, v11, v5, vcc_lo
	v_cmp_eq_u32_e32 vcc_lo, 0, v14
	v_xor3_b32 v6, v6, v15, v10
	v_xor_b32_e32 v13, v13, v4
	v_and_b32_e32 v11, 0x80000000, v17
	v_xor3_b32 v5, v8, v21, v5
	v_cndmask_b32_e32 v9, v18, v16, vcc_lo
	v_cmp_class_f32_e64 vcc_lo, v3, 0x1f8
	s_add_u32 s2, s8, s2
	s_addc_u32 s3, s9, s3
	s_mov_b32 s0, 0
	v_xor3_b32 v8, v13, v11, v9
	v_cndmask_b32_e32 v3, 0x7fc00000, v12, vcc_lo
	v_cmp_class_f32_e64 vcc_lo, v2, 0x1f8
	v_cndmask_b32_e32 v2, 0x7fc00000, v6, vcc_lo
	v_cmp_class_f32_e64 vcc_lo, v1, 0x1f8
	v_cndmask_b32_e32 v1, 0x7fc00000, v5, vcc_lo
	v_cmp_class_f32_e64 vcc_lo, v4, 0x1f8
	v_cndmask_b32_e32 v4, 0x7fc00000, v8, vcc_lo
	global_store_dwordx4 v7, v[1:4], s[2:3]
.LBB8_18:
	s_and_b32 vcc_lo, exec_lo, s0
	s_cbranch_vccz .LBB8_51
; %bb.19:
	v_cmp_gt_i32_e32 vcc_lo, s6, v0
	v_mov_b32_e32 v8, 0
	v_or_b32_e32 v1, s4, v0
	v_or_b32_e32 v3, 0x100, v0
	v_mov_b32_e32 v10, 0
	v_mov_b32_e32 v4, v0
	s_and_saveexec_b32 s1, vcc_lo
	s_cbranch_execz .LBB8_21
; %bb.20:
	v_mov_b32_e32 v2, 0
	v_lshlrev_b64 v[4:5], 2, v[1:2]
	v_add_co_u32 v4, s0, s10, v4
	v_add_co_ci_u32_e64 v5, null, s11, v5, s0
	global_load_dword v10, v[4:5], off
	v_or_b32_e32 v4, 0x100, v0
.LBB8_21:
	s_or_b32 exec_lo, exec_lo, s1
	s_mov_b32 s1, exec_lo
	v_cmpx_gt_i32_e64 s6, v4
	s_cbranch_execz .LBB8_23
; %bb.22:
	v_add_nc_u32_e32 v5, s4, v4
	v_mov_b32_e32 v6, 0
	v_add_nc_u32_e32 v4, 0x100, v4
	v_lshlrev_b64 v[5:6], 2, v[5:6]
	v_add_co_u32 v5, s0, s10, v5
	v_add_co_ci_u32_e64 v6, null, s11, v6, s0
	global_load_dword v8, v[5:6], off
.LBB8_23:
	s_or_b32 exec_lo, exec_lo, s1
	v_mov_b32_e32 v2, 0
	v_mov_b32_e32 v5, 0
	s_mov_b32 s1, exec_lo
	v_cmpx_gt_i32_e64 s6, v4
	s_cbranch_execz .LBB8_25
; %bb.24:
	v_add_nc_u32_e32 v5, s4, v4
	v_mov_b32_e32 v6, 0
	v_add_nc_u32_e32 v4, 0x100, v4
	v_lshlrev_b64 v[5:6], 2, v[5:6]
	v_add_co_u32 v5, s0, s10, v5
	v_add_co_ci_u32_e64 v6, null, s11, v6, s0
	global_load_dword v5, v[5:6], off
.LBB8_25:
	s_or_b32 exec_lo, exec_lo, s1
	s_mov_b32 s1, exec_lo
	v_cmpx_gt_i32_e64 s6, v4
	s_cbranch_execz .LBB8_27
; %bb.26:
	v_add_nc_u32_e32 v6, s4, v4
	v_mov_b32_e32 v7, 0
	v_lshlrev_b64 v[6:7], 2, v[6:7]
	v_add_co_u32 v6, s0, s10, v6
	v_add_co_ci_u32_e64 v7, null, s11, v7, s0
	global_load_dword v2, v[6:7], off
.LBB8_27:
	s_or_b32 exec_lo, exec_lo, s1
	v_mov_b32_e32 v4, 0
	v_mov_b32_e32 v9, v4
	;; [unrolled: 1-line block ×4, first 2 shown]
	s_and_saveexec_b32 s3, vcc_lo
	s_cbranch_execz .LBB8_33
; %bb.28:
	s_waitcnt vmcnt(0)
	v_and_b32_e32 v4, 0x7fffffff, v10
                                        ; implicit-def: $vgpr7
                                        ; implicit-def: $vgpr6
	s_mov_b32 s1, exec_lo
	v_cmpx_ngt_f32_e64 0x48000000, |v10|
	s_xor_b32 s5, exec_lo, s1
	s_cbranch_execz .LBB8_30
; %bb.29:
	s_mov_b32 s0, 0x7fffff
	v_mov_b32_e32 v12, 0
	v_and_or_b32 v9, v4, s0, 0x800000
	v_mad_u64_u32 v[6:7], null, 0xfe5163ab, v9, 0
	v_mov_b32_e32 v11, v7
	v_lshrrev_b32_e32 v7, 23, v4
	v_mad_u64_u32 v[13:14], null, 0x3c439041, v9, v[11:12]
	v_add_nc_u32_e32 v7, 0xffffff88, v7
	v_cmp_lt_u32_e64 s0, 63, v7
	v_mov_b32_e32 v11, v14
	v_cndmask_b32_e64 v18, 0, 0xffffffc0, s0
	v_mad_u64_u32 v[14:15], null, 0xdb629599, v9, v[11:12]
	v_add_nc_u32_e32 v7, v18, v7
	v_mov_b32_e32 v11, v15
	v_cmp_lt_u32_e64 s1, 31, v7
	v_cndmask_b32_e64 v6, v14, v6, s0
	v_mad_u64_u32 v[15:16], null, 0xf534ddc0, v9, v[11:12]
	v_cndmask_b32_e64 v19, 0, 0xffffffe0, s1
	v_add_nc_u32_e32 v7, v19, v7
	v_mov_b32_e32 v11, v16
	v_cmp_lt_u32_e64 s2, 31, v7
	v_mad_u64_u32 v[16:17], null, 0xfc2757d1, v9, v[11:12]
	v_mov_b32_e32 v11, v17
	v_mad_u64_u32 v[17:18], null, 0x4e441529, v9, v[11:12]
	v_mov_b32_e32 v11, v18
	v_cndmask_b32_e64 v18, v17, v15, s0
	v_mad_u64_u32 v[11:12], null, 0xa2f9836e, v9, v[11:12]
	v_cndmask_b32_e64 v9, 0, 0xffffffe0, s2
	v_add_nc_u32_e32 v7, v9, v7
	v_cndmask_b32_e64 v11, v11, v16, s0
	v_cndmask_b32_e64 v12, v12, v17, s0
	;; [unrolled: 1-line block ×4, first 2 shown]
	v_sub_nc_u32_e32 v15, 32, v7
	v_cndmask_b32_e64 v13, v11, v18, s1
	v_cndmask_b32_e64 v11, v12, v11, s1
	;; [unrolled: 1-line block ×4, first 2 shown]
	v_cmp_eq_u32_e64 s0, 0, v7
	v_cndmask_b32_e64 v6, v9, v6, s1
	v_cndmask_b32_e64 v11, v11, v13, s2
	;; [unrolled: 1-line block ×5, first 2 shown]
	v_alignbit_b32 v17, v11, v13, v15
	v_alignbit_b32 v14, v13, v12, v15
	;; [unrolled: 1-line block ×3, first 2 shown]
	v_cndmask_b32_e64 v7, v17, v11, s0
	v_cndmask_b32_e64 v9, v14, v13, s0
	;; [unrolled: 1-line block ×3, first 2 shown]
	v_bfe_u32 v11, v7, 29, 1
	v_alignbit_b32 v13, v7, v9, 30
	v_alignbit_b32 v9, v9, v12, 30
	;; [unrolled: 1-line block ×3, first 2 shown]
	v_sub_nc_u32_e32 v14, 0, v11
	v_xor_b32_e32 v13, v13, v14
	v_xor_b32_e32 v9, v9, v14
	;; [unrolled: 1-line block ×3, first 2 shown]
	v_lshrrev_b32_e32 v14, 29, v7
	v_lshrrev_b32_e32 v7, 30, v7
	v_ffbh_u32_e32 v15, v13
	v_add_nc_u32_e32 v7, v11, v7
	v_min_u32_e32 v15, 32, v15
	v_sub_nc_u32_e32 v12, 31, v15
	v_lshlrev_b32_e32 v16, 23, v15
	v_alignbit_b32 v13, v13, v9, v12
	v_alignbit_b32 v6, v9, v6, v12
	v_lshlrev_b32_e32 v9, 31, v14
	v_alignbit_b32 v12, v13, v6, 9
	v_or_b32_e32 v14, 0.5, v9
	v_lshrrev_b32_e32 v13, 9, v13
	v_or_b32_e32 v9, 0x33000000, v9
	v_ffbh_u32_e32 v17, v12
	v_sub_nc_u32_e32 v14, v14, v16
	v_min_u32_e32 v16, 32, v17
	v_or_b32_e32 v13, v13, v14
	v_not_b32_e32 v14, v16
	v_mul_f32_e32 v17, 0x3fc90fda, v13
	v_add_lshl_u32 v15, v16, v15, 23
	v_alignbit_b32 v6, v12, v6, v14
	v_fma_f32 v12, 0x3fc90fda, v13, -v17
	v_sub_nc_u32_e32 v9, v9, v15
	v_lshrrev_b32_e32 v6, 9, v6
	v_fmamk_f32 v12, v13, 0x33a22168, v12
	v_or_b32_e32 v6, v9, v6
	v_fmac_f32_e32 v12, 0x3fc90fda, v6
	v_add_f32_e32 v6, v17, v12
.LBB8_30:
	s_andn2_saveexec_b32 s0, s5
; %bb.31:
	v_mul_f32_e64 v6, 0x3f22f983, |v10|
	v_rndne_f32_e32 v7, v6
	v_fma_f32 v6, 0xbfc90fda, v7, |v10|
	v_fmamk_f32 v6, v7, 0xb3a22168, v6
	v_fmamk_f32 v6, v7, 0xa7c234c4, v6
	v_cvt_i32_f32_e32 v7, v7
; %bb.32:
	s_or_b32 exec_lo, exec_lo, s0
	v_mul_f32_e32 v9, v6, v6
	s_mov_b32 s0, 0xb94c1982
	s_mov_b32 s1, 0x37d75334
	v_and_b32_e32 v13, 1, v7
	v_lshlrev_b32_e32 v7, 30, v7
	v_fmaak_f32 v11, s0, v9, 0x3c0881c4
	v_fmaak_f32 v12, s1, v9, 0xbab64f3b
	v_xor_b32_e32 v4, v4, v10
	v_cmp_eq_u32_e64 s0, 0, v13
	v_and_b32_e32 v7, 0x80000000, v7
	v_fmaak_f32 v11, v9, v11, 0xbe2aaa9d
	v_fmaak_f32 v12, v9, v12, 0x3d2aabf7
	v_mul_f32_e32 v11, v9, v11
	v_fmaak_f32 v12, v9, v12, 0xbf000004
	v_fmac_f32_e32 v6, v6, v11
	v_fma_f32 v9, v9, v12, 1.0
	v_cndmask_b32_e64 v6, v9, v6, s0
	v_mov_b32_e32 v9, 0
	v_cmp_class_f32_e64 s0, v10, 0x1f8
	v_xor3_b32 v4, v4, v7, v6
	v_mov_b32_e32 v7, v9
	v_mov_b32_e32 v6, v9
	v_cndmask_b32_e64 v4, 0x7fc00000, v4, s0
.LBB8_33:
	s_or_b32 exec_lo, exec_lo, s3
	s_mov_b32 s3, exec_lo
	v_cmpx_gt_i32_e64 s6, v3
	s_cbranch_execz .LBB8_39
; %bb.34:
	s_waitcnt vmcnt(0)
	v_and_b32_e32 v9, 0x7fffffff, v8
                                        ; implicit-def: $vgpr11
                                        ; implicit-def: $vgpr10
	s_mov_b32 s1, exec_lo
	v_cmpx_ngt_f32_e64 0x48000000, |v8|
	s_xor_b32 s5, exec_lo, s1
	s_cbranch_execz .LBB8_36
; %bb.35:
	s_mov_b32 s0, 0x7fffff
	v_mov_b32_e32 v12, 0
	v_and_or_b32 v19, v9, s0, 0x800000
	v_lshrrev_b32_e32 v17, 23, v9
	v_mad_u64_u32 v[10:11], null, 0xfe5163ab, v19, 0
	v_add_nc_u32_e32 v18, 0xffffff88, v17
	v_cmp_lt_u32_e64 s0, 63, v18
	v_mad_u64_u32 v[13:14], null, 0x3c439041, v19, v[11:12]
	v_cndmask_b32_e64 v20, 0, 0xffffffc0, s0
	v_mov_b32_e32 v11, v14
	v_add_nc_u32_e32 v20, v20, v18
	v_mad_u64_u32 v[14:15], null, 0xdb629599, v19, v[11:12]
	v_cmp_lt_u32_e64 s1, 31, v20
	v_cndmask_b32_e64 v21, 0, 0xffffffe0, s1
	v_mov_b32_e32 v11, v15
	v_cndmask_b32_e64 v10, v14, v10, s0
	v_mad_u64_u32 v[15:16], null, 0xf534ddc0, v19, v[11:12]
	v_mov_b32_e32 v11, v16
	v_cndmask_b32_e64 v13, v15, v13, s0
	v_mad_u64_u32 v[16:17], null, 0xfc2757d1, v19, v[11:12]
	v_cndmask_b32_e64 v10, v13, v10, s1
	v_mov_b32_e32 v11, v17
	v_mad_u64_u32 v[17:18], null, 0x4e441529, v19, v[11:12]
	v_mov_b32_e32 v11, v18
	v_add_nc_u32_e32 v18, v21, v20
	v_cndmask_b32_e64 v20, v17, v15, s0
	v_mad_u64_u32 v[11:12], null, 0xa2f9836e, v19, v[11:12]
	v_cmp_lt_u32_e64 s2, 31, v18
	v_cndmask_b32_e64 v19, 0, 0xffffffe0, s2
	v_cndmask_b32_e64 v11, v11, v16, s0
	v_cndmask_b32_e64 v12, v12, v17, s0
	v_cndmask_b32_e64 v16, v16, v14, s0
	v_add_nc_u32_e32 v17, v19, v18
	v_cndmask_b32_e64 v15, v11, v20, s1
	v_cndmask_b32_e64 v11, v12, v11, s1
	;; [unrolled: 1-line block ×4, first 2 shown]
	v_sub_nc_u32_e32 v18, 32, v17
	v_cmp_eq_u32_e64 s0, 0, v17
	v_cndmask_b32_e64 v11, v11, v15, s2
	v_cndmask_b32_e64 v15, v15, v12, s2
	;; [unrolled: 1-line block ×4, first 2 shown]
	v_alignbit_b32 v19, v11, v15, v18
	v_alignbit_b32 v14, v15, v12, v18
	;; [unrolled: 1-line block ×3, first 2 shown]
	v_cndmask_b32_e64 v11, v19, v11, s0
	v_cndmask_b32_e64 v13, v14, v15, s0
	;; [unrolled: 1-line block ×3, first 2 shown]
	v_bfe_u32 v14, v11, 29, 1
	v_alignbit_b32 v15, v11, v13, 30
	v_alignbit_b32 v13, v13, v12, 30
	;; [unrolled: 1-line block ×3, first 2 shown]
	v_sub_nc_u32_e32 v16, 0, v14
	v_xor_b32_e32 v15, v15, v16
	v_xor_b32_e32 v12, v13, v16
	;; [unrolled: 1-line block ×3, first 2 shown]
	v_lshrrev_b32_e32 v16, 29, v11
	v_lshrrev_b32_e32 v11, 30, v11
	v_ffbh_u32_e32 v17, v15
	v_add_nc_u32_e32 v11, v14, v11
	v_min_u32_e32 v17, 32, v17
	v_sub_nc_u32_e32 v13, 31, v17
	v_lshlrev_b32_e32 v18, 23, v17
	v_alignbit_b32 v15, v15, v12, v13
	v_alignbit_b32 v10, v12, v10, v13
	v_lshlrev_b32_e32 v12, 31, v16
	v_alignbit_b32 v13, v15, v10, 9
	v_or_b32_e32 v16, 0.5, v12
	v_lshrrev_b32_e32 v15, 9, v15
	v_or_b32_e32 v12, 0x33000000, v12
	v_ffbh_u32_e32 v19, v13
	v_sub_nc_u32_e32 v16, v16, v18
	v_min_u32_e32 v18, 32, v19
	v_or_b32_e32 v15, v15, v16
	v_not_b32_e32 v16, v18
	v_mul_f32_e32 v19, 0x3fc90fda, v15
	v_add_lshl_u32 v17, v18, v17, 23
	v_alignbit_b32 v10, v13, v10, v16
	v_fma_f32 v13, 0x3fc90fda, v15, -v19
	v_sub_nc_u32_e32 v12, v12, v17
	v_lshrrev_b32_e32 v10, 9, v10
	v_fmamk_f32 v13, v15, 0x33a22168, v13
	v_or_b32_e32 v10, v12, v10
	v_fmac_f32_e32 v13, 0x3fc90fda, v10
	v_add_f32_e32 v10, v19, v13
.LBB8_36:
	s_andn2_saveexec_b32 s0, s5
; %bb.37:
	v_mul_f32_e64 v10, 0x3f22f983, |v8|
	v_rndne_f32_e32 v11, v10
	v_fma_f32 v10, 0xbfc90fda, v11, |v8|
	v_fmamk_f32 v10, v11, 0xb3a22168, v10
	v_fmamk_f32 v10, v11, 0xa7c234c4, v10
	v_cvt_i32_f32_e32 v11, v11
; %bb.38:
	s_or_b32 exec_lo, exec_lo, s0
	v_mul_f32_e32 v12, v10, v10
	s_mov_b32 s0, 0xb94c1982
	s_mov_b32 s1, 0x37d75334
	v_and_b32_e32 v15, 1, v11
	v_lshlrev_b32_e32 v11, 30, v11
	v_fmaak_f32 v13, s0, v12, 0x3c0881c4
	v_fmaak_f32 v14, s1, v12, 0xbab64f3b
	v_xor_b32_e32 v9, v9, v8
	v_cmp_eq_u32_e64 s0, 0, v15
	v_and_b32_e32 v11, 0x80000000, v11
	v_fmaak_f32 v13, v12, v13, 0xbe2aaa9d
	v_fmaak_f32 v14, v12, v14, 0x3d2aabf7
	v_mul_f32_e32 v13, v12, v13
	v_fmaak_f32 v14, v12, v14, 0xbf000004
	v_fmac_f32_e32 v10, v10, v13
	v_fma_f32 v12, v12, v14, 1.0
	v_cndmask_b32_e64 v10, v12, v10, s0
	v_cmp_class_f32_e64 s0, v8, 0x1f8
	v_xor3_b32 v9, v9, v11, v10
	v_cndmask_b32_e64 v9, 0x7fc00000, v9, s0
.LBB8_39:
	s_or_b32 exec_lo, exec_lo, s3
	s_waitcnt vmcnt(0)
	v_or_b32_e32 v8, 0x200, v0
	s_mov_b32 s3, exec_lo
	v_cmpx_gt_i32_e64 s6, v8
	s_cbranch_execz .LBB8_45
; %bb.40:
	v_and_b32_e32 v7, 0x7fffffff, v5
                                        ; implicit-def: $vgpr10
                                        ; implicit-def: $vgpr8
	s_mov_b32 s1, exec_lo
	v_cmpx_ngt_f32_e64 0x48000000, |v5|
	s_xor_b32 s5, exec_lo, s1
	s_cbranch_execz .LBB8_42
; %bb.41:
	s_mov_b32 s0, 0x7fffff
	v_mov_b32_e32 v12, 0
	v_and_or_b32 v8, v7, s0, 0x800000
	v_lshrrev_b32_e32 v17, 23, v7
	v_mad_u64_u32 v[10:11], null, 0xfe5163ab, v8, 0
	v_add_nc_u32_e32 v18, 0xffffff88, v17
	v_cmp_lt_u32_e64 s0, 63, v18
	v_mad_u64_u32 v[13:14], null, 0x3c439041, v8, v[11:12]
	v_cndmask_b32_e64 v19, 0, 0xffffffc0, s0
	v_mov_b32_e32 v11, v14
	v_add_nc_u32_e32 v19, v19, v18
	v_mad_u64_u32 v[14:15], null, 0xdb629599, v8, v[11:12]
	v_cmp_lt_u32_e64 s1, 31, v19
	v_cndmask_b32_e64 v20, 0, 0xffffffe0, s1
	v_mov_b32_e32 v11, v15
	v_cndmask_b32_e64 v10, v14, v10, s0
	v_mad_u64_u32 v[15:16], null, 0xf534ddc0, v8, v[11:12]
	v_mov_b32_e32 v11, v16
	v_cndmask_b32_e64 v13, v15, v13, s0
	v_mad_u64_u32 v[16:17], null, 0xfc2757d1, v8, v[11:12]
	v_cndmask_b32_e64 v10, v13, v10, s1
	v_mov_b32_e32 v11, v17
	v_mad_u64_u32 v[17:18], null, 0x4e441529, v8, v[11:12]
	v_mov_b32_e32 v11, v18
	v_add_nc_u32_e32 v18, v20, v19
	v_cndmask_b32_e64 v19, v17, v15, s0
	v_mad_u64_u32 v[11:12], null, 0xa2f9836e, v8, v[11:12]
	v_cmp_lt_u32_e64 s2, 31, v18
	v_cndmask_b32_e64 v8, 0, 0xffffffe0, s2
	v_cndmask_b32_e64 v11, v11, v16, s0
	;; [unrolled: 1-line block ×4, first 2 shown]
	v_add_nc_u32_e32 v8, v8, v18
	v_cndmask_b32_e64 v15, v11, v19, s1
	v_cndmask_b32_e64 v11, v12, v11, s1
	;; [unrolled: 1-line block ×4, first 2 shown]
	v_sub_nc_u32_e32 v17, 32, v8
	v_cmp_eq_u32_e64 s0, 0, v8
	v_cndmask_b32_e64 v11, v11, v15, s2
	v_cndmask_b32_e64 v15, v15, v12, s2
	;; [unrolled: 1-line block ×4, first 2 shown]
	v_alignbit_b32 v18, v11, v15, v17
	v_alignbit_b32 v14, v15, v12, v17
	;; [unrolled: 1-line block ×3, first 2 shown]
	v_cndmask_b32_e64 v8, v18, v11, s0
	v_cndmask_b32_e64 v11, v14, v15, s0
	;; [unrolled: 1-line block ×3, first 2 shown]
	v_bfe_u32 v13, v8, 29, 1
	v_alignbit_b32 v14, v8, v11, 30
	v_alignbit_b32 v11, v11, v12, 30
	;; [unrolled: 1-line block ×3, first 2 shown]
	v_sub_nc_u32_e32 v15, 0, v13
	v_xor_b32_e32 v14, v14, v15
	v_xor_b32_e32 v11, v11, v15
	;; [unrolled: 1-line block ×3, first 2 shown]
	v_lshrrev_b32_e32 v15, 29, v8
	v_ffbh_u32_e32 v16, v14
	v_min_u32_e32 v16, 32, v16
	v_sub_nc_u32_e32 v12, 31, v16
	v_lshlrev_b32_e32 v17, 23, v16
	v_alignbit_b32 v14, v14, v11, v12
	v_alignbit_b32 v10, v11, v10, v12
	v_lshlrev_b32_e32 v11, 31, v15
	v_alignbit_b32 v12, v14, v10, 9
	v_or_b32_e32 v15, 0.5, v11
	v_lshrrev_b32_e32 v14, 9, v14
	v_or_b32_e32 v11, 0x33000000, v11
	v_ffbh_u32_e32 v18, v12
	v_sub_nc_u32_e32 v15, v15, v17
	v_min_u32_e32 v17, 32, v18
	v_or_b32_e32 v14, v14, v15
	v_not_b32_e32 v15, v17
	v_mul_f32_e32 v18, 0x3fc90fda, v14
	v_add_lshl_u32 v16, v17, v16, 23
	v_alignbit_b32 v10, v12, v10, v15
	v_fma_f32 v12, 0x3fc90fda, v14, -v18
	v_sub_nc_u32_e32 v11, v11, v16
	v_lshrrev_b32_e32 v10, 9, v10
	v_fmamk_f32 v12, v14, 0x33a22168, v12
	v_or_b32_e32 v10, v11, v10
	v_fmac_f32_e32 v12, 0x3fc90fda, v10
	v_lshrrev_b32_e32 v10, 30, v8
	v_add_f32_e32 v8, v18, v12
	v_add_nc_u32_e32 v10, v13, v10
.LBB8_42:
	s_andn2_saveexec_b32 s0, s5
; %bb.43:
	v_mul_f32_e64 v8, 0x3f22f983, |v5|
	v_rndne_f32_e32 v10, v8
	v_fma_f32 v8, 0xbfc90fda, v10, |v5|
	v_fmamk_f32 v8, v10, 0xb3a22168, v8
	v_fmamk_f32 v8, v10, 0xa7c234c4, v8
	v_cvt_i32_f32_e32 v10, v10
; %bb.44:
	s_or_b32 exec_lo, exec_lo, s0
	v_mul_f32_e32 v11, v8, v8
	s_mov_b32 s0, 0xb94c1982
	s_mov_b32 s1, 0x37d75334
	v_and_b32_e32 v14, 1, v10
	v_lshlrev_b32_e32 v10, 30, v10
	v_fmaak_f32 v12, s0, v11, 0x3c0881c4
	v_fmaak_f32 v13, s1, v11, 0xbab64f3b
	v_xor_b32_e32 v7, v7, v5
	v_cmp_eq_u32_e64 s0, 0, v14
	v_and_b32_e32 v10, 0x80000000, v10
	v_fmaak_f32 v12, v11, v12, 0xbe2aaa9d
	v_fmaak_f32 v13, v11, v13, 0x3d2aabf7
	v_mul_f32_e32 v12, v11, v12
	v_fmaak_f32 v13, v11, v13, 0xbf000004
	v_fmac_f32_e32 v8, v8, v12
	v_fma_f32 v11, v11, v13, 1.0
	v_cndmask_b32_e64 v8, v11, v8, s0
	v_cmp_class_f32_e64 s0, v5, 0x1f8
	v_xor3_b32 v7, v7, v10, v8
	v_cndmask_b32_e64 v7, 0x7fc00000, v7, s0
.LBB8_45:
	s_or_b32 exec_lo, exec_lo, s3
	v_or_b32_e32 v5, 0x300, v0
	s_mov_b32 s3, exec_lo
	v_cmpx_gt_i32_e64 s6, v5
	s_cbranch_execnz .LBB8_52
; %bb.46:
	s_or_b32 exec_lo, exec_lo, s3
	s_and_saveexec_b32 s0, vcc_lo
	s_xor_b32 s0, exec_lo, s0
	s_cbranch_execnz .LBB8_57
.LBB8_47:
	s_or_b32 exec_lo, exec_lo, s0
	s_mov_b32 s0, exec_lo
	v_cmpx_gt_i32_e64 s6, v0
	s_cbranch_execnz .LBB8_58
.LBB8_48:
	s_or_b32 exec_lo, exec_lo, s0
	s_mov_b32 s0, exec_lo
	v_cmpx_gt_i32_e64 s6, v0
	s_cbranch_execnz .LBB8_59
.LBB8_49:
	s_or_b32 exec_lo, exec_lo, s0
	s_mov_b32 s0, exec_lo
	v_cmpx_gt_i32_e64 s6, v0
	s_cbranch_execz .LBB8_51
.LBB8_50:
	v_add_nc_u32_e32 v0, s4, v0
	v_mov_b32_e32 v1, 0
	v_lshlrev_b64 v[0:1], 2, v[0:1]
	v_add_co_u32 v0, vcc_lo, s8, v0
	v_add_co_ci_u32_e64 v1, null, s9, v1, vcc_lo
	global_store_dword v[0:1], v6, off
.LBB8_51:
	s_endpgm
.LBB8_52:
	v_and_b32_e32 v5, 0x7fffffff, v2
                                        ; implicit-def: $vgpr8
                                        ; implicit-def: $vgpr6
	s_mov_b32 s1, exec_lo
	v_cmpx_ngt_f32_e64 0x48000000, |v2|
	s_xor_b32 s5, exec_lo, s1
	s_cbranch_execz .LBB8_54
; %bb.53:
	s_mov_b32 s0, 0x7fffff
	v_mov_b32_e32 v12, 0
	v_and_or_b32 v6, v5, s0, 0x800000
	v_lshrrev_b32_e32 v8, 23, v5
	v_mad_u64_u32 v[10:11], null, 0xfe5163ab, v6, 0
	v_add_nc_u32_e32 v8, 0xffffff88, v8
	v_cmp_lt_u32_e64 s0, 63, v8
	v_mad_u64_u32 v[13:14], null, 0x3c439041, v6, v[11:12]
	v_cndmask_b32_e64 v18, 0, 0xffffffc0, s0
	v_mov_b32_e32 v11, v14
	v_add_nc_u32_e32 v8, v18, v8
	v_mad_u64_u32 v[14:15], null, 0xdb629599, v6, v[11:12]
	v_cmp_lt_u32_e64 s1, 31, v8
	v_cndmask_b32_e64 v19, 0, 0xffffffe0, s1
	v_mov_b32_e32 v11, v15
	v_cndmask_b32_e64 v10, v14, v10, s0
	v_add_nc_u32_e32 v8, v19, v8
	v_mad_u64_u32 v[15:16], null, 0xf534ddc0, v6, v[11:12]
	v_cmp_lt_u32_e64 s2, 31, v8
	v_mov_b32_e32 v11, v16
	v_mad_u64_u32 v[16:17], null, 0xfc2757d1, v6, v[11:12]
	v_mov_b32_e32 v11, v17
	v_mad_u64_u32 v[17:18], null, 0x4e441529, v6, v[11:12]
	v_mov_b32_e32 v11, v18
	v_cndmask_b32_e64 v18, v17, v15, s0
	v_mad_u64_u32 v[11:12], null, 0xa2f9836e, v6, v[11:12]
	v_cndmask_b32_e64 v6, 0, 0xffffffe0, s2
	v_add_nc_u32_e32 v6, v6, v8
	v_cndmask_b32_e64 v11, v11, v16, s0
	v_cndmask_b32_e64 v12, v12, v17, s0
	;; [unrolled: 1-line block ×4, first 2 shown]
	v_sub_nc_u32_e32 v15, 32, v6
	v_cndmask_b32_e64 v13, v11, v18, s1
	v_cndmask_b32_e64 v11, v12, v11, s1
	;; [unrolled: 1-line block ×4, first 2 shown]
	v_cmp_eq_u32_e64 s0, 0, v6
	v_cndmask_b32_e64 v8, v8, v10, s1
	v_cndmask_b32_e64 v11, v11, v13, s2
	;; [unrolled: 1-line block ×5, first 2 shown]
	v_alignbit_b32 v17, v11, v13, v15
	v_alignbit_b32 v14, v13, v12, v15
	;; [unrolled: 1-line block ×3, first 2 shown]
	v_cndmask_b32_e64 v6, v17, v11, s0
	v_cndmask_b32_e64 v10, v14, v13, s0
	;; [unrolled: 1-line block ×3, first 2 shown]
	v_bfe_u32 v11, v6, 29, 1
	v_alignbit_b32 v13, v6, v10, 30
	v_alignbit_b32 v10, v10, v12, 30
	;; [unrolled: 1-line block ×3, first 2 shown]
	v_sub_nc_u32_e32 v14, 0, v11
	v_xor_b32_e32 v13, v13, v14
	v_xor_b32_e32 v10, v10, v14
	;; [unrolled: 1-line block ×3, first 2 shown]
	v_lshrrev_b32_e32 v14, 29, v6
	v_ffbh_u32_e32 v15, v13
	v_min_u32_e32 v15, 32, v15
	v_sub_nc_u32_e32 v12, 31, v15
	v_lshlrev_b32_e32 v16, 23, v15
	v_alignbit_b32 v13, v13, v10, v12
	v_alignbit_b32 v8, v10, v8, v12
	v_lshlrev_b32_e32 v10, 31, v14
	v_alignbit_b32 v12, v13, v8, 9
	v_or_b32_e32 v14, 0.5, v10
	v_lshrrev_b32_e32 v13, 9, v13
	v_or_b32_e32 v10, 0x33000000, v10
	v_ffbh_u32_e32 v17, v12
	v_sub_nc_u32_e32 v14, v14, v16
	v_min_u32_e32 v16, 32, v17
	v_or_b32_e32 v13, v13, v14
	v_not_b32_e32 v14, v16
	v_mul_f32_e32 v17, 0x3fc90fda, v13
	v_add_lshl_u32 v15, v16, v15, 23
	v_alignbit_b32 v8, v12, v8, v14
	v_fma_f32 v12, 0x3fc90fda, v13, -v17
	v_sub_nc_u32_e32 v10, v10, v15
	v_lshrrev_b32_e32 v8, 9, v8
	v_fmamk_f32 v12, v13, 0x33a22168, v12
	v_or_b32_e32 v8, v10, v8
	v_fmac_f32_e32 v12, 0x3fc90fda, v8
	v_lshrrev_b32_e32 v8, 30, v6
	v_add_f32_e32 v6, v17, v12
	v_add_nc_u32_e32 v8, v11, v8
.LBB8_54:
	s_andn2_saveexec_b32 s0, s5
; %bb.55:
	v_mul_f32_e64 v6, 0x3f22f983, |v2|
	v_rndne_f32_e32 v8, v6
	v_fma_f32 v6, 0xbfc90fda, v8, |v2|
	v_fmamk_f32 v6, v8, 0xb3a22168, v6
	v_fmamk_f32 v6, v8, 0xa7c234c4, v6
	v_cvt_i32_f32_e32 v8, v8
; %bb.56:
	s_or_b32 exec_lo, exec_lo, s0
	v_mul_f32_e32 v10, v6, v6
	s_mov_b32 s0, 0xb94c1982
	s_mov_b32 s1, 0x37d75334
	v_and_b32_e32 v13, 1, v8
	v_lshlrev_b32_e32 v8, 30, v8
	v_fmaak_f32 v11, s0, v10, 0x3c0881c4
	v_fmaak_f32 v12, s1, v10, 0xbab64f3b
	v_xor_b32_e32 v5, v5, v2
	v_cmp_eq_u32_e64 s0, 0, v13
	v_and_b32_e32 v8, 0x80000000, v8
	v_fmaak_f32 v11, v10, v11, 0xbe2aaa9d
	v_fmaak_f32 v12, v10, v12, 0x3d2aabf7
	v_mul_f32_e32 v11, v10, v11
	v_fmaak_f32 v12, v10, v12, 0xbf000004
	v_fmac_f32_e32 v6, v6, v11
	v_fma_f32 v10, v10, v12, 1.0
	v_cndmask_b32_e64 v6, v10, v6, s0
	v_cmp_class_f32_e64 s0, v2, 0x1f8
	v_xor3_b32 v5, v5, v8, v6
	v_cndmask_b32_e64 v6, 0x7fc00000, v5, s0
	s_or_b32 exec_lo, exec_lo, s3
	s_and_saveexec_b32 s0, vcc_lo
	s_xor_b32 s0, exec_lo, s0
	s_cbranch_execz .LBB8_47
.LBB8_57:
	v_mov_b32_e32 v2, 0
	v_lshlrev_b64 v[0:1], 2, v[1:2]
	v_add_co_u32 v10, vcc_lo, s8, v0
	v_add_co_ci_u32_e64 v11, null, s9, v1, vcc_lo
	v_mov_b32_e32 v0, v3
	global_store_dword v[10:11], v4, off
	s_or_b32 exec_lo, exec_lo, s0
	s_mov_b32 s0, exec_lo
	v_cmpx_gt_i32_e64 s6, v0
	s_cbranch_execz .LBB8_48
.LBB8_58:
	v_add_nc_u32_e32 v1, s4, v0
	v_mov_b32_e32 v2, 0
	v_add_nc_u32_e32 v0, 0x100, v0
	v_lshlrev_b64 v[1:2], 2, v[1:2]
	v_add_co_u32 v1, vcc_lo, s8, v1
	v_add_co_ci_u32_e64 v2, null, s9, v2, vcc_lo
	global_store_dword v[1:2], v9, off
	s_or_b32 exec_lo, exec_lo, s0
	s_mov_b32 s0, exec_lo
	v_cmpx_gt_i32_e64 s6, v0
	s_cbranch_execz .LBB8_49
.LBB8_59:
	v_add_nc_u32_e32 v1, s4, v0
	v_mov_b32_e32 v2, 0
	v_add_nc_u32_e32 v0, 0x100, v0
	v_lshlrev_b64 v[1:2], 2, v[1:2]
	v_add_co_u32 v1, vcc_lo, s8, v1
	v_add_co_ci_u32_e64 v2, null, s9, v2, vcc_lo
	global_store_dword v[1:2], v7, off
	s_or_b32 exec_lo, exec_lo, s0
	s_mov_b32 s0, exec_lo
	v_cmpx_gt_i32_e64 s6, v0
	s_cbranch_execnz .LBB8_50
	s_branch .LBB8_51
	.section	.rodata,"a",@progbits
	.p2align	6, 0x0
	.amdhsa_kernel _ZN2at6native29vectorized_elementwise_kernelILi16EZZZNS0_15sin_kernel_cudaERNS_18TensorIteratorBaseEENKUlvE0_clEvENKUlvE0_clEvEUlfE_St5arrayIPcLm2EEEEviT0_T1_
		.amdhsa_group_segment_fixed_size 0
		.amdhsa_private_segment_fixed_size 0
		.amdhsa_kernarg_size 24
		.amdhsa_user_sgpr_count 6
		.amdhsa_user_sgpr_private_segment_buffer 1
		.amdhsa_user_sgpr_dispatch_ptr 0
		.amdhsa_user_sgpr_queue_ptr 0
		.amdhsa_user_sgpr_kernarg_segment_ptr 1
		.amdhsa_user_sgpr_dispatch_id 0
		.amdhsa_user_sgpr_flat_scratch_init 0
		.amdhsa_user_sgpr_private_segment_size 0
		.amdhsa_wavefront_size32 1
		.amdhsa_uses_dynamic_stack 0
		.amdhsa_system_sgpr_private_segment_wavefront_offset 0
		.amdhsa_system_sgpr_workgroup_id_x 1
		.amdhsa_system_sgpr_workgroup_id_y 0
		.amdhsa_system_sgpr_workgroup_id_z 0
		.amdhsa_system_sgpr_workgroup_info 0
		.amdhsa_system_vgpr_workitem_id 0
		.amdhsa_next_free_vgpr 28
		.amdhsa_next_free_sgpr 12
		.amdhsa_reserve_vcc 1
		.amdhsa_reserve_flat_scratch 0
		.amdhsa_float_round_mode_32 0
		.amdhsa_float_round_mode_16_64 0
		.amdhsa_float_denorm_mode_32 3
		.amdhsa_float_denorm_mode_16_64 3
		.amdhsa_dx10_clamp 1
		.amdhsa_ieee_mode 1
		.amdhsa_fp16_overflow 0
		.amdhsa_workgroup_processor_mode 1
		.amdhsa_memory_ordered 1
		.amdhsa_forward_progress 1
		.amdhsa_shared_vgpr_count 0
		.amdhsa_exception_fp_ieee_invalid_op 0
		.amdhsa_exception_fp_denorm_src 0
		.amdhsa_exception_fp_ieee_div_zero 0
		.amdhsa_exception_fp_ieee_overflow 0
		.amdhsa_exception_fp_ieee_underflow 0
		.amdhsa_exception_fp_ieee_inexact 0
		.amdhsa_exception_int_div_zero 0
	.end_amdhsa_kernel
	.section	.text._ZN2at6native29vectorized_elementwise_kernelILi16EZZZNS0_15sin_kernel_cudaERNS_18TensorIteratorBaseEENKUlvE0_clEvENKUlvE0_clEvEUlfE_St5arrayIPcLm2EEEEviT0_T1_,"axG",@progbits,_ZN2at6native29vectorized_elementwise_kernelILi16EZZZNS0_15sin_kernel_cudaERNS_18TensorIteratorBaseEENKUlvE0_clEvENKUlvE0_clEvEUlfE_St5arrayIPcLm2EEEEviT0_T1_,comdat
.Lfunc_end8:
	.size	_ZN2at6native29vectorized_elementwise_kernelILi16EZZZNS0_15sin_kernel_cudaERNS_18TensorIteratorBaseEENKUlvE0_clEvENKUlvE0_clEvEUlfE_St5arrayIPcLm2EEEEviT0_T1_, .Lfunc_end8-_ZN2at6native29vectorized_elementwise_kernelILi16EZZZNS0_15sin_kernel_cudaERNS_18TensorIteratorBaseEENKUlvE0_clEvENKUlvE0_clEvEUlfE_St5arrayIPcLm2EEEEviT0_T1_
                                        ; -- End function
	.set _ZN2at6native29vectorized_elementwise_kernelILi16EZZZNS0_15sin_kernel_cudaERNS_18TensorIteratorBaseEENKUlvE0_clEvENKUlvE0_clEvEUlfE_St5arrayIPcLm2EEEEviT0_T1_.num_vgpr, 28
	.set _ZN2at6native29vectorized_elementwise_kernelILi16EZZZNS0_15sin_kernel_cudaERNS_18TensorIteratorBaseEENKUlvE0_clEvENKUlvE0_clEvEUlfE_St5arrayIPcLm2EEEEviT0_T1_.num_agpr, 0
	.set _ZN2at6native29vectorized_elementwise_kernelILi16EZZZNS0_15sin_kernel_cudaERNS_18TensorIteratorBaseEENKUlvE0_clEvENKUlvE0_clEvEUlfE_St5arrayIPcLm2EEEEviT0_T1_.numbered_sgpr, 12
	.set _ZN2at6native29vectorized_elementwise_kernelILi16EZZZNS0_15sin_kernel_cudaERNS_18TensorIteratorBaseEENKUlvE0_clEvENKUlvE0_clEvEUlfE_St5arrayIPcLm2EEEEviT0_T1_.num_named_barrier, 0
	.set _ZN2at6native29vectorized_elementwise_kernelILi16EZZZNS0_15sin_kernel_cudaERNS_18TensorIteratorBaseEENKUlvE0_clEvENKUlvE0_clEvEUlfE_St5arrayIPcLm2EEEEviT0_T1_.private_seg_size, 0
	.set _ZN2at6native29vectorized_elementwise_kernelILi16EZZZNS0_15sin_kernel_cudaERNS_18TensorIteratorBaseEENKUlvE0_clEvENKUlvE0_clEvEUlfE_St5arrayIPcLm2EEEEviT0_T1_.uses_vcc, 1
	.set _ZN2at6native29vectorized_elementwise_kernelILi16EZZZNS0_15sin_kernel_cudaERNS_18TensorIteratorBaseEENKUlvE0_clEvENKUlvE0_clEvEUlfE_St5arrayIPcLm2EEEEviT0_T1_.uses_flat_scratch, 0
	.set _ZN2at6native29vectorized_elementwise_kernelILi16EZZZNS0_15sin_kernel_cudaERNS_18TensorIteratorBaseEENKUlvE0_clEvENKUlvE0_clEvEUlfE_St5arrayIPcLm2EEEEviT0_T1_.has_dyn_sized_stack, 0
	.set _ZN2at6native29vectorized_elementwise_kernelILi16EZZZNS0_15sin_kernel_cudaERNS_18TensorIteratorBaseEENKUlvE0_clEvENKUlvE0_clEvEUlfE_St5arrayIPcLm2EEEEviT0_T1_.has_recursion, 0
	.set _ZN2at6native29vectorized_elementwise_kernelILi16EZZZNS0_15sin_kernel_cudaERNS_18TensorIteratorBaseEENKUlvE0_clEvENKUlvE0_clEvEUlfE_St5arrayIPcLm2EEEEviT0_T1_.has_indirect_call, 0
	.section	.AMDGPU.csdata,"",@progbits
; Kernel info:
; codeLenInByte = 7244
; TotalNumSgprs: 14
; NumVgprs: 28
; ScratchSize: 0
; MemoryBound: 0
; FloatMode: 240
; IeeeMode: 1
; LDSByteSize: 0 bytes/workgroup (compile time only)
; SGPRBlocks: 0
; VGPRBlocks: 3
; NumSGPRsForWavesPerEU: 14
; NumVGPRsForWavesPerEU: 28
; Occupancy: 16
; WaveLimiterHint : 0
; COMPUTE_PGM_RSRC2:SCRATCH_EN: 0
; COMPUTE_PGM_RSRC2:USER_SGPR: 6
; COMPUTE_PGM_RSRC2:TRAP_HANDLER: 0
; COMPUTE_PGM_RSRC2:TGID_X_EN: 1
; COMPUTE_PGM_RSRC2:TGID_Y_EN: 0
; COMPUTE_PGM_RSRC2:TGID_Z_EN: 0
; COMPUTE_PGM_RSRC2:TIDIG_COMP_CNT: 0
	.section	.text._ZN2at6native29vectorized_elementwise_kernelILi8EZZZNS0_15sin_kernel_cudaERNS_18TensorIteratorBaseEENKUlvE0_clEvENKUlvE0_clEvEUlfE_St5arrayIPcLm2EEEEviT0_T1_,"axG",@progbits,_ZN2at6native29vectorized_elementwise_kernelILi8EZZZNS0_15sin_kernel_cudaERNS_18TensorIteratorBaseEENKUlvE0_clEvENKUlvE0_clEvEUlfE_St5arrayIPcLm2EEEEviT0_T1_,comdat
	.globl	_ZN2at6native29vectorized_elementwise_kernelILi8EZZZNS0_15sin_kernel_cudaERNS_18TensorIteratorBaseEENKUlvE0_clEvENKUlvE0_clEvEUlfE_St5arrayIPcLm2EEEEviT0_T1_ ; -- Begin function _ZN2at6native29vectorized_elementwise_kernelILi8EZZZNS0_15sin_kernel_cudaERNS_18TensorIteratorBaseEENKUlvE0_clEvENKUlvE0_clEvEUlfE_St5arrayIPcLm2EEEEviT0_T1_
	.p2align	8
	.type	_ZN2at6native29vectorized_elementwise_kernelILi8EZZZNS0_15sin_kernel_cudaERNS_18TensorIteratorBaseEENKUlvE0_clEvENKUlvE0_clEvEUlfE_St5arrayIPcLm2EEEEviT0_T1_,@function
_ZN2at6native29vectorized_elementwise_kernelILi8EZZZNS0_15sin_kernel_cudaERNS_18TensorIteratorBaseEENKUlvE0_clEvENKUlvE0_clEvEUlfE_St5arrayIPcLm2EEEEviT0_T1_: ; @_ZN2at6native29vectorized_elementwise_kernelILi8EZZZNS0_15sin_kernel_cudaERNS_18TensorIteratorBaseEENKUlvE0_clEvENKUlvE0_clEvEUlfE_St5arrayIPcLm2EEEEviT0_T1_
; %bb.0:
	s_clause 0x1
	s_load_dword s0, s[4:5], 0x0
	s_load_dwordx4 s[8:11], s[4:5], 0x8
	s_lshl_b32 s4, s6, 10
	s_waitcnt lgkmcnt(0)
	s_sub_i32 s6, s0, s4
	s_mov_b32 s0, -1
	s_cmpk_gt_i32 s6, 0x3ff
	s_cbranch_scc0 .LBB9_18
; %bb.1:
	s_ashr_i32 s5, s4, 31
	v_lshlrev_b32_e32 v7, 4, v0
	s_lshl_b64 s[2:3], s[4:5], 2
	v_mov_b32_e32 v6, 0
	s_add_u32 s0, s10, s2
	s_addc_u32 s1, s11, s3
                                        ; implicit-def: $vgpr9
                                        ; implicit-def: $vgpr5
	global_load_dwordx4 v[1:4], v7, s[0:1]
	s_mov_b32 s1, exec_lo
	s_waitcnt vmcnt(0)
	v_and_b32_e32 v8, 0x7fffffff, v1
	v_cmpx_ngt_f32_e64 0x48000000, |v1|
	s_xor_b32 s5, exec_lo, s1
	s_cbranch_execz .LBB9_3
; %bb.2:
	s_mov_b32 s0, 0x7fffff
	v_lshrrev_b32_e32 v14, 23, v8
	v_and_or_b32 v16, v8, s0, 0x800000
	v_add_nc_u32_e32 v15, 0xffffff88, v14
	v_mad_u64_u32 v[9:10], null, 0xfe5163ab, v16, 0
	v_cmp_lt_u32_e32 vcc_lo, 63, v15
	v_mov_b32_e32 v5, v10
	v_cndmask_b32_e64 v17, 0, 0xffffffc0, vcc_lo
	v_mad_u64_u32 v[10:11], null, 0x3c439041, v16, v[5:6]
	v_add_nc_u32_e32 v17, v17, v15
	v_cmp_lt_u32_e64 s0, 31, v17
	v_mov_b32_e32 v5, v11
	v_cndmask_b32_e64 v18, 0, 0xffffffe0, s0
	v_mad_u64_u32 v[11:12], null, 0xdb629599, v16, v[5:6]
	v_mov_b32_e32 v5, v12
	v_cndmask_b32_e32 v9, v11, v9, vcc_lo
	v_mad_u64_u32 v[12:13], null, 0xf534ddc0, v16, v[5:6]
	v_mov_b32_e32 v5, v13
	v_cndmask_b32_e32 v10, v12, v10, vcc_lo
	v_mad_u64_u32 v[13:14], null, 0xfc2757d1, v16, v[5:6]
	v_cndmask_b32_e64 v9, v10, v9, s0
	v_mov_b32_e32 v5, v14
	v_mad_u64_u32 v[14:15], null, 0x4e441529, v16, v[5:6]
	v_mov_b32_e32 v5, v15
	v_add_nc_u32_e32 v15, v18, v17
	v_cndmask_b32_e32 v17, v14, v12, vcc_lo
	v_mad_u64_u32 v[5:6], null, 0xa2f9836e, v16, v[5:6]
	v_cmp_lt_u32_e64 s1, 31, v15
	v_cndmask_b32_e64 v16, 0, 0xffffffe0, s1
	v_cndmask_b32_e32 v5, v5, v13, vcc_lo
	v_cndmask_b32_e32 v6, v6, v14, vcc_lo
	;; [unrolled: 1-line block ×3, first 2 shown]
	v_add_nc_u32_e32 v14, v16, v15
	v_cndmask_b32_e64 v12, v5, v17, s0
	v_cndmask_b32_e64 v5, v6, v5, s0
	;; [unrolled: 1-line block ×4, first 2 shown]
	v_sub_nc_u32_e32 v15, 32, v14
	v_cmp_eq_u32_e32 vcc_lo, 0, v14
	v_cndmask_b32_e64 v5, v5, v12, s1
	v_cndmask_b32_e64 v12, v12, v6, s1
	;; [unrolled: 1-line block ×4, first 2 shown]
	v_alignbit_b32 v16, v5, v12, v15
	v_alignbit_b32 v11, v12, v6, v15
	;; [unrolled: 1-line block ×3, first 2 shown]
	v_cndmask_b32_e32 v5, v16, v5, vcc_lo
	v_cndmask_b32_e32 v10, v11, v12, vcc_lo
	v_cndmask_b32_e32 v6, v14, v6, vcc_lo
	v_bfe_u32 v11, v5, 29, 1
	v_alignbit_b32 v12, v5, v10, 30
	v_alignbit_b32 v10, v10, v6, 30
	v_alignbit_b32 v6, v6, v9, 30
	v_sub_nc_u32_e32 v13, 0, v11
	v_xor_b32_e32 v12, v12, v13
	v_xor_b32_e32 v9, v10, v13
	;; [unrolled: 1-line block ×3, first 2 shown]
	v_lshrrev_b32_e32 v13, 29, v5
	v_ffbh_u32_e32 v14, v12
	v_min_u32_e32 v14, 32, v14
	v_sub_nc_u32_e32 v10, 31, v14
	v_lshlrev_b32_e32 v15, 23, v14
	v_alignbit_b32 v12, v12, v9, v10
	v_alignbit_b32 v6, v9, v6, v10
	v_lshlrev_b32_e32 v9, 31, v13
	v_alignbit_b32 v10, v12, v6, 9
	v_or_b32_e32 v13, 0.5, v9
	v_lshrrev_b32_e32 v12, 9, v12
	v_or_b32_e32 v9, 0x33000000, v9
	v_ffbh_u32_e32 v16, v10
	v_sub_nc_u32_e32 v13, v13, v15
	v_min_u32_e32 v15, 32, v16
	v_or_b32_e32 v12, v12, v13
	v_not_b32_e32 v13, v15
	v_mul_f32_e32 v16, 0x3fc90fda, v12
	v_add_lshl_u32 v14, v15, v14, 23
	v_alignbit_b32 v6, v10, v6, v13
	v_fma_f32 v10, 0x3fc90fda, v12, -v16
	v_sub_nc_u32_e32 v9, v9, v14
	v_lshrrev_b32_e32 v6, 9, v6
	v_fmamk_f32 v10, v12, 0x33a22168, v10
	v_or_b32_e32 v6, v9, v6
	v_fmac_f32_e32 v10, 0x3fc90fda, v6
	v_lshrrev_b32_e32 v6, 30, v5
	v_add_f32_e32 v5, v16, v10
	v_add_nc_u32_e32 v9, v11, v6
.LBB9_3:
	s_andn2_saveexec_b32 s0, s5
; %bb.4:
	v_mul_f32_e64 v5, 0x3f22f983, |v1|
	v_rndne_f32_e32 v6, v5
	v_fma_f32 v5, 0xbfc90fda, v6, |v1|
	v_cvt_i32_f32_e32 v9, v6
	v_fmamk_f32 v5, v6, 0xb3a22168, v5
	v_fmamk_f32 v5, v6, 0xa7c234c4, v5
; %bb.5:
	s_or_b32 exec_lo, exec_lo, s0
	v_and_b32_e32 v6, 0x7fffffff, v2
                                        ; implicit-def: $vgpr11
                                        ; implicit-def: $vgpr10
	s_mov_b32 s1, exec_lo
	v_cmpx_ngt_f32_e64 0x48000000, |v2|
	s_xor_b32 s5, exec_lo, s1
	s_cbranch_execz .LBB9_7
; %bb.6:
	s_mov_b32 s0, 0x7fffff
	v_mov_b32_e32 v12, 0
	v_and_or_b32 v19, v6, s0, 0x800000
	v_lshrrev_b32_e32 v17, 23, v6
	v_mad_u64_u32 v[10:11], null, 0xfe5163ab, v19, 0
	v_add_nc_u32_e32 v18, 0xffffff88, v17
	v_cmp_lt_u32_e32 vcc_lo, 63, v18
	v_mad_u64_u32 v[13:14], null, 0x3c439041, v19, v[11:12]
	v_cndmask_b32_e64 v20, 0, 0xffffffc0, vcc_lo
	v_mov_b32_e32 v11, v14
	v_add_nc_u32_e32 v20, v20, v18
	v_mad_u64_u32 v[14:15], null, 0xdb629599, v19, v[11:12]
	v_cmp_lt_u32_e64 s0, 31, v20
	v_cndmask_b32_e64 v21, 0, 0xffffffe0, s0
	v_mov_b32_e32 v11, v15
	v_cndmask_b32_e32 v10, v14, v10, vcc_lo
	v_mad_u64_u32 v[15:16], null, 0xf534ddc0, v19, v[11:12]
	v_mov_b32_e32 v11, v16
	v_cndmask_b32_e32 v13, v15, v13, vcc_lo
	v_mad_u64_u32 v[16:17], null, 0xfc2757d1, v19, v[11:12]
	v_cndmask_b32_e64 v10, v13, v10, s0
	v_mov_b32_e32 v11, v17
	v_mad_u64_u32 v[17:18], null, 0x4e441529, v19, v[11:12]
	v_mov_b32_e32 v11, v18
	v_add_nc_u32_e32 v18, v21, v20
	v_cndmask_b32_e32 v20, v17, v15, vcc_lo
	v_mad_u64_u32 v[11:12], null, 0xa2f9836e, v19, v[11:12]
	v_cmp_lt_u32_e64 s1, 31, v18
	v_cndmask_b32_e64 v19, 0, 0xffffffe0, s1
	v_cndmask_b32_e32 v11, v11, v16, vcc_lo
	v_cndmask_b32_e32 v12, v12, v17, vcc_lo
	;; [unrolled: 1-line block ×3, first 2 shown]
	v_add_nc_u32_e32 v17, v19, v18
	v_cndmask_b32_e64 v15, v11, v20, s0
	v_cndmask_b32_e64 v11, v12, v11, s0
	;; [unrolled: 1-line block ×4, first 2 shown]
	v_sub_nc_u32_e32 v18, 32, v17
	v_cmp_eq_u32_e32 vcc_lo, 0, v17
	v_cndmask_b32_e64 v11, v11, v15, s1
	v_cndmask_b32_e64 v15, v15, v12, s1
	;; [unrolled: 1-line block ×4, first 2 shown]
	v_alignbit_b32 v19, v11, v15, v18
	v_alignbit_b32 v14, v15, v12, v18
	;; [unrolled: 1-line block ×3, first 2 shown]
	v_cndmask_b32_e32 v11, v19, v11, vcc_lo
	v_cndmask_b32_e32 v13, v14, v15, vcc_lo
	;; [unrolled: 1-line block ×3, first 2 shown]
	v_bfe_u32 v14, v11, 29, 1
	v_alignbit_b32 v15, v11, v13, 30
	v_alignbit_b32 v13, v13, v12, 30
	;; [unrolled: 1-line block ×3, first 2 shown]
	v_sub_nc_u32_e32 v16, 0, v14
	v_xor_b32_e32 v15, v15, v16
	v_xor_b32_e32 v12, v13, v16
	;; [unrolled: 1-line block ×3, first 2 shown]
	v_lshrrev_b32_e32 v16, 29, v11
	v_lshrrev_b32_e32 v11, 30, v11
	v_ffbh_u32_e32 v17, v15
	v_add_nc_u32_e32 v11, v14, v11
	v_min_u32_e32 v17, 32, v17
	v_sub_nc_u32_e32 v13, 31, v17
	v_lshlrev_b32_e32 v18, 23, v17
	v_alignbit_b32 v15, v15, v12, v13
	v_alignbit_b32 v10, v12, v10, v13
	v_lshlrev_b32_e32 v12, 31, v16
	v_alignbit_b32 v13, v15, v10, 9
	v_or_b32_e32 v16, 0.5, v12
	v_lshrrev_b32_e32 v15, 9, v15
	v_or_b32_e32 v12, 0x33000000, v12
	v_ffbh_u32_e32 v19, v13
	v_sub_nc_u32_e32 v16, v16, v18
	v_min_u32_e32 v18, 32, v19
	v_or_b32_e32 v15, v15, v16
	v_not_b32_e32 v16, v18
	v_mul_f32_e32 v19, 0x3fc90fda, v15
	v_add_lshl_u32 v17, v18, v17, 23
	v_alignbit_b32 v10, v13, v10, v16
	v_fma_f32 v13, 0x3fc90fda, v15, -v19
	v_sub_nc_u32_e32 v12, v12, v17
	v_lshrrev_b32_e32 v10, 9, v10
	v_fmamk_f32 v13, v15, 0x33a22168, v13
	v_or_b32_e32 v10, v12, v10
	v_fmac_f32_e32 v13, 0x3fc90fda, v10
	v_add_f32_e32 v10, v19, v13
.LBB9_7:
	s_andn2_saveexec_b32 s0, s5
; %bb.8:
	v_mul_f32_e64 v10, 0x3f22f983, |v2|
	v_rndne_f32_e32 v11, v10
	v_fma_f32 v10, 0xbfc90fda, v11, |v2|
	v_fmamk_f32 v10, v11, 0xb3a22168, v10
	v_fmamk_f32 v10, v11, 0xa7c234c4, v10
	v_cvt_i32_f32_e32 v11, v11
; %bb.9:
	s_or_b32 exec_lo, exec_lo, s0
	v_and_b32_e32 v12, 0x7fffffff, v3
                                        ; implicit-def: $vgpr15
                                        ; implicit-def: $vgpr14
	s_mov_b32 s1, exec_lo
	v_cmpx_ngt_f32_e64 0x48000000, |v3|
	s_xor_b32 s5, exec_lo, s1
	s_cbranch_execz .LBB9_11
; %bb.10:
	s_mov_b32 s0, 0x7fffff
	v_mov_b32_e32 v15, 0
	v_and_or_b32 v22, v12, s0, 0x800000
	v_lshrrev_b32_e32 v20, 23, v12
	v_mad_u64_u32 v[13:14], null, 0xfe5163ab, v22, 0
	v_add_nc_u32_e32 v21, 0xffffff88, v20
	v_cmp_lt_u32_e32 vcc_lo, 63, v21
	v_mad_u64_u32 v[16:17], null, 0x3c439041, v22, v[14:15]
	v_cndmask_b32_e64 v23, 0, 0xffffffc0, vcc_lo
	v_mov_b32_e32 v14, v17
	v_add_nc_u32_e32 v23, v23, v21
	v_mad_u64_u32 v[17:18], null, 0xdb629599, v22, v[14:15]
	v_cmp_lt_u32_e64 s0, 31, v23
	v_cndmask_b32_e64 v24, 0, 0xffffffe0, s0
	v_mov_b32_e32 v14, v18
	v_cndmask_b32_e32 v13, v17, v13, vcc_lo
	v_mad_u64_u32 v[18:19], null, 0xf534ddc0, v22, v[14:15]
	v_mov_b32_e32 v14, v19
	v_cndmask_b32_e32 v16, v18, v16, vcc_lo
	v_mad_u64_u32 v[19:20], null, 0xfc2757d1, v22, v[14:15]
	v_cndmask_b32_e64 v13, v16, v13, s0
	v_mov_b32_e32 v14, v20
	v_mad_u64_u32 v[20:21], null, 0x4e441529, v22, v[14:15]
	v_mov_b32_e32 v14, v21
	v_add_nc_u32_e32 v21, v24, v23
	v_cndmask_b32_e32 v23, v20, v18, vcc_lo
	v_mad_u64_u32 v[14:15], null, 0xa2f9836e, v22, v[14:15]
	v_cmp_lt_u32_e64 s1, 31, v21
	v_cndmask_b32_e64 v22, 0, 0xffffffe0, s1
	v_cndmask_b32_e32 v14, v14, v19, vcc_lo
	v_cndmask_b32_e32 v15, v15, v20, vcc_lo
	;; [unrolled: 1-line block ×3, first 2 shown]
	v_add_nc_u32_e32 v20, v22, v21
	v_cndmask_b32_e64 v18, v14, v23, s0
	v_cndmask_b32_e64 v14, v15, v14, s0
	;; [unrolled: 1-line block ×4, first 2 shown]
	v_sub_nc_u32_e32 v21, 32, v20
	v_cmp_eq_u32_e32 vcc_lo, 0, v20
	v_cndmask_b32_e64 v14, v14, v18, s1
	v_cndmask_b32_e64 v18, v18, v15, s1
	;; [unrolled: 1-line block ×4, first 2 shown]
	v_alignbit_b32 v22, v14, v18, v21
	v_alignbit_b32 v17, v18, v15, v21
	;; [unrolled: 1-line block ×3, first 2 shown]
	v_cndmask_b32_e32 v14, v22, v14, vcc_lo
	v_cndmask_b32_e32 v16, v17, v18, vcc_lo
	;; [unrolled: 1-line block ×3, first 2 shown]
	v_bfe_u32 v17, v14, 29, 1
	v_alignbit_b32 v18, v14, v16, 30
	v_alignbit_b32 v16, v16, v15, 30
	;; [unrolled: 1-line block ×3, first 2 shown]
	v_sub_nc_u32_e32 v19, 0, v17
	v_xor_b32_e32 v18, v18, v19
	v_xor_b32_e32 v15, v16, v19
	;; [unrolled: 1-line block ×3, first 2 shown]
	v_lshrrev_b32_e32 v19, 29, v14
	v_ffbh_u32_e32 v20, v18
	v_min_u32_e32 v20, 32, v20
	v_sub_nc_u32_e32 v16, 31, v20
	v_lshlrev_b32_e32 v21, 23, v20
	v_alignbit_b32 v18, v18, v15, v16
	v_alignbit_b32 v13, v15, v13, v16
	v_lshlrev_b32_e32 v15, 31, v19
	v_alignbit_b32 v16, v18, v13, 9
	v_or_b32_e32 v19, 0.5, v15
	v_lshrrev_b32_e32 v18, 9, v18
	v_or_b32_e32 v15, 0x33000000, v15
	v_ffbh_u32_e32 v22, v16
	v_sub_nc_u32_e32 v19, v19, v21
	v_min_u32_e32 v21, 32, v22
	v_or_b32_e32 v18, v18, v19
	v_not_b32_e32 v19, v21
	v_mul_f32_e32 v22, 0x3fc90fda, v18
	v_add_lshl_u32 v20, v21, v20, 23
	v_alignbit_b32 v13, v16, v13, v19
	v_fma_f32 v16, 0x3fc90fda, v18, -v22
	v_sub_nc_u32_e32 v15, v15, v20
	v_lshrrev_b32_e32 v13, 9, v13
	v_fmamk_f32 v16, v18, 0x33a22168, v16
	v_or_b32_e32 v13, v15, v13
	v_fmac_f32_e32 v16, 0x3fc90fda, v13
	v_lshrrev_b32_e32 v13, 30, v14
	v_add_f32_e32 v14, v22, v16
	v_add_nc_u32_e32 v15, v17, v13
.LBB9_11:
	s_andn2_saveexec_b32 s0, s5
; %bb.12:
	v_mul_f32_e64 v13, 0x3f22f983, |v3|
	v_rndne_f32_e32 v13, v13
	v_fma_f32 v14, 0xbfc90fda, v13, |v3|
	v_cvt_i32_f32_e32 v15, v13
	v_fmamk_f32 v14, v13, 0xb3a22168, v14
	v_fmamk_f32 v14, v13, 0xa7c234c4, v14
; %bb.13:
	s_or_b32 exec_lo, exec_lo, s0
	v_and_b32_e32 v13, 0x7fffffff, v4
                                        ; implicit-def: $vgpr17
                                        ; implicit-def: $vgpr16
	s_mov_b32 s1, exec_lo
	v_cmpx_ngt_f32_e64 0x48000000, |v4|
	s_xor_b32 s5, exec_lo, s1
	s_cbranch_execz .LBB9_15
; %bb.14:
	s_mov_b32 s0, 0x7fffff
	v_mov_b32_e32 v18, 0
	v_and_or_b32 v25, v13, s0, 0x800000
	v_lshrrev_b32_e32 v23, 23, v13
	v_mad_u64_u32 v[16:17], null, 0xfe5163ab, v25, 0
	v_add_nc_u32_e32 v24, 0xffffff88, v23
	v_cmp_lt_u32_e32 vcc_lo, 63, v24
	v_mad_u64_u32 v[19:20], null, 0x3c439041, v25, v[17:18]
	v_cndmask_b32_e64 v26, 0, 0xffffffc0, vcc_lo
	v_mov_b32_e32 v17, v20
	v_add_nc_u32_e32 v26, v26, v24
	v_mad_u64_u32 v[20:21], null, 0xdb629599, v25, v[17:18]
	v_cmp_lt_u32_e64 s0, 31, v26
	v_cndmask_b32_e64 v27, 0, 0xffffffe0, s0
	v_mov_b32_e32 v17, v21
	v_cndmask_b32_e32 v16, v20, v16, vcc_lo
	v_mad_u64_u32 v[21:22], null, 0xf534ddc0, v25, v[17:18]
	v_mov_b32_e32 v17, v22
	v_cndmask_b32_e32 v19, v21, v19, vcc_lo
	v_mad_u64_u32 v[22:23], null, 0xfc2757d1, v25, v[17:18]
	v_cndmask_b32_e64 v16, v19, v16, s0
	v_mov_b32_e32 v17, v23
	v_mad_u64_u32 v[23:24], null, 0x4e441529, v25, v[17:18]
	v_mov_b32_e32 v17, v24
	v_add_nc_u32_e32 v24, v27, v26
	v_cndmask_b32_e32 v26, v23, v21, vcc_lo
	v_mad_u64_u32 v[17:18], null, 0xa2f9836e, v25, v[17:18]
	v_cmp_lt_u32_e64 s1, 31, v24
	v_cndmask_b32_e64 v25, 0, 0xffffffe0, s1
	v_cndmask_b32_e32 v17, v17, v22, vcc_lo
	v_cndmask_b32_e32 v18, v18, v23, vcc_lo
	v_cndmask_b32_e32 v22, v22, v20, vcc_lo
	v_add_nc_u32_e32 v23, v25, v24
	v_cndmask_b32_e64 v21, v17, v26, s0
	v_cndmask_b32_e64 v17, v18, v17, s0
	;; [unrolled: 1-line block ×4, first 2 shown]
	v_sub_nc_u32_e32 v24, 32, v23
	v_cmp_eq_u32_e32 vcc_lo, 0, v23
	v_cndmask_b32_e64 v17, v17, v21, s1
	v_cndmask_b32_e64 v21, v21, v18, s1
	;; [unrolled: 1-line block ×4, first 2 shown]
	v_alignbit_b32 v25, v17, v21, v24
	v_alignbit_b32 v20, v21, v18, v24
	;; [unrolled: 1-line block ×3, first 2 shown]
	v_cndmask_b32_e32 v17, v25, v17, vcc_lo
	v_cndmask_b32_e32 v19, v20, v21, vcc_lo
	;; [unrolled: 1-line block ×3, first 2 shown]
	v_bfe_u32 v20, v17, 29, 1
	v_alignbit_b32 v21, v17, v19, 30
	v_alignbit_b32 v19, v19, v18, 30
	;; [unrolled: 1-line block ×3, first 2 shown]
	v_sub_nc_u32_e32 v22, 0, v20
	v_xor_b32_e32 v21, v21, v22
	v_xor_b32_e32 v18, v19, v22
	;; [unrolled: 1-line block ×3, first 2 shown]
	v_lshrrev_b32_e32 v22, 29, v17
	v_lshrrev_b32_e32 v17, 30, v17
	v_ffbh_u32_e32 v23, v21
	v_add_nc_u32_e32 v17, v20, v17
	v_min_u32_e32 v23, 32, v23
	v_sub_nc_u32_e32 v19, 31, v23
	v_lshlrev_b32_e32 v24, 23, v23
	v_alignbit_b32 v21, v21, v18, v19
	v_alignbit_b32 v16, v18, v16, v19
	v_lshlrev_b32_e32 v18, 31, v22
	v_alignbit_b32 v19, v21, v16, 9
	v_or_b32_e32 v22, 0.5, v18
	v_lshrrev_b32_e32 v21, 9, v21
	v_or_b32_e32 v18, 0x33000000, v18
	v_ffbh_u32_e32 v25, v19
	v_sub_nc_u32_e32 v22, v22, v24
	v_min_u32_e32 v24, 32, v25
	v_or_b32_e32 v21, v21, v22
	v_not_b32_e32 v22, v24
	v_mul_f32_e32 v25, 0x3fc90fda, v21
	v_add_lshl_u32 v23, v24, v23, 23
	v_alignbit_b32 v16, v19, v16, v22
	v_fma_f32 v19, 0x3fc90fda, v21, -v25
	v_sub_nc_u32_e32 v18, v18, v23
	v_lshrrev_b32_e32 v16, 9, v16
	v_fmamk_f32 v19, v21, 0x33a22168, v19
	v_or_b32_e32 v16, v18, v16
	v_fmac_f32_e32 v19, 0x3fc90fda, v16
	v_add_f32_e32 v16, v25, v19
.LBB9_15:
	s_andn2_saveexec_b32 s0, s5
; %bb.16:
	v_mul_f32_e64 v16, 0x3f22f983, |v4|
	v_rndne_f32_e32 v17, v16
	v_fma_f32 v16, 0xbfc90fda, v17, |v4|
	v_fmamk_f32 v16, v17, 0xb3a22168, v16
	v_fmamk_f32 v16, v17, 0xa7c234c4, v16
	v_cvt_i32_f32_e32 v17, v17
; %bb.17:
	s_or_b32 exec_lo, exec_lo, s0
	v_mul_f32_e32 v18, v14, v14
	s_mov_b32 s0, 0xb94c1982
	s_mov_b32 s1, 0x37d75334
	v_mul_f32_e32 v22, v10, v10
	v_lshlrev_b32_e32 v21, 30, v15
	v_fmaak_f32 v19, s0, v18, 0x3c0881c4
	v_fmaak_f32 v20, s1, v18, 0xbab64f3b
	v_and_b32_e32 v15, 1, v15
	v_fmaak_f32 v23, s0, v22, 0x3c0881c4
	v_fmaak_f32 v24, s1, v22, 0xbab64f3b
	;; [unrolled: 1-line block ×4, first 2 shown]
	v_cmp_eq_u32_e32 vcc_lo, 0, v15
	v_fmaak_f32 v23, v22, v23, 0xbe2aaa9d
	v_fmaak_f32 v24, v22, v24, 0x3d2aabf7
	v_mul_f32_e32 v19, v18, v19
	v_fmaak_f32 v20, v18, v20, 0xbf000004
	v_xor_b32_e32 v12, v12, v3
	v_lshlrev_b32_e32 v25, 30, v11
	v_and_b32_e32 v11, 1, v11
	v_fmac_f32_e32 v14, v14, v19
	v_fma_f32 v18, v18, v20, 1.0
	v_and_b32_e32 v19, 0x80000000, v21
	v_mul_f32_e32 v20, v22, v23
	v_fmaak_f32 v21, v22, v24, 0xbf000004
	v_xor_b32_e32 v6, v6, v2
	v_cndmask_b32_e32 v14, v18, v14, vcc_lo
	v_cmp_eq_u32_e32 vcc_lo, 0, v11
	v_fmac_f32_e32 v10, v10, v20
	v_fma_f32 v18, v22, v21, 1.0
	v_lshlrev_b32_e32 v21, 30, v9
	v_xor3_b32 v12, v12, v19, v14
	v_mul_f32_e32 v14, v5, v5
	v_mul_f32_e32 v19, v16, v16
	v_cndmask_b32_e32 v10, v18, v10, vcc_lo
	v_and_b32_e32 v9, 1, v9
	v_and_b32_e32 v15, 0x80000000, v25
	v_fmaak_f32 v11, s0, v14, 0x3c0881c4
	v_fmaak_f32 v18, s1, v14, 0xbab64f3b
	;; [unrolled: 1-line block ×4, first 2 shown]
	v_cmp_eq_u32_e32 vcc_lo, 0, v9
	v_fmaak_f32 v11, v14, v11, 0xbe2aaa9d
	v_fmaak_f32 v18, v14, v18, 0x3d2aabf7
	;; [unrolled: 1-line block ×4, first 2 shown]
	v_xor_b32_e32 v8, v8, v1
	v_mul_f32_e32 v11, v14, v11
	v_fmaak_f32 v18, v14, v18, 0xbf000004
	v_mul_f32_e32 v20, v19, v20
	v_fmaak_f32 v22, v19, v22, 0xbf000004
	v_and_b32_e32 v21, 0x80000000, v21
	v_fmac_f32_e32 v5, v5, v11
	v_fma_f32 v11, v14, v18, 1.0
	v_and_b32_e32 v14, 1, v17
	v_fmac_f32_e32 v16, v16, v20
	v_fma_f32 v18, v19, v22, 1.0
	v_lshlrev_b32_e32 v17, 30, v17
	v_cndmask_b32_e32 v5, v11, v5, vcc_lo
	v_cmp_eq_u32_e32 vcc_lo, 0, v14
	v_xor3_b32 v6, v6, v15, v10
	v_xor_b32_e32 v13, v13, v4
	v_and_b32_e32 v11, 0x80000000, v17
	v_xor3_b32 v5, v8, v21, v5
	v_cndmask_b32_e32 v9, v18, v16, vcc_lo
	v_cmp_class_f32_e64 vcc_lo, v3, 0x1f8
	s_add_u32 s2, s8, s2
	s_addc_u32 s3, s9, s3
	s_mov_b32 s0, 0
	v_xor3_b32 v8, v13, v11, v9
	v_cndmask_b32_e32 v3, 0x7fc00000, v12, vcc_lo
	v_cmp_class_f32_e64 vcc_lo, v2, 0x1f8
	v_cndmask_b32_e32 v2, 0x7fc00000, v6, vcc_lo
	v_cmp_class_f32_e64 vcc_lo, v1, 0x1f8
	;; [unrolled: 2-line block ×3, first 2 shown]
	v_cndmask_b32_e32 v4, 0x7fc00000, v8, vcc_lo
	global_store_dwordx4 v7, v[1:4], s[2:3]
.LBB9_18:
	s_and_b32 vcc_lo, exec_lo, s0
	s_cbranch_vccz .LBB9_51
; %bb.19:
	v_cmp_gt_i32_e32 vcc_lo, s6, v0
	v_mov_b32_e32 v8, 0
	v_or_b32_e32 v1, s4, v0
	v_or_b32_e32 v3, 0x100, v0
	v_mov_b32_e32 v10, 0
	v_mov_b32_e32 v4, v0
	s_and_saveexec_b32 s1, vcc_lo
	s_cbranch_execz .LBB9_21
; %bb.20:
	v_mov_b32_e32 v2, 0
	v_lshlrev_b64 v[4:5], 2, v[1:2]
	v_add_co_u32 v4, s0, s10, v4
	v_add_co_ci_u32_e64 v5, null, s11, v5, s0
	global_load_dword v10, v[4:5], off
	v_or_b32_e32 v4, 0x100, v0
.LBB9_21:
	s_or_b32 exec_lo, exec_lo, s1
	s_mov_b32 s1, exec_lo
	v_cmpx_gt_i32_e64 s6, v4
	s_cbranch_execz .LBB9_23
; %bb.22:
	v_add_nc_u32_e32 v5, s4, v4
	v_mov_b32_e32 v6, 0
	v_add_nc_u32_e32 v4, 0x100, v4
	v_lshlrev_b64 v[5:6], 2, v[5:6]
	v_add_co_u32 v5, s0, s10, v5
	v_add_co_ci_u32_e64 v6, null, s11, v6, s0
	global_load_dword v8, v[5:6], off
.LBB9_23:
	s_or_b32 exec_lo, exec_lo, s1
	v_mov_b32_e32 v2, 0
	v_mov_b32_e32 v5, 0
	s_mov_b32 s1, exec_lo
	v_cmpx_gt_i32_e64 s6, v4
	s_cbranch_execz .LBB9_25
; %bb.24:
	v_add_nc_u32_e32 v5, s4, v4
	v_mov_b32_e32 v6, 0
	v_add_nc_u32_e32 v4, 0x100, v4
	v_lshlrev_b64 v[5:6], 2, v[5:6]
	v_add_co_u32 v5, s0, s10, v5
	v_add_co_ci_u32_e64 v6, null, s11, v6, s0
	global_load_dword v5, v[5:6], off
.LBB9_25:
	s_or_b32 exec_lo, exec_lo, s1
	s_mov_b32 s1, exec_lo
	v_cmpx_gt_i32_e64 s6, v4
	s_cbranch_execz .LBB9_27
; %bb.26:
	v_add_nc_u32_e32 v6, s4, v4
	v_mov_b32_e32 v7, 0
	v_lshlrev_b64 v[6:7], 2, v[6:7]
	v_add_co_u32 v6, s0, s10, v6
	v_add_co_ci_u32_e64 v7, null, s11, v7, s0
	global_load_dword v2, v[6:7], off
.LBB9_27:
	s_or_b32 exec_lo, exec_lo, s1
	v_mov_b32_e32 v4, 0
	v_mov_b32_e32 v9, v4
	;; [unrolled: 1-line block ×4, first 2 shown]
	s_and_saveexec_b32 s3, vcc_lo
	s_cbranch_execz .LBB9_33
; %bb.28:
	s_waitcnt vmcnt(0)
	v_and_b32_e32 v4, 0x7fffffff, v10
                                        ; implicit-def: $vgpr7
                                        ; implicit-def: $vgpr6
	s_mov_b32 s1, exec_lo
	v_cmpx_ngt_f32_e64 0x48000000, |v10|
	s_xor_b32 s5, exec_lo, s1
	s_cbranch_execz .LBB9_30
; %bb.29:
	s_mov_b32 s0, 0x7fffff
	v_mov_b32_e32 v12, 0
	v_and_or_b32 v9, v4, s0, 0x800000
	v_mad_u64_u32 v[6:7], null, 0xfe5163ab, v9, 0
	v_mov_b32_e32 v11, v7
	v_lshrrev_b32_e32 v7, 23, v4
	v_mad_u64_u32 v[13:14], null, 0x3c439041, v9, v[11:12]
	v_add_nc_u32_e32 v7, 0xffffff88, v7
	v_cmp_lt_u32_e64 s0, 63, v7
	v_mov_b32_e32 v11, v14
	v_cndmask_b32_e64 v18, 0, 0xffffffc0, s0
	v_mad_u64_u32 v[14:15], null, 0xdb629599, v9, v[11:12]
	v_add_nc_u32_e32 v7, v18, v7
	v_mov_b32_e32 v11, v15
	v_cmp_lt_u32_e64 s1, 31, v7
	v_cndmask_b32_e64 v6, v14, v6, s0
	v_mad_u64_u32 v[15:16], null, 0xf534ddc0, v9, v[11:12]
	v_cndmask_b32_e64 v19, 0, 0xffffffe0, s1
	v_add_nc_u32_e32 v7, v19, v7
	v_mov_b32_e32 v11, v16
	v_cmp_lt_u32_e64 s2, 31, v7
	v_mad_u64_u32 v[16:17], null, 0xfc2757d1, v9, v[11:12]
	v_mov_b32_e32 v11, v17
	v_mad_u64_u32 v[17:18], null, 0x4e441529, v9, v[11:12]
	v_mov_b32_e32 v11, v18
	v_cndmask_b32_e64 v18, v17, v15, s0
	v_mad_u64_u32 v[11:12], null, 0xa2f9836e, v9, v[11:12]
	v_cndmask_b32_e64 v9, 0, 0xffffffe0, s2
	v_add_nc_u32_e32 v7, v9, v7
	v_cndmask_b32_e64 v11, v11, v16, s0
	v_cndmask_b32_e64 v12, v12, v17, s0
	;; [unrolled: 1-line block ×4, first 2 shown]
	v_sub_nc_u32_e32 v15, 32, v7
	v_cndmask_b32_e64 v13, v11, v18, s1
	v_cndmask_b32_e64 v11, v12, v11, s1
	v_cndmask_b32_e64 v12, v18, v16, s1
	v_cndmask_b32_e64 v16, v16, v9, s1
	v_cmp_eq_u32_e64 s0, 0, v7
	v_cndmask_b32_e64 v6, v9, v6, s1
	v_cndmask_b32_e64 v11, v11, v13, s2
	;; [unrolled: 1-line block ×5, first 2 shown]
	v_alignbit_b32 v17, v11, v13, v15
	v_alignbit_b32 v14, v13, v12, v15
	;; [unrolled: 1-line block ×3, first 2 shown]
	v_cndmask_b32_e64 v7, v17, v11, s0
	v_cndmask_b32_e64 v9, v14, v13, s0
	;; [unrolled: 1-line block ×3, first 2 shown]
	v_bfe_u32 v11, v7, 29, 1
	v_alignbit_b32 v13, v7, v9, 30
	v_alignbit_b32 v9, v9, v12, 30
	;; [unrolled: 1-line block ×3, first 2 shown]
	v_sub_nc_u32_e32 v14, 0, v11
	v_xor_b32_e32 v13, v13, v14
	v_xor_b32_e32 v9, v9, v14
	v_xor_b32_e32 v6, v6, v14
	v_lshrrev_b32_e32 v14, 29, v7
	v_lshrrev_b32_e32 v7, 30, v7
	v_ffbh_u32_e32 v15, v13
	v_add_nc_u32_e32 v7, v11, v7
	v_min_u32_e32 v15, 32, v15
	v_sub_nc_u32_e32 v12, 31, v15
	v_lshlrev_b32_e32 v16, 23, v15
	v_alignbit_b32 v13, v13, v9, v12
	v_alignbit_b32 v6, v9, v6, v12
	v_lshlrev_b32_e32 v9, 31, v14
	v_alignbit_b32 v12, v13, v6, 9
	v_or_b32_e32 v14, 0.5, v9
	v_lshrrev_b32_e32 v13, 9, v13
	v_or_b32_e32 v9, 0x33000000, v9
	v_ffbh_u32_e32 v17, v12
	v_sub_nc_u32_e32 v14, v14, v16
	v_min_u32_e32 v16, 32, v17
	v_or_b32_e32 v13, v13, v14
	v_not_b32_e32 v14, v16
	v_mul_f32_e32 v17, 0x3fc90fda, v13
	v_add_lshl_u32 v15, v16, v15, 23
	v_alignbit_b32 v6, v12, v6, v14
	v_fma_f32 v12, 0x3fc90fda, v13, -v17
	v_sub_nc_u32_e32 v9, v9, v15
	v_lshrrev_b32_e32 v6, 9, v6
	v_fmamk_f32 v12, v13, 0x33a22168, v12
	v_or_b32_e32 v6, v9, v6
	v_fmac_f32_e32 v12, 0x3fc90fda, v6
	v_add_f32_e32 v6, v17, v12
.LBB9_30:
	s_andn2_saveexec_b32 s0, s5
; %bb.31:
	v_mul_f32_e64 v6, 0x3f22f983, |v10|
	v_rndne_f32_e32 v7, v6
	v_fma_f32 v6, 0xbfc90fda, v7, |v10|
	v_fmamk_f32 v6, v7, 0xb3a22168, v6
	v_fmamk_f32 v6, v7, 0xa7c234c4, v6
	v_cvt_i32_f32_e32 v7, v7
; %bb.32:
	s_or_b32 exec_lo, exec_lo, s0
	v_mul_f32_e32 v9, v6, v6
	s_mov_b32 s0, 0xb94c1982
	s_mov_b32 s1, 0x37d75334
	v_and_b32_e32 v13, 1, v7
	v_lshlrev_b32_e32 v7, 30, v7
	v_fmaak_f32 v11, s0, v9, 0x3c0881c4
	v_fmaak_f32 v12, s1, v9, 0xbab64f3b
	v_xor_b32_e32 v4, v4, v10
	v_cmp_eq_u32_e64 s0, 0, v13
	v_and_b32_e32 v7, 0x80000000, v7
	v_fmaak_f32 v11, v9, v11, 0xbe2aaa9d
	v_fmaak_f32 v12, v9, v12, 0x3d2aabf7
	v_mul_f32_e32 v11, v9, v11
	v_fmaak_f32 v12, v9, v12, 0xbf000004
	v_fmac_f32_e32 v6, v6, v11
	v_fma_f32 v9, v9, v12, 1.0
	v_cndmask_b32_e64 v6, v9, v6, s0
	v_mov_b32_e32 v9, 0
	v_cmp_class_f32_e64 s0, v10, 0x1f8
	v_xor3_b32 v4, v4, v7, v6
	v_mov_b32_e32 v7, v9
	v_mov_b32_e32 v6, v9
	v_cndmask_b32_e64 v4, 0x7fc00000, v4, s0
.LBB9_33:
	s_or_b32 exec_lo, exec_lo, s3
	s_mov_b32 s3, exec_lo
	v_cmpx_gt_i32_e64 s6, v3
	s_cbranch_execz .LBB9_39
; %bb.34:
	s_waitcnt vmcnt(0)
	v_and_b32_e32 v9, 0x7fffffff, v8
                                        ; implicit-def: $vgpr11
                                        ; implicit-def: $vgpr10
	s_mov_b32 s1, exec_lo
	v_cmpx_ngt_f32_e64 0x48000000, |v8|
	s_xor_b32 s5, exec_lo, s1
	s_cbranch_execz .LBB9_36
; %bb.35:
	s_mov_b32 s0, 0x7fffff
	v_mov_b32_e32 v12, 0
	v_and_or_b32 v19, v9, s0, 0x800000
	v_lshrrev_b32_e32 v17, 23, v9
	v_mad_u64_u32 v[10:11], null, 0xfe5163ab, v19, 0
	v_add_nc_u32_e32 v18, 0xffffff88, v17
	v_cmp_lt_u32_e64 s0, 63, v18
	v_mad_u64_u32 v[13:14], null, 0x3c439041, v19, v[11:12]
	v_cndmask_b32_e64 v20, 0, 0xffffffc0, s0
	v_mov_b32_e32 v11, v14
	v_add_nc_u32_e32 v20, v20, v18
	v_mad_u64_u32 v[14:15], null, 0xdb629599, v19, v[11:12]
	v_cmp_lt_u32_e64 s1, 31, v20
	v_cndmask_b32_e64 v21, 0, 0xffffffe0, s1
	v_mov_b32_e32 v11, v15
	v_cndmask_b32_e64 v10, v14, v10, s0
	v_mad_u64_u32 v[15:16], null, 0xf534ddc0, v19, v[11:12]
	v_mov_b32_e32 v11, v16
	v_cndmask_b32_e64 v13, v15, v13, s0
	v_mad_u64_u32 v[16:17], null, 0xfc2757d1, v19, v[11:12]
	v_cndmask_b32_e64 v10, v13, v10, s1
	v_mov_b32_e32 v11, v17
	v_mad_u64_u32 v[17:18], null, 0x4e441529, v19, v[11:12]
	v_mov_b32_e32 v11, v18
	v_add_nc_u32_e32 v18, v21, v20
	v_cndmask_b32_e64 v20, v17, v15, s0
	v_mad_u64_u32 v[11:12], null, 0xa2f9836e, v19, v[11:12]
	v_cmp_lt_u32_e64 s2, 31, v18
	v_cndmask_b32_e64 v19, 0, 0xffffffe0, s2
	v_cndmask_b32_e64 v11, v11, v16, s0
	;; [unrolled: 1-line block ×4, first 2 shown]
	v_add_nc_u32_e32 v17, v19, v18
	v_cndmask_b32_e64 v15, v11, v20, s1
	v_cndmask_b32_e64 v11, v12, v11, s1
	;; [unrolled: 1-line block ×4, first 2 shown]
	v_sub_nc_u32_e32 v18, 32, v17
	v_cmp_eq_u32_e64 s0, 0, v17
	v_cndmask_b32_e64 v11, v11, v15, s2
	v_cndmask_b32_e64 v15, v15, v12, s2
	;; [unrolled: 1-line block ×4, first 2 shown]
	v_alignbit_b32 v19, v11, v15, v18
	v_alignbit_b32 v14, v15, v12, v18
	;; [unrolled: 1-line block ×3, first 2 shown]
	v_cndmask_b32_e64 v11, v19, v11, s0
	v_cndmask_b32_e64 v13, v14, v15, s0
	;; [unrolled: 1-line block ×3, first 2 shown]
	v_bfe_u32 v14, v11, 29, 1
	v_alignbit_b32 v15, v11, v13, 30
	v_alignbit_b32 v13, v13, v12, 30
	;; [unrolled: 1-line block ×3, first 2 shown]
	v_sub_nc_u32_e32 v16, 0, v14
	v_xor_b32_e32 v15, v15, v16
	v_xor_b32_e32 v12, v13, v16
	;; [unrolled: 1-line block ×3, first 2 shown]
	v_lshrrev_b32_e32 v16, 29, v11
	v_lshrrev_b32_e32 v11, 30, v11
	v_ffbh_u32_e32 v17, v15
	v_add_nc_u32_e32 v11, v14, v11
	v_min_u32_e32 v17, 32, v17
	v_sub_nc_u32_e32 v13, 31, v17
	v_lshlrev_b32_e32 v18, 23, v17
	v_alignbit_b32 v15, v15, v12, v13
	v_alignbit_b32 v10, v12, v10, v13
	v_lshlrev_b32_e32 v12, 31, v16
	v_alignbit_b32 v13, v15, v10, 9
	v_or_b32_e32 v16, 0.5, v12
	v_lshrrev_b32_e32 v15, 9, v15
	v_or_b32_e32 v12, 0x33000000, v12
	v_ffbh_u32_e32 v19, v13
	v_sub_nc_u32_e32 v16, v16, v18
	v_min_u32_e32 v18, 32, v19
	v_or_b32_e32 v15, v15, v16
	v_not_b32_e32 v16, v18
	v_mul_f32_e32 v19, 0x3fc90fda, v15
	v_add_lshl_u32 v17, v18, v17, 23
	v_alignbit_b32 v10, v13, v10, v16
	v_fma_f32 v13, 0x3fc90fda, v15, -v19
	v_sub_nc_u32_e32 v12, v12, v17
	v_lshrrev_b32_e32 v10, 9, v10
	v_fmamk_f32 v13, v15, 0x33a22168, v13
	v_or_b32_e32 v10, v12, v10
	v_fmac_f32_e32 v13, 0x3fc90fda, v10
	v_add_f32_e32 v10, v19, v13
.LBB9_36:
	s_andn2_saveexec_b32 s0, s5
; %bb.37:
	v_mul_f32_e64 v10, 0x3f22f983, |v8|
	v_rndne_f32_e32 v11, v10
	v_fma_f32 v10, 0xbfc90fda, v11, |v8|
	v_fmamk_f32 v10, v11, 0xb3a22168, v10
	v_fmamk_f32 v10, v11, 0xa7c234c4, v10
	v_cvt_i32_f32_e32 v11, v11
; %bb.38:
	s_or_b32 exec_lo, exec_lo, s0
	v_mul_f32_e32 v12, v10, v10
	s_mov_b32 s0, 0xb94c1982
	s_mov_b32 s1, 0x37d75334
	v_and_b32_e32 v15, 1, v11
	v_lshlrev_b32_e32 v11, 30, v11
	v_fmaak_f32 v13, s0, v12, 0x3c0881c4
	v_fmaak_f32 v14, s1, v12, 0xbab64f3b
	v_xor_b32_e32 v9, v9, v8
	v_cmp_eq_u32_e64 s0, 0, v15
	v_and_b32_e32 v11, 0x80000000, v11
	v_fmaak_f32 v13, v12, v13, 0xbe2aaa9d
	v_fmaak_f32 v14, v12, v14, 0x3d2aabf7
	v_mul_f32_e32 v13, v12, v13
	v_fmaak_f32 v14, v12, v14, 0xbf000004
	v_fmac_f32_e32 v10, v10, v13
	v_fma_f32 v12, v12, v14, 1.0
	v_cndmask_b32_e64 v10, v12, v10, s0
	v_cmp_class_f32_e64 s0, v8, 0x1f8
	v_xor3_b32 v9, v9, v11, v10
	v_cndmask_b32_e64 v9, 0x7fc00000, v9, s0
.LBB9_39:
	s_or_b32 exec_lo, exec_lo, s3
	s_waitcnt vmcnt(0)
	v_or_b32_e32 v8, 0x200, v0
	s_mov_b32 s3, exec_lo
	v_cmpx_gt_i32_e64 s6, v8
	s_cbranch_execz .LBB9_45
; %bb.40:
	v_and_b32_e32 v7, 0x7fffffff, v5
                                        ; implicit-def: $vgpr10
                                        ; implicit-def: $vgpr8
	s_mov_b32 s1, exec_lo
	v_cmpx_ngt_f32_e64 0x48000000, |v5|
	s_xor_b32 s5, exec_lo, s1
	s_cbranch_execz .LBB9_42
; %bb.41:
	s_mov_b32 s0, 0x7fffff
	v_mov_b32_e32 v12, 0
	v_and_or_b32 v8, v7, s0, 0x800000
	v_lshrrev_b32_e32 v17, 23, v7
	v_mad_u64_u32 v[10:11], null, 0xfe5163ab, v8, 0
	v_add_nc_u32_e32 v18, 0xffffff88, v17
	v_cmp_lt_u32_e64 s0, 63, v18
	v_mad_u64_u32 v[13:14], null, 0x3c439041, v8, v[11:12]
	v_cndmask_b32_e64 v19, 0, 0xffffffc0, s0
	v_mov_b32_e32 v11, v14
	v_add_nc_u32_e32 v19, v19, v18
	v_mad_u64_u32 v[14:15], null, 0xdb629599, v8, v[11:12]
	v_cmp_lt_u32_e64 s1, 31, v19
	v_cndmask_b32_e64 v20, 0, 0xffffffe0, s1
	v_mov_b32_e32 v11, v15
	v_cndmask_b32_e64 v10, v14, v10, s0
	v_mad_u64_u32 v[15:16], null, 0xf534ddc0, v8, v[11:12]
	v_mov_b32_e32 v11, v16
	v_cndmask_b32_e64 v13, v15, v13, s0
	v_mad_u64_u32 v[16:17], null, 0xfc2757d1, v8, v[11:12]
	v_cndmask_b32_e64 v10, v13, v10, s1
	v_mov_b32_e32 v11, v17
	v_mad_u64_u32 v[17:18], null, 0x4e441529, v8, v[11:12]
	v_mov_b32_e32 v11, v18
	v_add_nc_u32_e32 v18, v20, v19
	v_cndmask_b32_e64 v19, v17, v15, s0
	v_mad_u64_u32 v[11:12], null, 0xa2f9836e, v8, v[11:12]
	v_cmp_lt_u32_e64 s2, 31, v18
	v_cndmask_b32_e64 v8, 0, 0xffffffe0, s2
	v_cndmask_b32_e64 v11, v11, v16, s0
	;; [unrolled: 1-line block ×4, first 2 shown]
	v_add_nc_u32_e32 v8, v8, v18
	v_cndmask_b32_e64 v15, v11, v19, s1
	v_cndmask_b32_e64 v11, v12, v11, s1
	v_cndmask_b32_e64 v12, v19, v16, s1
	v_cndmask_b32_e64 v16, v16, v13, s1
	v_sub_nc_u32_e32 v17, 32, v8
	v_cmp_eq_u32_e64 s0, 0, v8
	v_cndmask_b32_e64 v11, v11, v15, s2
	v_cndmask_b32_e64 v15, v15, v12, s2
	;; [unrolled: 1-line block ×4, first 2 shown]
	v_alignbit_b32 v18, v11, v15, v17
	v_alignbit_b32 v14, v15, v12, v17
	v_alignbit_b32 v16, v12, v10, v17
	v_cndmask_b32_e64 v8, v18, v11, s0
	v_cndmask_b32_e64 v11, v14, v15, s0
	;; [unrolled: 1-line block ×3, first 2 shown]
	v_bfe_u32 v13, v8, 29, 1
	v_alignbit_b32 v14, v8, v11, 30
	v_alignbit_b32 v11, v11, v12, 30
	;; [unrolled: 1-line block ×3, first 2 shown]
	v_sub_nc_u32_e32 v15, 0, v13
	v_xor_b32_e32 v14, v14, v15
	v_xor_b32_e32 v11, v11, v15
	;; [unrolled: 1-line block ×3, first 2 shown]
	v_lshrrev_b32_e32 v15, 29, v8
	v_ffbh_u32_e32 v16, v14
	v_min_u32_e32 v16, 32, v16
	v_sub_nc_u32_e32 v12, 31, v16
	v_lshlrev_b32_e32 v17, 23, v16
	v_alignbit_b32 v14, v14, v11, v12
	v_alignbit_b32 v10, v11, v10, v12
	v_lshlrev_b32_e32 v11, 31, v15
	v_alignbit_b32 v12, v14, v10, 9
	v_or_b32_e32 v15, 0.5, v11
	v_lshrrev_b32_e32 v14, 9, v14
	v_or_b32_e32 v11, 0x33000000, v11
	v_ffbh_u32_e32 v18, v12
	v_sub_nc_u32_e32 v15, v15, v17
	v_min_u32_e32 v17, 32, v18
	v_or_b32_e32 v14, v14, v15
	v_not_b32_e32 v15, v17
	v_mul_f32_e32 v18, 0x3fc90fda, v14
	v_add_lshl_u32 v16, v17, v16, 23
	v_alignbit_b32 v10, v12, v10, v15
	v_fma_f32 v12, 0x3fc90fda, v14, -v18
	v_sub_nc_u32_e32 v11, v11, v16
	v_lshrrev_b32_e32 v10, 9, v10
	v_fmamk_f32 v12, v14, 0x33a22168, v12
	v_or_b32_e32 v10, v11, v10
	v_fmac_f32_e32 v12, 0x3fc90fda, v10
	v_lshrrev_b32_e32 v10, 30, v8
	v_add_f32_e32 v8, v18, v12
	v_add_nc_u32_e32 v10, v13, v10
.LBB9_42:
	s_andn2_saveexec_b32 s0, s5
; %bb.43:
	v_mul_f32_e64 v8, 0x3f22f983, |v5|
	v_rndne_f32_e32 v10, v8
	v_fma_f32 v8, 0xbfc90fda, v10, |v5|
	v_fmamk_f32 v8, v10, 0xb3a22168, v8
	v_fmamk_f32 v8, v10, 0xa7c234c4, v8
	v_cvt_i32_f32_e32 v10, v10
; %bb.44:
	s_or_b32 exec_lo, exec_lo, s0
	v_mul_f32_e32 v11, v8, v8
	s_mov_b32 s0, 0xb94c1982
	s_mov_b32 s1, 0x37d75334
	v_and_b32_e32 v14, 1, v10
	v_lshlrev_b32_e32 v10, 30, v10
	v_fmaak_f32 v12, s0, v11, 0x3c0881c4
	v_fmaak_f32 v13, s1, v11, 0xbab64f3b
	v_xor_b32_e32 v7, v7, v5
	v_cmp_eq_u32_e64 s0, 0, v14
	v_and_b32_e32 v10, 0x80000000, v10
	v_fmaak_f32 v12, v11, v12, 0xbe2aaa9d
	v_fmaak_f32 v13, v11, v13, 0x3d2aabf7
	v_mul_f32_e32 v12, v11, v12
	v_fmaak_f32 v13, v11, v13, 0xbf000004
	v_fmac_f32_e32 v8, v8, v12
	v_fma_f32 v11, v11, v13, 1.0
	v_cndmask_b32_e64 v8, v11, v8, s0
	v_cmp_class_f32_e64 s0, v5, 0x1f8
	v_xor3_b32 v7, v7, v10, v8
	v_cndmask_b32_e64 v7, 0x7fc00000, v7, s0
.LBB9_45:
	s_or_b32 exec_lo, exec_lo, s3
	v_or_b32_e32 v5, 0x300, v0
	s_mov_b32 s3, exec_lo
	v_cmpx_gt_i32_e64 s6, v5
	s_cbranch_execnz .LBB9_52
; %bb.46:
	s_or_b32 exec_lo, exec_lo, s3
	s_and_saveexec_b32 s0, vcc_lo
	s_xor_b32 s0, exec_lo, s0
	s_cbranch_execnz .LBB9_57
.LBB9_47:
	s_or_b32 exec_lo, exec_lo, s0
	s_mov_b32 s0, exec_lo
	v_cmpx_gt_i32_e64 s6, v0
	s_cbranch_execnz .LBB9_58
.LBB9_48:
	s_or_b32 exec_lo, exec_lo, s0
	s_mov_b32 s0, exec_lo
	v_cmpx_gt_i32_e64 s6, v0
	s_cbranch_execnz .LBB9_59
.LBB9_49:
	s_or_b32 exec_lo, exec_lo, s0
	s_mov_b32 s0, exec_lo
	v_cmpx_gt_i32_e64 s6, v0
	s_cbranch_execz .LBB9_51
.LBB9_50:
	v_add_nc_u32_e32 v0, s4, v0
	v_mov_b32_e32 v1, 0
	v_lshlrev_b64 v[0:1], 2, v[0:1]
	v_add_co_u32 v0, vcc_lo, s8, v0
	v_add_co_ci_u32_e64 v1, null, s9, v1, vcc_lo
	global_store_dword v[0:1], v6, off
.LBB9_51:
	s_endpgm
.LBB9_52:
	v_and_b32_e32 v5, 0x7fffffff, v2
                                        ; implicit-def: $vgpr8
                                        ; implicit-def: $vgpr6
	s_mov_b32 s1, exec_lo
	v_cmpx_ngt_f32_e64 0x48000000, |v2|
	s_xor_b32 s5, exec_lo, s1
	s_cbranch_execz .LBB9_54
; %bb.53:
	s_mov_b32 s0, 0x7fffff
	v_mov_b32_e32 v12, 0
	v_and_or_b32 v6, v5, s0, 0x800000
	v_lshrrev_b32_e32 v8, 23, v5
	v_mad_u64_u32 v[10:11], null, 0xfe5163ab, v6, 0
	v_add_nc_u32_e32 v8, 0xffffff88, v8
	v_cmp_lt_u32_e64 s0, 63, v8
	v_mad_u64_u32 v[13:14], null, 0x3c439041, v6, v[11:12]
	v_cndmask_b32_e64 v18, 0, 0xffffffc0, s0
	v_mov_b32_e32 v11, v14
	v_add_nc_u32_e32 v8, v18, v8
	v_mad_u64_u32 v[14:15], null, 0xdb629599, v6, v[11:12]
	v_cmp_lt_u32_e64 s1, 31, v8
	v_cndmask_b32_e64 v19, 0, 0xffffffe0, s1
	v_mov_b32_e32 v11, v15
	v_cndmask_b32_e64 v10, v14, v10, s0
	v_add_nc_u32_e32 v8, v19, v8
	v_mad_u64_u32 v[15:16], null, 0xf534ddc0, v6, v[11:12]
	v_cmp_lt_u32_e64 s2, 31, v8
	v_mov_b32_e32 v11, v16
	v_mad_u64_u32 v[16:17], null, 0xfc2757d1, v6, v[11:12]
	v_mov_b32_e32 v11, v17
	v_mad_u64_u32 v[17:18], null, 0x4e441529, v6, v[11:12]
	v_mov_b32_e32 v11, v18
	v_cndmask_b32_e64 v18, v17, v15, s0
	v_mad_u64_u32 v[11:12], null, 0xa2f9836e, v6, v[11:12]
	v_cndmask_b32_e64 v6, 0, 0xffffffe0, s2
	v_add_nc_u32_e32 v6, v6, v8
	v_cndmask_b32_e64 v11, v11, v16, s0
	v_cndmask_b32_e64 v12, v12, v17, s0
	;; [unrolled: 1-line block ×4, first 2 shown]
	v_sub_nc_u32_e32 v15, 32, v6
	v_cndmask_b32_e64 v13, v11, v18, s1
	v_cndmask_b32_e64 v11, v12, v11, s1
	;; [unrolled: 1-line block ×4, first 2 shown]
	v_cmp_eq_u32_e64 s0, 0, v6
	v_cndmask_b32_e64 v8, v8, v10, s1
	v_cndmask_b32_e64 v11, v11, v13, s2
	;; [unrolled: 1-line block ×5, first 2 shown]
	v_alignbit_b32 v17, v11, v13, v15
	v_alignbit_b32 v14, v13, v12, v15
	;; [unrolled: 1-line block ×3, first 2 shown]
	v_cndmask_b32_e64 v6, v17, v11, s0
	v_cndmask_b32_e64 v10, v14, v13, s0
	;; [unrolled: 1-line block ×3, first 2 shown]
	v_bfe_u32 v11, v6, 29, 1
	v_alignbit_b32 v13, v6, v10, 30
	v_alignbit_b32 v10, v10, v12, 30
	;; [unrolled: 1-line block ×3, first 2 shown]
	v_sub_nc_u32_e32 v14, 0, v11
	v_xor_b32_e32 v13, v13, v14
	v_xor_b32_e32 v10, v10, v14
	;; [unrolled: 1-line block ×3, first 2 shown]
	v_lshrrev_b32_e32 v14, 29, v6
	v_ffbh_u32_e32 v15, v13
	v_min_u32_e32 v15, 32, v15
	v_sub_nc_u32_e32 v12, 31, v15
	v_lshlrev_b32_e32 v16, 23, v15
	v_alignbit_b32 v13, v13, v10, v12
	v_alignbit_b32 v8, v10, v8, v12
	v_lshlrev_b32_e32 v10, 31, v14
	v_alignbit_b32 v12, v13, v8, 9
	v_or_b32_e32 v14, 0.5, v10
	v_lshrrev_b32_e32 v13, 9, v13
	v_or_b32_e32 v10, 0x33000000, v10
	v_ffbh_u32_e32 v17, v12
	v_sub_nc_u32_e32 v14, v14, v16
	v_min_u32_e32 v16, 32, v17
	v_or_b32_e32 v13, v13, v14
	v_not_b32_e32 v14, v16
	v_mul_f32_e32 v17, 0x3fc90fda, v13
	v_add_lshl_u32 v15, v16, v15, 23
	v_alignbit_b32 v8, v12, v8, v14
	v_fma_f32 v12, 0x3fc90fda, v13, -v17
	v_sub_nc_u32_e32 v10, v10, v15
	v_lshrrev_b32_e32 v8, 9, v8
	v_fmamk_f32 v12, v13, 0x33a22168, v12
	v_or_b32_e32 v8, v10, v8
	v_fmac_f32_e32 v12, 0x3fc90fda, v8
	v_lshrrev_b32_e32 v8, 30, v6
	v_add_f32_e32 v6, v17, v12
	v_add_nc_u32_e32 v8, v11, v8
.LBB9_54:
	s_andn2_saveexec_b32 s0, s5
; %bb.55:
	v_mul_f32_e64 v6, 0x3f22f983, |v2|
	v_rndne_f32_e32 v8, v6
	v_fma_f32 v6, 0xbfc90fda, v8, |v2|
	v_fmamk_f32 v6, v8, 0xb3a22168, v6
	v_fmamk_f32 v6, v8, 0xa7c234c4, v6
	v_cvt_i32_f32_e32 v8, v8
; %bb.56:
	s_or_b32 exec_lo, exec_lo, s0
	v_mul_f32_e32 v10, v6, v6
	s_mov_b32 s0, 0xb94c1982
	s_mov_b32 s1, 0x37d75334
	v_and_b32_e32 v13, 1, v8
	v_lshlrev_b32_e32 v8, 30, v8
	v_fmaak_f32 v11, s0, v10, 0x3c0881c4
	v_fmaak_f32 v12, s1, v10, 0xbab64f3b
	v_xor_b32_e32 v5, v5, v2
	v_cmp_eq_u32_e64 s0, 0, v13
	v_and_b32_e32 v8, 0x80000000, v8
	v_fmaak_f32 v11, v10, v11, 0xbe2aaa9d
	v_fmaak_f32 v12, v10, v12, 0x3d2aabf7
	v_mul_f32_e32 v11, v10, v11
	v_fmaak_f32 v12, v10, v12, 0xbf000004
	v_fmac_f32_e32 v6, v6, v11
	v_fma_f32 v10, v10, v12, 1.0
	v_cndmask_b32_e64 v6, v10, v6, s0
	v_cmp_class_f32_e64 s0, v2, 0x1f8
	v_xor3_b32 v5, v5, v8, v6
	v_cndmask_b32_e64 v6, 0x7fc00000, v5, s0
	s_or_b32 exec_lo, exec_lo, s3
	s_and_saveexec_b32 s0, vcc_lo
	s_xor_b32 s0, exec_lo, s0
	s_cbranch_execz .LBB9_47
.LBB9_57:
	v_mov_b32_e32 v2, 0
	v_lshlrev_b64 v[0:1], 2, v[1:2]
	v_add_co_u32 v10, vcc_lo, s8, v0
	v_add_co_ci_u32_e64 v11, null, s9, v1, vcc_lo
	v_mov_b32_e32 v0, v3
	global_store_dword v[10:11], v4, off
	s_or_b32 exec_lo, exec_lo, s0
	s_mov_b32 s0, exec_lo
	v_cmpx_gt_i32_e64 s6, v0
	s_cbranch_execz .LBB9_48
.LBB9_58:
	v_add_nc_u32_e32 v1, s4, v0
	v_mov_b32_e32 v2, 0
	v_add_nc_u32_e32 v0, 0x100, v0
	v_lshlrev_b64 v[1:2], 2, v[1:2]
	v_add_co_u32 v1, vcc_lo, s8, v1
	v_add_co_ci_u32_e64 v2, null, s9, v2, vcc_lo
	global_store_dword v[1:2], v9, off
	s_or_b32 exec_lo, exec_lo, s0
	s_mov_b32 s0, exec_lo
	v_cmpx_gt_i32_e64 s6, v0
	s_cbranch_execz .LBB9_49
.LBB9_59:
	v_add_nc_u32_e32 v1, s4, v0
	v_mov_b32_e32 v2, 0
	v_add_nc_u32_e32 v0, 0x100, v0
	v_lshlrev_b64 v[1:2], 2, v[1:2]
	v_add_co_u32 v1, vcc_lo, s8, v1
	v_add_co_ci_u32_e64 v2, null, s9, v2, vcc_lo
	global_store_dword v[1:2], v7, off
	s_or_b32 exec_lo, exec_lo, s0
	s_mov_b32 s0, exec_lo
	v_cmpx_gt_i32_e64 s6, v0
	s_cbranch_execnz .LBB9_50
	s_branch .LBB9_51
	.section	.rodata,"a",@progbits
	.p2align	6, 0x0
	.amdhsa_kernel _ZN2at6native29vectorized_elementwise_kernelILi8EZZZNS0_15sin_kernel_cudaERNS_18TensorIteratorBaseEENKUlvE0_clEvENKUlvE0_clEvEUlfE_St5arrayIPcLm2EEEEviT0_T1_
		.amdhsa_group_segment_fixed_size 0
		.amdhsa_private_segment_fixed_size 0
		.amdhsa_kernarg_size 24
		.amdhsa_user_sgpr_count 6
		.amdhsa_user_sgpr_private_segment_buffer 1
		.amdhsa_user_sgpr_dispatch_ptr 0
		.amdhsa_user_sgpr_queue_ptr 0
		.amdhsa_user_sgpr_kernarg_segment_ptr 1
		.amdhsa_user_sgpr_dispatch_id 0
		.amdhsa_user_sgpr_flat_scratch_init 0
		.amdhsa_user_sgpr_private_segment_size 0
		.amdhsa_wavefront_size32 1
		.amdhsa_uses_dynamic_stack 0
		.amdhsa_system_sgpr_private_segment_wavefront_offset 0
		.amdhsa_system_sgpr_workgroup_id_x 1
		.amdhsa_system_sgpr_workgroup_id_y 0
		.amdhsa_system_sgpr_workgroup_id_z 0
		.amdhsa_system_sgpr_workgroup_info 0
		.amdhsa_system_vgpr_workitem_id 0
		.amdhsa_next_free_vgpr 28
		.amdhsa_next_free_sgpr 12
		.amdhsa_reserve_vcc 1
		.amdhsa_reserve_flat_scratch 0
		.amdhsa_float_round_mode_32 0
		.amdhsa_float_round_mode_16_64 0
		.amdhsa_float_denorm_mode_32 3
		.amdhsa_float_denorm_mode_16_64 3
		.amdhsa_dx10_clamp 1
		.amdhsa_ieee_mode 1
		.amdhsa_fp16_overflow 0
		.amdhsa_workgroup_processor_mode 1
		.amdhsa_memory_ordered 1
		.amdhsa_forward_progress 1
		.amdhsa_shared_vgpr_count 0
		.amdhsa_exception_fp_ieee_invalid_op 0
		.amdhsa_exception_fp_denorm_src 0
		.amdhsa_exception_fp_ieee_div_zero 0
		.amdhsa_exception_fp_ieee_overflow 0
		.amdhsa_exception_fp_ieee_underflow 0
		.amdhsa_exception_fp_ieee_inexact 0
		.amdhsa_exception_int_div_zero 0
	.end_amdhsa_kernel
	.section	.text._ZN2at6native29vectorized_elementwise_kernelILi8EZZZNS0_15sin_kernel_cudaERNS_18TensorIteratorBaseEENKUlvE0_clEvENKUlvE0_clEvEUlfE_St5arrayIPcLm2EEEEviT0_T1_,"axG",@progbits,_ZN2at6native29vectorized_elementwise_kernelILi8EZZZNS0_15sin_kernel_cudaERNS_18TensorIteratorBaseEENKUlvE0_clEvENKUlvE0_clEvEUlfE_St5arrayIPcLm2EEEEviT0_T1_,comdat
.Lfunc_end9:
	.size	_ZN2at6native29vectorized_elementwise_kernelILi8EZZZNS0_15sin_kernel_cudaERNS_18TensorIteratorBaseEENKUlvE0_clEvENKUlvE0_clEvEUlfE_St5arrayIPcLm2EEEEviT0_T1_, .Lfunc_end9-_ZN2at6native29vectorized_elementwise_kernelILi8EZZZNS0_15sin_kernel_cudaERNS_18TensorIteratorBaseEENKUlvE0_clEvENKUlvE0_clEvEUlfE_St5arrayIPcLm2EEEEviT0_T1_
                                        ; -- End function
	.set _ZN2at6native29vectorized_elementwise_kernelILi8EZZZNS0_15sin_kernel_cudaERNS_18TensorIteratorBaseEENKUlvE0_clEvENKUlvE0_clEvEUlfE_St5arrayIPcLm2EEEEviT0_T1_.num_vgpr, 28
	.set _ZN2at6native29vectorized_elementwise_kernelILi8EZZZNS0_15sin_kernel_cudaERNS_18TensorIteratorBaseEENKUlvE0_clEvENKUlvE0_clEvEUlfE_St5arrayIPcLm2EEEEviT0_T1_.num_agpr, 0
	.set _ZN2at6native29vectorized_elementwise_kernelILi8EZZZNS0_15sin_kernel_cudaERNS_18TensorIteratorBaseEENKUlvE0_clEvENKUlvE0_clEvEUlfE_St5arrayIPcLm2EEEEviT0_T1_.numbered_sgpr, 12
	.set _ZN2at6native29vectorized_elementwise_kernelILi8EZZZNS0_15sin_kernel_cudaERNS_18TensorIteratorBaseEENKUlvE0_clEvENKUlvE0_clEvEUlfE_St5arrayIPcLm2EEEEviT0_T1_.num_named_barrier, 0
	.set _ZN2at6native29vectorized_elementwise_kernelILi8EZZZNS0_15sin_kernel_cudaERNS_18TensorIteratorBaseEENKUlvE0_clEvENKUlvE0_clEvEUlfE_St5arrayIPcLm2EEEEviT0_T1_.private_seg_size, 0
	.set _ZN2at6native29vectorized_elementwise_kernelILi8EZZZNS0_15sin_kernel_cudaERNS_18TensorIteratorBaseEENKUlvE0_clEvENKUlvE0_clEvEUlfE_St5arrayIPcLm2EEEEviT0_T1_.uses_vcc, 1
	.set _ZN2at6native29vectorized_elementwise_kernelILi8EZZZNS0_15sin_kernel_cudaERNS_18TensorIteratorBaseEENKUlvE0_clEvENKUlvE0_clEvEUlfE_St5arrayIPcLm2EEEEviT0_T1_.uses_flat_scratch, 0
	.set _ZN2at6native29vectorized_elementwise_kernelILi8EZZZNS0_15sin_kernel_cudaERNS_18TensorIteratorBaseEENKUlvE0_clEvENKUlvE0_clEvEUlfE_St5arrayIPcLm2EEEEviT0_T1_.has_dyn_sized_stack, 0
	.set _ZN2at6native29vectorized_elementwise_kernelILi8EZZZNS0_15sin_kernel_cudaERNS_18TensorIteratorBaseEENKUlvE0_clEvENKUlvE0_clEvEUlfE_St5arrayIPcLm2EEEEviT0_T1_.has_recursion, 0
	.set _ZN2at6native29vectorized_elementwise_kernelILi8EZZZNS0_15sin_kernel_cudaERNS_18TensorIteratorBaseEENKUlvE0_clEvENKUlvE0_clEvEUlfE_St5arrayIPcLm2EEEEviT0_T1_.has_indirect_call, 0
	.section	.AMDGPU.csdata,"",@progbits
; Kernel info:
; codeLenInByte = 7244
; TotalNumSgprs: 14
; NumVgprs: 28
; ScratchSize: 0
; MemoryBound: 0
; FloatMode: 240
; IeeeMode: 1
; LDSByteSize: 0 bytes/workgroup (compile time only)
; SGPRBlocks: 0
; VGPRBlocks: 3
; NumSGPRsForWavesPerEU: 14
; NumVGPRsForWavesPerEU: 28
; Occupancy: 16
; WaveLimiterHint : 0
; COMPUTE_PGM_RSRC2:SCRATCH_EN: 0
; COMPUTE_PGM_RSRC2:USER_SGPR: 6
; COMPUTE_PGM_RSRC2:TRAP_HANDLER: 0
; COMPUTE_PGM_RSRC2:TGID_X_EN: 1
; COMPUTE_PGM_RSRC2:TGID_Y_EN: 0
; COMPUTE_PGM_RSRC2:TGID_Z_EN: 0
; COMPUTE_PGM_RSRC2:TIDIG_COMP_CNT: 0
	.section	.text._ZN2at6native29vectorized_elementwise_kernelILi4EZZZNS0_15sin_kernel_cudaERNS_18TensorIteratorBaseEENKUlvE0_clEvENKUlvE0_clEvEUlfE_St5arrayIPcLm2EEEEviT0_T1_,"axG",@progbits,_ZN2at6native29vectorized_elementwise_kernelILi4EZZZNS0_15sin_kernel_cudaERNS_18TensorIteratorBaseEENKUlvE0_clEvENKUlvE0_clEvEUlfE_St5arrayIPcLm2EEEEviT0_T1_,comdat
	.globl	_ZN2at6native29vectorized_elementwise_kernelILi4EZZZNS0_15sin_kernel_cudaERNS_18TensorIteratorBaseEENKUlvE0_clEvENKUlvE0_clEvEUlfE_St5arrayIPcLm2EEEEviT0_T1_ ; -- Begin function _ZN2at6native29vectorized_elementwise_kernelILi4EZZZNS0_15sin_kernel_cudaERNS_18TensorIteratorBaseEENKUlvE0_clEvENKUlvE0_clEvEUlfE_St5arrayIPcLm2EEEEviT0_T1_
	.p2align	8
	.type	_ZN2at6native29vectorized_elementwise_kernelILi4EZZZNS0_15sin_kernel_cudaERNS_18TensorIteratorBaseEENKUlvE0_clEvENKUlvE0_clEvEUlfE_St5arrayIPcLm2EEEEviT0_T1_,@function
_ZN2at6native29vectorized_elementwise_kernelILi4EZZZNS0_15sin_kernel_cudaERNS_18TensorIteratorBaseEENKUlvE0_clEvENKUlvE0_clEvEUlfE_St5arrayIPcLm2EEEEviT0_T1_: ; @_ZN2at6native29vectorized_elementwise_kernelILi4EZZZNS0_15sin_kernel_cudaERNS_18TensorIteratorBaseEENKUlvE0_clEvENKUlvE0_clEvEUlfE_St5arrayIPcLm2EEEEviT0_T1_
; %bb.0:
	s_clause 0x1
	s_load_dword s0, s[4:5], 0x0
	s_load_dwordx4 s[8:11], s[4:5], 0x8
	s_lshl_b32 s4, s6, 10
	s_waitcnt lgkmcnt(0)
	s_sub_i32 s6, s0, s4
	s_mov_b32 s0, -1
	s_cmpk_gt_i32 s6, 0x3ff
	s_cbranch_scc0 .LBB10_18
; %bb.1:
	s_ashr_i32 s5, s4, 31
	v_lshlrev_b32_e32 v7, 4, v0
	s_lshl_b64 s[2:3], s[4:5], 2
	v_mov_b32_e32 v6, 0
	s_add_u32 s0, s10, s2
	s_addc_u32 s1, s11, s3
                                        ; implicit-def: $vgpr9
                                        ; implicit-def: $vgpr5
	global_load_dwordx4 v[1:4], v7, s[0:1]
	s_mov_b32 s1, exec_lo
	s_waitcnt vmcnt(0)
	v_and_b32_e32 v8, 0x7fffffff, v1
	v_cmpx_ngt_f32_e64 0x48000000, |v1|
	s_xor_b32 s5, exec_lo, s1
	s_cbranch_execz .LBB10_3
; %bb.2:
	s_mov_b32 s0, 0x7fffff
	v_lshrrev_b32_e32 v14, 23, v8
	v_and_or_b32 v16, v8, s0, 0x800000
	v_add_nc_u32_e32 v15, 0xffffff88, v14
	v_mad_u64_u32 v[9:10], null, 0xfe5163ab, v16, 0
	v_cmp_lt_u32_e32 vcc_lo, 63, v15
	v_mov_b32_e32 v5, v10
	v_cndmask_b32_e64 v17, 0, 0xffffffc0, vcc_lo
	v_mad_u64_u32 v[10:11], null, 0x3c439041, v16, v[5:6]
	v_add_nc_u32_e32 v17, v17, v15
	v_cmp_lt_u32_e64 s0, 31, v17
	v_mov_b32_e32 v5, v11
	v_cndmask_b32_e64 v18, 0, 0xffffffe0, s0
	v_mad_u64_u32 v[11:12], null, 0xdb629599, v16, v[5:6]
	v_mov_b32_e32 v5, v12
	v_cndmask_b32_e32 v9, v11, v9, vcc_lo
	v_mad_u64_u32 v[12:13], null, 0xf534ddc0, v16, v[5:6]
	v_mov_b32_e32 v5, v13
	v_cndmask_b32_e32 v10, v12, v10, vcc_lo
	v_mad_u64_u32 v[13:14], null, 0xfc2757d1, v16, v[5:6]
	v_cndmask_b32_e64 v9, v10, v9, s0
	v_mov_b32_e32 v5, v14
	v_mad_u64_u32 v[14:15], null, 0x4e441529, v16, v[5:6]
	v_mov_b32_e32 v5, v15
	v_add_nc_u32_e32 v15, v18, v17
	v_cndmask_b32_e32 v17, v14, v12, vcc_lo
	v_mad_u64_u32 v[5:6], null, 0xa2f9836e, v16, v[5:6]
	v_cmp_lt_u32_e64 s1, 31, v15
	v_cndmask_b32_e64 v16, 0, 0xffffffe0, s1
	v_cndmask_b32_e32 v5, v5, v13, vcc_lo
	v_cndmask_b32_e32 v6, v6, v14, vcc_lo
	;; [unrolled: 1-line block ×3, first 2 shown]
	v_add_nc_u32_e32 v14, v16, v15
	v_cndmask_b32_e64 v12, v5, v17, s0
	v_cndmask_b32_e64 v5, v6, v5, s0
	;; [unrolled: 1-line block ×4, first 2 shown]
	v_sub_nc_u32_e32 v15, 32, v14
	v_cmp_eq_u32_e32 vcc_lo, 0, v14
	v_cndmask_b32_e64 v5, v5, v12, s1
	v_cndmask_b32_e64 v12, v12, v6, s1
	;; [unrolled: 1-line block ×4, first 2 shown]
	v_alignbit_b32 v16, v5, v12, v15
	v_alignbit_b32 v11, v12, v6, v15
	;; [unrolled: 1-line block ×3, first 2 shown]
	v_cndmask_b32_e32 v5, v16, v5, vcc_lo
	v_cndmask_b32_e32 v10, v11, v12, vcc_lo
	;; [unrolled: 1-line block ×3, first 2 shown]
	v_bfe_u32 v11, v5, 29, 1
	v_alignbit_b32 v12, v5, v10, 30
	v_alignbit_b32 v10, v10, v6, 30
	;; [unrolled: 1-line block ×3, first 2 shown]
	v_sub_nc_u32_e32 v13, 0, v11
	v_xor_b32_e32 v12, v12, v13
	v_xor_b32_e32 v9, v10, v13
	;; [unrolled: 1-line block ×3, first 2 shown]
	v_lshrrev_b32_e32 v13, 29, v5
	v_ffbh_u32_e32 v14, v12
	v_min_u32_e32 v14, 32, v14
	v_sub_nc_u32_e32 v10, 31, v14
	v_lshlrev_b32_e32 v15, 23, v14
	v_alignbit_b32 v12, v12, v9, v10
	v_alignbit_b32 v6, v9, v6, v10
	v_lshlrev_b32_e32 v9, 31, v13
	v_alignbit_b32 v10, v12, v6, 9
	v_or_b32_e32 v13, 0.5, v9
	v_lshrrev_b32_e32 v12, 9, v12
	v_or_b32_e32 v9, 0x33000000, v9
	v_ffbh_u32_e32 v16, v10
	v_sub_nc_u32_e32 v13, v13, v15
	v_min_u32_e32 v15, 32, v16
	v_or_b32_e32 v12, v12, v13
	v_not_b32_e32 v13, v15
	v_mul_f32_e32 v16, 0x3fc90fda, v12
	v_add_lshl_u32 v14, v15, v14, 23
	v_alignbit_b32 v6, v10, v6, v13
	v_fma_f32 v10, 0x3fc90fda, v12, -v16
	v_sub_nc_u32_e32 v9, v9, v14
	v_lshrrev_b32_e32 v6, 9, v6
	v_fmamk_f32 v10, v12, 0x33a22168, v10
	v_or_b32_e32 v6, v9, v6
	v_fmac_f32_e32 v10, 0x3fc90fda, v6
	v_lshrrev_b32_e32 v6, 30, v5
	v_add_f32_e32 v5, v16, v10
	v_add_nc_u32_e32 v9, v11, v6
.LBB10_3:
	s_andn2_saveexec_b32 s0, s5
; %bb.4:
	v_mul_f32_e64 v5, 0x3f22f983, |v1|
	v_rndne_f32_e32 v6, v5
	v_fma_f32 v5, 0xbfc90fda, v6, |v1|
	v_cvt_i32_f32_e32 v9, v6
	v_fmamk_f32 v5, v6, 0xb3a22168, v5
	v_fmamk_f32 v5, v6, 0xa7c234c4, v5
; %bb.5:
	s_or_b32 exec_lo, exec_lo, s0
	v_and_b32_e32 v6, 0x7fffffff, v2
                                        ; implicit-def: $vgpr11
                                        ; implicit-def: $vgpr10
	s_mov_b32 s1, exec_lo
	v_cmpx_ngt_f32_e64 0x48000000, |v2|
	s_xor_b32 s5, exec_lo, s1
	s_cbranch_execz .LBB10_7
; %bb.6:
	s_mov_b32 s0, 0x7fffff
	v_mov_b32_e32 v12, 0
	v_and_or_b32 v19, v6, s0, 0x800000
	v_lshrrev_b32_e32 v17, 23, v6
	v_mad_u64_u32 v[10:11], null, 0xfe5163ab, v19, 0
	v_add_nc_u32_e32 v18, 0xffffff88, v17
	v_cmp_lt_u32_e32 vcc_lo, 63, v18
	v_mad_u64_u32 v[13:14], null, 0x3c439041, v19, v[11:12]
	v_cndmask_b32_e64 v20, 0, 0xffffffc0, vcc_lo
	v_mov_b32_e32 v11, v14
	v_add_nc_u32_e32 v20, v20, v18
	v_mad_u64_u32 v[14:15], null, 0xdb629599, v19, v[11:12]
	v_cmp_lt_u32_e64 s0, 31, v20
	v_cndmask_b32_e64 v21, 0, 0xffffffe0, s0
	v_mov_b32_e32 v11, v15
	v_cndmask_b32_e32 v10, v14, v10, vcc_lo
	v_mad_u64_u32 v[15:16], null, 0xf534ddc0, v19, v[11:12]
	v_mov_b32_e32 v11, v16
	v_cndmask_b32_e32 v13, v15, v13, vcc_lo
	v_mad_u64_u32 v[16:17], null, 0xfc2757d1, v19, v[11:12]
	v_cndmask_b32_e64 v10, v13, v10, s0
	v_mov_b32_e32 v11, v17
	v_mad_u64_u32 v[17:18], null, 0x4e441529, v19, v[11:12]
	v_mov_b32_e32 v11, v18
	v_add_nc_u32_e32 v18, v21, v20
	v_cndmask_b32_e32 v20, v17, v15, vcc_lo
	v_mad_u64_u32 v[11:12], null, 0xa2f9836e, v19, v[11:12]
	v_cmp_lt_u32_e64 s1, 31, v18
	v_cndmask_b32_e64 v19, 0, 0xffffffe0, s1
	v_cndmask_b32_e32 v11, v11, v16, vcc_lo
	v_cndmask_b32_e32 v12, v12, v17, vcc_lo
	;; [unrolled: 1-line block ×3, first 2 shown]
	v_add_nc_u32_e32 v17, v19, v18
	v_cndmask_b32_e64 v15, v11, v20, s0
	v_cndmask_b32_e64 v11, v12, v11, s0
	v_cndmask_b32_e64 v12, v20, v16, s0
	v_cndmask_b32_e64 v16, v16, v13, s0
	v_sub_nc_u32_e32 v18, 32, v17
	v_cmp_eq_u32_e32 vcc_lo, 0, v17
	v_cndmask_b32_e64 v11, v11, v15, s1
	v_cndmask_b32_e64 v15, v15, v12, s1
	;; [unrolled: 1-line block ×4, first 2 shown]
	v_alignbit_b32 v19, v11, v15, v18
	v_alignbit_b32 v14, v15, v12, v18
	;; [unrolled: 1-line block ×3, first 2 shown]
	v_cndmask_b32_e32 v11, v19, v11, vcc_lo
	v_cndmask_b32_e32 v13, v14, v15, vcc_lo
	;; [unrolled: 1-line block ×3, first 2 shown]
	v_bfe_u32 v14, v11, 29, 1
	v_alignbit_b32 v15, v11, v13, 30
	v_alignbit_b32 v13, v13, v12, 30
	;; [unrolled: 1-line block ×3, first 2 shown]
	v_sub_nc_u32_e32 v16, 0, v14
	v_xor_b32_e32 v15, v15, v16
	v_xor_b32_e32 v12, v13, v16
	;; [unrolled: 1-line block ×3, first 2 shown]
	v_lshrrev_b32_e32 v16, 29, v11
	v_lshrrev_b32_e32 v11, 30, v11
	v_ffbh_u32_e32 v17, v15
	v_add_nc_u32_e32 v11, v14, v11
	v_min_u32_e32 v17, 32, v17
	v_sub_nc_u32_e32 v13, 31, v17
	v_lshlrev_b32_e32 v18, 23, v17
	v_alignbit_b32 v15, v15, v12, v13
	v_alignbit_b32 v10, v12, v10, v13
	v_lshlrev_b32_e32 v12, 31, v16
	v_alignbit_b32 v13, v15, v10, 9
	v_or_b32_e32 v16, 0.5, v12
	v_lshrrev_b32_e32 v15, 9, v15
	v_or_b32_e32 v12, 0x33000000, v12
	v_ffbh_u32_e32 v19, v13
	v_sub_nc_u32_e32 v16, v16, v18
	v_min_u32_e32 v18, 32, v19
	v_or_b32_e32 v15, v15, v16
	v_not_b32_e32 v16, v18
	v_mul_f32_e32 v19, 0x3fc90fda, v15
	v_add_lshl_u32 v17, v18, v17, 23
	v_alignbit_b32 v10, v13, v10, v16
	v_fma_f32 v13, 0x3fc90fda, v15, -v19
	v_sub_nc_u32_e32 v12, v12, v17
	v_lshrrev_b32_e32 v10, 9, v10
	v_fmamk_f32 v13, v15, 0x33a22168, v13
	v_or_b32_e32 v10, v12, v10
	v_fmac_f32_e32 v13, 0x3fc90fda, v10
	v_add_f32_e32 v10, v19, v13
.LBB10_7:
	s_andn2_saveexec_b32 s0, s5
; %bb.8:
	v_mul_f32_e64 v10, 0x3f22f983, |v2|
	v_rndne_f32_e32 v11, v10
	v_fma_f32 v10, 0xbfc90fda, v11, |v2|
	v_fmamk_f32 v10, v11, 0xb3a22168, v10
	v_fmamk_f32 v10, v11, 0xa7c234c4, v10
	v_cvt_i32_f32_e32 v11, v11
; %bb.9:
	s_or_b32 exec_lo, exec_lo, s0
	v_and_b32_e32 v12, 0x7fffffff, v3
                                        ; implicit-def: $vgpr15
                                        ; implicit-def: $vgpr14
	s_mov_b32 s1, exec_lo
	v_cmpx_ngt_f32_e64 0x48000000, |v3|
	s_xor_b32 s5, exec_lo, s1
	s_cbranch_execz .LBB10_11
; %bb.10:
	s_mov_b32 s0, 0x7fffff
	v_mov_b32_e32 v15, 0
	v_and_or_b32 v22, v12, s0, 0x800000
	v_lshrrev_b32_e32 v20, 23, v12
	v_mad_u64_u32 v[13:14], null, 0xfe5163ab, v22, 0
	v_add_nc_u32_e32 v21, 0xffffff88, v20
	v_cmp_lt_u32_e32 vcc_lo, 63, v21
	v_mad_u64_u32 v[16:17], null, 0x3c439041, v22, v[14:15]
	v_cndmask_b32_e64 v23, 0, 0xffffffc0, vcc_lo
	v_mov_b32_e32 v14, v17
	v_add_nc_u32_e32 v23, v23, v21
	v_mad_u64_u32 v[17:18], null, 0xdb629599, v22, v[14:15]
	v_cmp_lt_u32_e64 s0, 31, v23
	v_cndmask_b32_e64 v24, 0, 0xffffffe0, s0
	v_mov_b32_e32 v14, v18
	v_cndmask_b32_e32 v13, v17, v13, vcc_lo
	v_mad_u64_u32 v[18:19], null, 0xf534ddc0, v22, v[14:15]
	v_mov_b32_e32 v14, v19
	v_cndmask_b32_e32 v16, v18, v16, vcc_lo
	v_mad_u64_u32 v[19:20], null, 0xfc2757d1, v22, v[14:15]
	v_cndmask_b32_e64 v13, v16, v13, s0
	v_mov_b32_e32 v14, v20
	v_mad_u64_u32 v[20:21], null, 0x4e441529, v22, v[14:15]
	v_mov_b32_e32 v14, v21
	v_add_nc_u32_e32 v21, v24, v23
	v_cndmask_b32_e32 v23, v20, v18, vcc_lo
	v_mad_u64_u32 v[14:15], null, 0xa2f9836e, v22, v[14:15]
	v_cmp_lt_u32_e64 s1, 31, v21
	v_cndmask_b32_e64 v22, 0, 0xffffffe0, s1
	v_cndmask_b32_e32 v14, v14, v19, vcc_lo
	v_cndmask_b32_e32 v15, v15, v20, vcc_lo
	;; [unrolled: 1-line block ×3, first 2 shown]
	v_add_nc_u32_e32 v20, v22, v21
	v_cndmask_b32_e64 v18, v14, v23, s0
	v_cndmask_b32_e64 v14, v15, v14, s0
	;; [unrolled: 1-line block ×4, first 2 shown]
	v_sub_nc_u32_e32 v21, 32, v20
	v_cmp_eq_u32_e32 vcc_lo, 0, v20
	v_cndmask_b32_e64 v14, v14, v18, s1
	v_cndmask_b32_e64 v18, v18, v15, s1
	;; [unrolled: 1-line block ×4, first 2 shown]
	v_alignbit_b32 v22, v14, v18, v21
	v_alignbit_b32 v17, v18, v15, v21
	;; [unrolled: 1-line block ×3, first 2 shown]
	v_cndmask_b32_e32 v14, v22, v14, vcc_lo
	v_cndmask_b32_e32 v16, v17, v18, vcc_lo
	;; [unrolled: 1-line block ×3, first 2 shown]
	v_bfe_u32 v17, v14, 29, 1
	v_alignbit_b32 v18, v14, v16, 30
	v_alignbit_b32 v16, v16, v15, 30
	;; [unrolled: 1-line block ×3, first 2 shown]
	v_sub_nc_u32_e32 v19, 0, v17
	v_xor_b32_e32 v18, v18, v19
	v_xor_b32_e32 v15, v16, v19
	;; [unrolled: 1-line block ×3, first 2 shown]
	v_lshrrev_b32_e32 v19, 29, v14
	v_ffbh_u32_e32 v20, v18
	v_min_u32_e32 v20, 32, v20
	v_sub_nc_u32_e32 v16, 31, v20
	v_lshlrev_b32_e32 v21, 23, v20
	v_alignbit_b32 v18, v18, v15, v16
	v_alignbit_b32 v13, v15, v13, v16
	v_lshlrev_b32_e32 v15, 31, v19
	v_alignbit_b32 v16, v18, v13, 9
	v_or_b32_e32 v19, 0.5, v15
	v_lshrrev_b32_e32 v18, 9, v18
	v_or_b32_e32 v15, 0x33000000, v15
	v_ffbh_u32_e32 v22, v16
	v_sub_nc_u32_e32 v19, v19, v21
	v_min_u32_e32 v21, 32, v22
	v_or_b32_e32 v18, v18, v19
	v_not_b32_e32 v19, v21
	v_mul_f32_e32 v22, 0x3fc90fda, v18
	v_add_lshl_u32 v20, v21, v20, 23
	v_alignbit_b32 v13, v16, v13, v19
	v_fma_f32 v16, 0x3fc90fda, v18, -v22
	v_sub_nc_u32_e32 v15, v15, v20
	v_lshrrev_b32_e32 v13, 9, v13
	v_fmamk_f32 v16, v18, 0x33a22168, v16
	v_or_b32_e32 v13, v15, v13
	v_fmac_f32_e32 v16, 0x3fc90fda, v13
	v_lshrrev_b32_e32 v13, 30, v14
	v_add_f32_e32 v14, v22, v16
	v_add_nc_u32_e32 v15, v17, v13
.LBB10_11:
	s_andn2_saveexec_b32 s0, s5
; %bb.12:
	v_mul_f32_e64 v13, 0x3f22f983, |v3|
	v_rndne_f32_e32 v13, v13
	v_fma_f32 v14, 0xbfc90fda, v13, |v3|
	v_cvt_i32_f32_e32 v15, v13
	v_fmamk_f32 v14, v13, 0xb3a22168, v14
	v_fmamk_f32 v14, v13, 0xa7c234c4, v14
; %bb.13:
	s_or_b32 exec_lo, exec_lo, s0
	v_and_b32_e32 v13, 0x7fffffff, v4
                                        ; implicit-def: $vgpr17
                                        ; implicit-def: $vgpr16
	s_mov_b32 s1, exec_lo
	v_cmpx_ngt_f32_e64 0x48000000, |v4|
	s_xor_b32 s5, exec_lo, s1
	s_cbranch_execz .LBB10_15
; %bb.14:
	s_mov_b32 s0, 0x7fffff
	v_mov_b32_e32 v18, 0
	v_and_or_b32 v25, v13, s0, 0x800000
	v_lshrrev_b32_e32 v23, 23, v13
	v_mad_u64_u32 v[16:17], null, 0xfe5163ab, v25, 0
	v_add_nc_u32_e32 v24, 0xffffff88, v23
	v_cmp_lt_u32_e32 vcc_lo, 63, v24
	v_mad_u64_u32 v[19:20], null, 0x3c439041, v25, v[17:18]
	v_cndmask_b32_e64 v26, 0, 0xffffffc0, vcc_lo
	v_mov_b32_e32 v17, v20
	v_add_nc_u32_e32 v26, v26, v24
	v_mad_u64_u32 v[20:21], null, 0xdb629599, v25, v[17:18]
	v_cmp_lt_u32_e64 s0, 31, v26
	v_cndmask_b32_e64 v27, 0, 0xffffffe0, s0
	v_mov_b32_e32 v17, v21
	v_cndmask_b32_e32 v16, v20, v16, vcc_lo
	v_mad_u64_u32 v[21:22], null, 0xf534ddc0, v25, v[17:18]
	v_mov_b32_e32 v17, v22
	v_cndmask_b32_e32 v19, v21, v19, vcc_lo
	v_mad_u64_u32 v[22:23], null, 0xfc2757d1, v25, v[17:18]
	v_cndmask_b32_e64 v16, v19, v16, s0
	v_mov_b32_e32 v17, v23
	v_mad_u64_u32 v[23:24], null, 0x4e441529, v25, v[17:18]
	v_mov_b32_e32 v17, v24
	v_add_nc_u32_e32 v24, v27, v26
	v_cndmask_b32_e32 v26, v23, v21, vcc_lo
	v_mad_u64_u32 v[17:18], null, 0xa2f9836e, v25, v[17:18]
	v_cmp_lt_u32_e64 s1, 31, v24
	v_cndmask_b32_e64 v25, 0, 0xffffffe0, s1
	v_cndmask_b32_e32 v17, v17, v22, vcc_lo
	v_cndmask_b32_e32 v18, v18, v23, vcc_lo
	;; [unrolled: 1-line block ×3, first 2 shown]
	v_add_nc_u32_e32 v23, v25, v24
	v_cndmask_b32_e64 v21, v17, v26, s0
	v_cndmask_b32_e64 v17, v18, v17, s0
	v_cndmask_b32_e64 v18, v26, v22, s0
	v_cndmask_b32_e64 v22, v22, v19, s0
	v_sub_nc_u32_e32 v24, 32, v23
	v_cmp_eq_u32_e32 vcc_lo, 0, v23
	v_cndmask_b32_e64 v17, v17, v21, s1
	v_cndmask_b32_e64 v21, v21, v18, s1
	;; [unrolled: 1-line block ×4, first 2 shown]
	v_alignbit_b32 v25, v17, v21, v24
	v_alignbit_b32 v20, v21, v18, v24
	;; [unrolled: 1-line block ×3, first 2 shown]
	v_cndmask_b32_e32 v17, v25, v17, vcc_lo
	v_cndmask_b32_e32 v19, v20, v21, vcc_lo
	;; [unrolled: 1-line block ×3, first 2 shown]
	v_bfe_u32 v20, v17, 29, 1
	v_alignbit_b32 v21, v17, v19, 30
	v_alignbit_b32 v19, v19, v18, 30
	;; [unrolled: 1-line block ×3, first 2 shown]
	v_sub_nc_u32_e32 v22, 0, v20
	v_xor_b32_e32 v21, v21, v22
	v_xor_b32_e32 v18, v19, v22
	;; [unrolled: 1-line block ×3, first 2 shown]
	v_lshrrev_b32_e32 v22, 29, v17
	v_lshrrev_b32_e32 v17, 30, v17
	v_ffbh_u32_e32 v23, v21
	v_add_nc_u32_e32 v17, v20, v17
	v_min_u32_e32 v23, 32, v23
	v_sub_nc_u32_e32 v19, 31, v23
	v_lshlrev_b32_e32 v24, 23, v23
	v_alignbit_b32 v21, v21, v18, v19
	v_alignbit_b32 v16, v18, v16, v19
	v_lshlrev_b32_e32 v18, 31, v22
	v_alignbit_b32 v19, v21, v16, 9
	v_or_b32_e32 v22, 0.5, v18
	v_lshrrev_b32_e32 v21, 9, v21
	v_or_b32_e32 v18, 0x33000000, v18
	v_ffbh_u32_e32 v25, v19
	v_sub_nc_u32_e32 v22, v22, v24
	v_min_u32_e32 v24, 32, v25
	v_or_b32_e32 v21, v21, v22
	v_not_b32_e32 v22, v24
	v_mul_f32_e32 v25, 0x3fc90fda, v21
	v_add_lshl_u32 v23, v24, v23, 23
	v_alignbit_b32 v16, v19, v16, v22
	v_fma_f32 v19, 0x3fc90fda, v21, -v25
	v_sub_nc_u32_e32 v18, v18, v23
	v_lshrrev_b32_e32 v16, 9, v16
	v_fmamk_f32 v19, v21, 0x33a22168, v19
	v_or_b32_e32 v16, v18, v16
	v_fmac_f32_e32 v19, 0x3fc90fda, v16
	v_add_f32_e32 v16, v25, v19
.LBB10_15:
	s_andn2_saveexec_b32 s0, s5
; %bb.16:
	v_mul_f32_e64 v16, 0x3f22f983, |v4|
	v_rndne_f32_e32 v17, v16
	v_fma_f32 v16, 0xbfc90fda, v17, |v4|
	v_fmamk_f32 v16, v17, 0xb3a22168, v16
	v_fmamk_f32 v16, v17, 0xa7c234c4, v16
	v_cvt_i32_f32_e32 v17, v17
; %bb.17:
	s_or_b32 exec_lo, exec_lo, s0
	v_mul_f32_e32 v18, v14, v14
	s_mov_b32 s0, 0xb94c1982
	s_mov_b32 s1, 0x37d75334
	v_mul_f32_e32 v22, v10, v10
	v_lshlrev_b32_e32 v21, 30, v15
	v_fmaak_f32 v19, s0, v18, 0x3c0881c4
	v_fmaak_f32 v20, s1, v18, 0xbab64f3b
	v_and_b32_e32 v15, 1, v15
	v_fmaak_f32 v23, s0, v22, 0x3c0881c4
	v_fmaak_f32 v24, s1, v22, 0xbab64f3b
	;; [unrolled: 1-line block ×4, first 2 shown]
	v_cmp_eq_u32_e32 vcc_lo, 0, v15
	v_fmaak_f32 v23, v22, v23, 0xbe2aaa9d
	v_fmaak_f32 v24, v22, v24, 0x3d2aabf7
	v_mul_f32_e32 v19, v18, v19
	v_fmaak_f32 v20, v18, v20, 0xbf000004
	v_xor_b32_e32 v12, v12, v3
	v_lshlrev_b32_e32 v25, 30, v11
	v_and_b32_e32 v11, 1, v11
	v_fmac_f32_e32 v14, v14, v19
	v_fma_f32 v18, v18, v20, 1.0
	v_and_b32_e32 v19, 0x80000000, v21
	v_mul_f32_e32 v20, v22, v23
	v_fmaak_f32 v21, v22, v24, 0xbf000004
	v_xor_b32_e32 v6, v6, v2
	v_cndmask_b32_e32 v14, v18, v14, vcc_lo
	v_cmp_eq_u32_e32 vcc_lo, 0, v11
	v_fmac_f32_e32 v10, v10, v20
	v_fma_f32 v18, v22, v21, 1.0
	v_lshlrev_b32_e32 v21, 30, v9
	v_xor3_b32 v12, v12, v19, v14
	v_mul_f32_e32 v14, v5, v5
	v_mul_f32_e32 v19, v16, v16
	v_cndmask_b32_e32 v10, v18, v10, vcc_lo
	v_and_b32_e32 v9, 1, v9
	v_and_b32_e32 v15, 0x80000000, v25
	v_fmaak_f32 v11, s0, v14, 0x3c0881c4
	v_fmaak_f32 v18, s1, v14, 0xbab64f3b
	;; [unrolled: 1-line block ×4, first 2 shown]
	v_cmp_eq_u32_e32 vcc_lo, 0, v9
	v_fmaak_f32 v11, v14, v11, 0xbe2aaa9d
	v_fmaak_f32 v18, v14, v18, 0x3d2aabf7
	;; [unrolled: 1-line block ×4, first 2 shown]
	v_xor_b32_e32 v8, v8, v1
	v_mul_f32_e32 v11, v14, v11
	v_fmaak_f32 v18, v14, v18, 0xbf000004
	v_mul_f32_e32 v20, v19, v20
	v_fmaak_f32 v22, v19, v22, 0xbf000004
	v_and_b32_e32 v21, 0x80000000, v21
	v_fmac_f32_e32 v5, v5, v11
	v_fma_f32 v11, v14, v18, 1.0
	v_and_b32_e32 v14, 1, v17
	v_fmac_f32_e32 v16, v16, v20
	v_fma_f32 v18, v19, v22, 1.0
	v_lshlrev_b32_e32 v17, 30, v17
	v_cndmask_b32_e32 v5, v11, v5, vcc_lo
	v_cmp_eq_u32_e32 vcc_lo, 0, v14
	v_xor3_b32 v6, v6, v15, v10
	v_xor_b32_e32 v13, v13, v4
	v_and_b32_e32 v11, 0x80000000, v17
	v_xor3_b32 v5, v8, v21, v5
	v_cndmask_b32_e32 v9, v18, v16, vcc_lo
	v_cmp_class_f32_e64 vcc_lo, v3, 0x1f8
	s_add_u32 s2, s8, s2
	s_addc_u32 s3, s9, s3
	s_mov_b32 s0, 0
	v_xor3_b32 v8, v13, v11, v9
	v_cndmask_b32_e32 v3, 0x7fc00000, v12, vcc_lo
	v_cmp_class_f32_e64 vcc_lo, v2, 0x1f8
	v_cndmask_b32_e32 v2, 0x7fc00000, v6, vcc_lo
	v_cmp_class_f32_e64 vcc_lo, v1, 0x1f8
	;; [unrolled: 2-line block ×3, first 2 shown]
	v_cndmask_b32_e32 v4, 0x7fc00000, v8, vcc_lo
	global_store_dwordx4 v7, v[1:4], s[2:3]
.LBB10_18:
	s_and_b32 vcc_lo, exec_lo, s0
	s_cbranch_vccz .LBB10_51
; %bb.19:
	v_cmp_gt_i32_e32 vcc_lo, s6, v0
	v_mov_b32_e32 v8, 0
	v_or_b32_e32 v1, s4, v0
	v_or_b32_e32 v3, 0x100, v0
	v_mov_b32_e32 v10, 0
	v_mov_b32_e32 v4, v0
	s_and_saveexec_b32 s1, vcc_lo
	s_cbranch_execz .LBB10_21
; %bb.20:
	v_mov_b32_e32 v2, 0
	v_lshlrev_b64 v[4:5], 2, v[1:2]
	v_add_co_u32 v4, s0, s10, v4
	v_add_co_ci_u32_e64 v5, null, s11, v5, s0
	global_load_dword v10, v[4:5], off
	v_or_b32_e32 v4, 0x100, v0
.LBB10_21:
	s_or_b32 exec_lo, exec_lo, s1
	s_mov_b32 s1, exec_lo
	v_cmpx_gt_i32_e64 s6, v4
	s_cbranch_execz .LBB10_23
; %bb.22:
	v_add_nc_u32_e32 v5, s4, v4
	v_mov_b32_e32 v6, 0
	v_add_nc_u32_e32 v4, 0x100, v4
	v_lshlrev_b64 v[5:6], 2, v[5:6]
	v_add_co_u32 v5, s0, s10, v5
	v_add_co_ci_u32_e64 v6, null, s11, v6, s0
	global_load_dword v8, v[5:6], off
.LBB10_23:
	s_or_b32 exec_lo, exec_lo, s1
	v_mov_b32_e32 v2, 0
	v_mov_b32_e32 v5, 0
	s_mov_b32 s1, exec_lo
	v_cmpx_gt_i32_e64 s6, v4
	s_cbranch_execz .LBB10_25
; %bb.24:
	v_add_nc_u32_e32 v5, s4, v4
	v_mov_b32_e32 v6, 0
	v_add_nc_u32_e32 v4, 0x100, v4
	v_lshlrev_b64 v[5:6], 2, v[5:6]
	v_add_co_u32 v5, s0, s10, v5
	v_add_co_ci_u32_e64 v6, null, s11, v6, s0
	global_load_dword v5, v[5:6], off
.LBB10_25:
	s_or_b32 exec_lo, exec_lo, s1
	s_mov_b32 s1, exec_lo
	v_cmpx_gt_i32_e64 s6, v4
	s_cbranch_execz .LBB10_27
; %bb.26:
	v_add_nc_u32_e32 v6, s4, v4
	v_mov_b32_e32 v7, 0
	v_lshlrev_b64 v[6:7], 2, v[6:7]
	v_add_co_u32 v6, s0, s10, v6
	v_add_co_ci_u32_e64 v7, null, s11, v7, s0
	global_load_dword v2, v[6:7], off
.LBB10_27:
	s_or_b32 exec_lo, exec_lo, s1
	v_mov_b32_e32 v4, 0
	v_mov_b32_e32 v9, v4
	;; [unrolled: 1-line block ×4, first 2 shown]
	s_and_saveexec_b32 s3, vcc_lo
	s_cbranch_execz .LBB10_33
; %bb.28:
	s_waitcnt vmcnt(0)
	v_and_b32_e32 v4, 0x7fffffff, v10
                                        ; implicit-def: $vgpr7
                                        ; implicit-def: $vgpr6
	s_mov_b32 s1, exec_lo
	v_cmpx_ngt_f32_e64 0x48000000, |v10|
	s_xor_b32 s5, exec_lo, s1
	s_cbranch_execz .LBB10_30
; %bb.29:
	s_mov_b32 s0, 0x7fffff
	v_mov_b32_e32 v12, 0
	v_and_or_b32 v9, v4, s0, 0x800000
	v_mad_u64_u32 v[6:7], null, 0xfe5163ab, v9, 0
	v_mov_b32_e32 v11, v7
	v_lshrrev_b32_e32 v7, 23, v4
	v_mad_u64_u32 v[13:14], null, 0x3c439041, v9, v[11:12]
	v_add_nc_u32_e32 v7, 0xffffff88, v7
	v_cmp_lt_u32_e64 s0, 63, v7
	v_mov_b32_e32 v11, v14
	v_cndmask_b32_e64 v18, 0, 0xffffffc0, s0
	v_mad_u64_u32 v[14:15], null, 0xdb629599, v9, v[11:12]
	v_add_nc_u32_e32 v7, v18, v7
	v_mov_b32_e32 v11, v15
	v_cmp_lt_u32_e64 s1, 31, v7
	v_cndmask_b32_e64 v6, v14, v6, s0
	v_mad_u64_u32 v[15:16], null, 0xf534ddc0, v9, v[11:12]
	v_cndmask_b32_e64 v19, 0, 0xffffffe0, s1
	v_add_nc_u32_e32 v7, v19, v7
	v_mov_b32_e32 v11, v16
	v_cmp_lt_u32_e64 s2, 31, v7
	v_mad_u64_u32 v[16:17], null, 0xfc2757d1, v9, v[11:12]
	v_mov_b32_e32 v11, v17
	v_mad_u64_u32 v[17:18], null, 0x4e441529, v9, v[11:12]
	v_mov_b32_e32 v11, v18
	v_cndmask_b32_e64 v18, v17, v15, s0
	v_mad_u64_u32 v[11:12], null, 0xa2f9836e, v9, v[11:12]
	v_cndmask_b32_e64 v9, 0, 0xffffffe0, s2
	v_add_nc_u32_e32 v7, v9, v7
	v_cndmask_b32_e64 v11, v11, v16, s0
	v_cndmask_b32_e64 v12, v12, v17, s0
	;; [unrolled: 1-line block ×4, first 2 shown]
	v_sub_nc_u32_e32 v15, 32, v7
	v_cndmask_b32_e64 v13, v11, v18, s1
	v_cndmask_b32_e64 v11, v12, v11, s1
	v_cndmask_b32_e64 v12, v18, v16, s1
	v_cndmask_b32_e64 v16, v16, v9, s1
	v_cmp_eq_u32_e64 s0, 0, v7
	v_cndmask_b32_e64 v6, v9, v6, s1
	v_cndmask_b32_e64 v11, v11, v13, s2
	v_cndmask_b32_e64 v13, v13, v12, s2
	v_cndmask_b32_e64 v12, v12, v16, s2
	v_cndmask_b32_e64 v6, v16, v6, s2
	v_alignbit_b32 v17, v11, v13, v15
	v_alignbit_b32 v14, v13, v12, v15
	;; [unrolled: 1-line block ×3, first 2 shown]
	v_cndmask_b32_e64 v7, v17, v11, s0
	v_cndmask_b32_e64 v9, v14, v13, s0
	;; [unrolled: 1-line block ×3, first 2 shown]
	v_bfe_u32 v11, v7, 29, 1
	v_alignbit_b32 v13, v7, v9, 30
	v_alignbit_b32 v9, v9, v12, 30
	;; [unrolled: 1-line block ×3, first 2 shown]
	v_sub_nc_u32_e32 v14, 0, v11
	v_xor_b32_e32 v13, v13, v14
	v_xor_b32_e32 v9, v9, v14
	;; [unrolled: 1-line block ×3, first 2 shown]
	v_lshrrev_b32_e32 v14, 29, v7
	v_lshrrev_b32_e32 v7, 30, v7
	v_ffbh_u32_e32 v15, v13
	v_add_nc_u32_e32 v7, v11, v7
	v_min_u32_e32 v15, 32, v15
	v_sub_nc_u32_e32 v12, 31, v15
	v_lshlrev_b32_e32 v16, 23, v15
	v_alignbit_b32 v13, v13, v9, v12
	v_alignbit_b32 v6, v9, v6, v12
	v_lshlrev_b32_e32 v9, 31, v14
	v_alignbit_b32 v12, v13, v6, 9
	v_or_b32_e32 v14, 0.5, v9
	v_lshrrev_b32_e32 v13, 9, v13
	v_or_b32_e32 v9, 0x33000000, v9
	v_ffbh_u32_e32 v17, v12
	v_sub_nc_u32_e32 v14, v14, v16
	v_min_u32_e32 v16, 32, v17
	v_or_b32_e32 v13, v13, v14
	v_not_b32_e32 v14, v16
	v_mul_f32_e32 v17, 0x3fc90fda, v13
	v_add_lshl_u32 v15, v16, v15, 23
	v_alignbit_b32 v6, v12, v6, v14
	v_fma_f32 v12, 0x3fc90fda, v13, -v17
	v_sub_nc_u32_e32 v9, v9, v15
	v_lshrrev_b32_e32 v6, 9, v6
	v_fmamk_f32 v12, v13, 0x33a22168, v12
	v_or_b32_e32 v6, v9, v6
	v_fmac_f32_e32 v12, 0x3fc90fda, v6
	v_add_f32_e32 v6, v17, v12
.LBB10_30:
	s_andn2_saveexec_b32 s0, s5
; %bb.31:
	v_mul_f32_e64 v6, 0x3f22f983, |v10|
	v_rndne_f32_e32 v7, v6
	v_fma_f32 v6, 0xbfc90fda, v7, |v10|
	v_fmamk_f32 v6, v7, 0xb3a22168, v6
	v_fmamk_f32 v6, v7, 0xa7c234c4, v6
	v_cvt_i32_f32_e32 v7, v7
; %bb.32:
	s_or_b32 exec_lo, exec_lo, s0
	v_mul_f32_e32 v9, v6, v6
	s_mov_b32 s0, 0xb94c1982
	s_mov_b32 s1, 0x37d75334
	v_and_b32_e32 v13, 1, v7
	v_lshlrev_b32_e32 v7, 30, v7
	v_fmaak_f32 v11, s0, v9, 0x3c0881c4
	v_fmaak_f32 v12, s1, v9, 0xbab64f3b
	v_xor_b32_e32 v4, v4, v10
	v_cmp_eq_u32_e64 s0, 0, v13
	v_and_b32_e32 v7, 0x80000000, v7
	v_fmaak_f32 v11, v9, v11, 0xbe2aaa9d
	v_fmaak_f32 v12, v9, v12, 0x3d2aabf7
	v_mul_f32_e32 v11, v9, v11
	v_fmaak_f32 v12, v9, v12, 0xbf000004
	v_fmac_f32_e32 v6, v6, v11
	v_fma_f32 v9, v9, v12, 1.0
	v_cndmask_b32_e64 v6, v9, v6, s0
	v_mov_b32_e32 v9, 0
	v_cmp_class_f32_e64 s0, v10, 0x1f8
	v_xor3_b32 v4, v4, v7, v6
	v_mov_b32_e32 v7, v9
	v_mov_b32_e32 v6, v9
	v_cndmask_b32_e64 v4, 0x7fc00000, v4, s0
.LBB10_33:
	s_or_b32 exec_lo, exec_lo, s3
	s_mov_b32 s3, exec_lo
	v_cmpx_gt_i32_e64 s6, v3
	s_cbranch_execz .LBB10_39
; %bb.34:
	s_waitcnt vmcnt(0)
	v_and_b32_e32 v9, 0x7fffffff, v8
                                        ; implicit-def: $vgpr11
                                        ; implicit-def: $vgpr10
	s_mov_b32 s1, exec_lo
	v_cmpx_ngt_f32_e64 0x48000000, |v8|
	s_xor_b32 s5, exec_lo, s1
	s_cbranch_execz .LBB10_36
; %bb.35:
	s_mov_b32 s0, 0x7fffff
	v_mov_b32_e32 v12, 0
	v_and_or_b32 v19, v9, s0, 0x800000
	v_lshrrev_b32_e32 v17, 23, v9
	v_mad_u64_u32 v[10:11], null, 0xfe5163ab, v19, 0
	v_add_nc_u32_e32 v18, 0xffffff88, v17
	v_cmp_lt_u32_e64 s0, 63, v18
	v_mad_u64_u32 v[13:14], null, 0x3c439041, v19, v[11:12]
	v_cndmask_b32_e64 v20, 0, 0xffffffc0, s0
	v_mov_b32_e32 v11, v14
	v_add_nc_u32_e32 v20, v20, v18
	v_mad_u64_u32 v[14:15], null, 0xdb629599, v19, v[11:12]
	v_cmp_lt_u32_e64 s1, 31, v20
	v_cndmask_b32_e64 v21, 0, 0xffffffe0, s1
	v_mov_b32_e32 v11, v15
	v_cndmask_b32_e64 v10, v14, v10, s0
	v_mad_u64_u32 v[15:16], null, 0xf534ddc0, v19, v[11:12]
	v_mov_b32_e32 v11, v16
	v_cndmask_b32_e64 v13, v15, v13, s0
	v_mad_u64_u32 v[16:17], null, 0xfc2757d1, v19, v[11:12]
	v_cndmask_b32_e64 v10, v13, v10, s1
	v_mov_b32_e32 v11, v17
	v_mad_u64_u32 v[17:18], null, 0x4e441529, v19, v[11:12]
	v_mov_b32_e32 v11, v18
	v_add_nc_u32_e32 v18, v21, v20
	v_cndmask_b32_e64 v20, v17, v15, s0
	v_mad_u64_u32 v[11:12], null, 0xa2f9836e, v19, v[11:12]
	v_cmp_lt_u32_e64 s2, 31, v18
	v_cndmask_b32_e64 v19, 0, 0xffffffe0, s2
	v_cndmask_b32_e64 v11, v11, v16, s0
	v_cndmask_b32_e64 v12, v12, v17, s0
	v_cndmask_b32_e64 v16, v16, v14, s0
	v_add_nc_u32_e32 v17, v19, v18
	v_cndmask_b32_e64 v15, v11, v20, s1
	v_cndmask_b32_e64 v11, v12, v11, s1
	;; [unrolled: 1-line block ×4, first 2 shown]
	v_sub_nc_u32_e32 v18, 32, v17
	v_cmp_eq_u32_e64 s0, 0, v17
	v_cndmask_b32_e64 v11, v11, v15, s2
	v_cndmask_b32_e64 v15, v15, v12, s2
	;; [unrolled: 1-line block ×4, first 2 shown]
	v_alignbit_b32 v19, v11, v15, v18
	v_alignbit_b32 v14, v15, v12, v18
	v_alignbit_b32 v17, v12, v10, v18
	v_cndmask_b32_e64 v11, v19, v11, s0
	v_cndmask_b32_e64 v13, v14, v15, s0
	;; [unrolled: 1-line block ×3, first 2 shown]
	v_bfe_u32 v14, v11, 29, 1
	v_alignbit_b32 v15, v11, v13, 30
	v_alignbit_b32 v13, v13, v12, 30
	;; [unrolled: 1-line block ×3, first 2 shown]
	v_sub_nc_u32_e32 v16, 0, v14
	v_xor_b32_e32 v15, v15, v16
	v_xor_b32_e32 v12, v13, v16
	;; [unrolled: 1-line block ×3, first 2 shown]
	v_lshrrev_b32_e32 v16, 29, v11
	v_lshrrev_b32_e32 v11, 30, v11
	v_ffbh_u32_e32 v17, v15
	v_add_nc_u32_e32 v11, v14, v11
	v_min_u32_e32 v17, 32, v17
	v_sub_nc_u32_e32 v13, 31, v17
	v_lshlrev_b32_e32 v18, 23, v17
	v_alignbit_b32 v15, v15, v12, v13
	v_alignbit_b32 v10, v12, v10, v13
	v_lshlrev_b32_e32 v12, 31, v16
	v_alignbit_b32 v13, v15, v10, 9
	v_or_b32_e32 v16, 0.5, v12
	v_lshrrev_b32_e32 v15, 9, v15
	v_or_b32_e32 v12, 0x33000000, v12
	v_ffbh_u32_e32 v19, v13
	v_sub_nc_u32_e32 v16, v16, v18
	v_min_u32_e32 v18, 32, v19
	v_or_b32_e32 v15, v15, v16
	v_not_b32_e32 v16, v18
	v_mul_f32_e32 v19, 0x3fc90fda, v15
	v_add_lshl_u32 v17, v18, v17, 23
	v_alignbit_b32 v10, v13, v10, v16
	v_fma_f32 v13, 0x3fc90fda, v15, -v19
	v_sub_nc_u32_e32 v12, v12, v17
	v_lshrrev_b32_e32 v10, 9, v10
	v_fmamk_f32 v13, v15, 0x33a22168, v13
	v_or_b32_e32 v10, v12, v10
	v_fmac_f32_e32 v13, 0x3fc90fda, v10
	v_add_f32_e32 v10, v19, v13
.LBB10_36:
	s_andn2_saveexec_b32 s0, s5
; %bb.37:
	v_mul_f32_e64 v10, 0x3f22f983, |v8|
	v_rndne_f32_e32 v11, v10
	v_fma_f32 v10, 0xbfc90fda, v11, |v8|
	v_fmamk_f32 v10, v11, 0xb3a22168, v10
	v_fmamk_f32 v10, v11, 0xa7c234c4, v10
	v_cvt_i32_f32_e32 v11, v11
; %bb.38:
	s_or_b32 exec_lo, exec_lo, s0
	v_mul_f32_e32 v12, v10, v10
	s_mov_b32 s0, 0xb94c1982
	s_mov_b32 s1, 0x37d75334
	v_and_b32_e32 v15, 1, v11
	v_lshlrev_b32_e32 v11, 30, v11
	v_fmaak_f32 v13, s0, v12, 0x3c0881c4
	v_fmaak_f32 v14, s1, v12, 0xbab64f3b
	v_xor_b32_e32 v9, v9, v8
	v_cmp_eq_u32_e64 s0, 0, v15
	v_and_b32_e32 v11, 0x80000000, v11
	v_fmaak_f32 v13, v12, v13, 0xbe2aaa9d
	v_fmaak_f32 v14, v12, v14, 0x3d2aabf7
	v_mul_f32_e32 v13, v12, v13
	v_fmaak_f32 v14, v12, v14, 0xbf000004
	v_fmac_f32_e32 v10, v10, v13
	v_fma_f32 v12, v12, v14, 1.0
	v_cndmask_b32_e64 v10, v12, v10, s0
	v_cmp_class_f32_e64 s0, v8, 0x1f8
	v_xor3_b32 v9, v9, v11, v10
	v_cndmask_b32_e64 v9, 0x7fc00000, v9, s0
.LBB10_39:
	s_or_b32 exec_lo, exec_lo, s3
	s_waitcnt vmcnt(0)
	v_or_b32_e32 v8, 0x200, v0
	s_mov_b32 s3, exec_lo
	v_cmpx_gt_i32_e64 s6, v8
	s_cbranch_execz .LBB10_45
; %bb.40:
	v_and_b32_e32 v7, 0x7fffffff, v5
                                        ; implicit-def: $vgpr10
                                        ; implicit-def: $vgpr8
	s_mov_b32 s1, exec_lo
	v_cmpx_ngt_f32_e64 0x48000000, |v5|
	s_xor_b32 s5, exec_lo, s1
	s_cbranch_execz .LBB10_42
; %bb.41:
	s_mov_b32 s0, 0x7fffff
	v_mov_b32_e32 v12, 0
	v_and_or_b32 v8, v7, s0, 0x800000
	v_lshrrev_b32_e32 v17, 23, v7
	v_mad_u64_u32 v[10:11], null, 0xfe5163ab, v8, 0
	v_add_nc_u32_e32 v18, 0xffffff88, v17
	v_cmp_lt_u32_e64 s0, 63, v18
	v_mad_u64_u32 v[13:14], null, 0x3c439041, v8, v[11:12]
	v_cndmask_b32_e64 v19, 0, 0xffffffc0, s0
	v_mov_b32_e32 v11, v14
	v_add_nc_u32_e32 v19, v19, v18
	v_mad_u64_u32 v[14:15], null, 0xdb629599, v8, v[11:12]
	v_cmp_lt_u32_e64 s1, 31, v19
	v_cndmask_b32_e64 v20, 0, 0xffffffe0, s1
	v_mov_b32_e32 v11, v15
	v_cndmask_b32_e64 v10, v14, v10, s0
	v_mad_u64_u32 v[15:16], null, 0xf534ddc0, v8, v[11:12]
	v_mov_b32_e32 v11, v16
	v_cndmask_b32_e64 v13, v15, v13, s0
	v_mad_u64_u32 v[16:17], null, 0xfc2757d1, v8, v[11:12]
	v_cndmask_b32_e64 v10, v13, v10, s1
	v_mov_b32_e32 v11, v17
	v_mad_u64_u32 v[17:18], null, 0x4e441529, v8, v[11:12]
	v_mov_b32_e32 v11, v18
	v_add_nc_u32_e32 v18, v20, v19
	v_cndmask_b32_e64 v19, v17, v15, s0
	v_mad_u64_u32 v[11:12], null, 0xa2f9836e, v8, v[11:12]
	v_cmp_lt_u32_e64 s2, 31, v18
	v_cndmask_b32_e64 v8, 0, 0xffffffe0, s2
	v_cndmask_b32_e64 v11, v11, v16, s0
	;; [unrolled: 1-line block ×4, first 2 shown]
	v_add_nc_u32_e32 v8, v8, v18
	v_cndmask_b32_e64 v15, v11, v19, s1
	v_cndmask_b32_e64 v11, v12, v11, s1
	;; [unrolled: 1-line block ×4, first 2 shown]
	v_sub_nc_u32_e32 v17, 32, v8
	v_cmp_eq_u32_e64 s0, 0, v8
	v_cndmask_b32_e64 v11, v11, v15, s2
	v_cndmask_b32_e64 v15, v15, v12, s2
	;; [unrolled: 1-line block ×4, first 2 shown]
	v_alignbit_b32 v18, v11, v15, v17
	v_alignbit_b32 v14, v15, v12, v17
	;; [unrolled: 1-line block ×3, first 2 shown]
	v_cndmask_b32_e64 v8, v18, v11, s0
	v_cndmask_b32_e64 v11, v14, v15, s0
	;; [unrolled: 1-line block ×3, first 2 shown]
	v_bfe_u32 v13, v8, 29, 1
	v_alignbit_b32 v14, v8, v11, 30
	v_alignbit_b32 v11, v11, v12, 30
	;; [unrolled: 1-line block ×3, first 2 shown]
	v_sub_nc_u32_e32 v15, 0, v13
	v_xor_b32_e32 v14, v14, v15
	v_xor_b32_e32 v11, v11, v15
	;; [unrolled: 1-line block ×3, first 2 shown]
	v_lshrrev_b32_e32 v15, 29, v8
	v_ffbh_u32_e32 v16, v14
	v_min_u32_e32 v16, 32, v16
	v_sub_nc_u32_e32 v12, 31, v16
	v_lshlrev_b32_e32 v17, 23, v16
	v_alignbit_b32 v14, v14, v11, v12
	v_alignbit_b32 v10, v11, v10, v12
	v_lshlrev_b32_e32 v11, 31, v15
	v_alignbit_b32 v12, v14, v10, 9
	v_or_b32_e32 v15, 0.5, v11
	v_lshrrev_b32_e32 v14, 9, v14
	v_or_b32_e32 v11, 0x33000000, v11
	v_ffbh_u32_e32 v18, v12
	v_sub_nc_u32_e32 v15, v15, v17
	v_min_u32_e32 v17, 32, v18
	v_or_b32_e32 v14, v14, v15
	v_not_b32_e32 v15, v17
	v_mul_f32_e32 v18, 0x3fc90fda, v14
	v_add_lshl_u32 v16, v17, v16, 23
	v_alignbit_b32 v10, v12, v10, v15
	v_fma_f32 v12, 0x3fc90fda, v14, -v18
	v_sub_nc_u32_e32 v11, v11, v16
	v_lshrrev_b32_e32 v10, 9, v10
	v_fmamk_f32 v12, v14, 0x33a22168, v12
	v_or_b32_e32 v10, v11, v10
	v_fmac_f32_e32 v12, 0x3fc90fda, v10
	v_lshrrev_b32_e32 v10, 30, v8
	v_add_f32_e32 v8, v18, v12
	v_add_nc_u32_e32 v10, v13, v10
.LBB10_42:
	s_andn2_saveexec_b32 s0, s5
; %bb.43:
	v_mul_f32_e64 v8, 0x3f22f983, |v5|
	v_rndne_f32_e32 v10, v8
	v_fma_f32 v8, 0xbfc90fda, v10, |v5|
	v_fmamk_f32 v8, v10, 0xb3a22168, v8
	v_fmamk_f32 v8, v10, 0xa7c234c4, v8
	v_cvt_i32_f32_e32 v10, v10
; %bb.44:
	s_or_b32 exec_lo, exec_lo, s0
	v_mul_f32_e32 v11, v8, v8
	s_mov_b32 s0, 0xb94c1982
	s_mov_b32 s1, 0x37d75334
	v_and_b32_e32 v14, 1, v10
	v_lshlrev_b32_e32 v10, 30, v10
	v_fmaak_f32 v12, s0, v11, 0x3c0881c4
	v_fmaak_f32 v13, s1, v11, 0xbab64f3b
	v_xor_b32_e32 v7, v7, v5
	v_cmp_eq_u32_e64 s0, 0, v14
	v_and_b32_e32 v10, 0x80000000, v10
	v_fmaak_f32 v12, v11, v12, 0xbe2aaa9d
	v_fmaak_f32 v13, v11, v13, 0x3d2aabf7
	v_mul_f32_e32 v12, v11, v12
	v_fmaak_f32 v13, v11, v13, 0xbf000004
	v_fmac_f32_e32 v8, v8, v12
	v_fma_f32 v11, v11, v13, 1.0
	v_cndmask_b32_e64 v8, v11, v8, s0
	v_cmp_class_f32_e64 s0, v5, 0x1f8
	v_xor3_b32 v7, v7, v10, v8
	v_cndmask_b32_e64 v7, 0x7fc00000, v7, s0
.LBB10_45:
	s_or_b32 exec_lo, exec_lo, s3
	v_or_b32_e32 v5, 0x300, v0
	s_mov_b32 s3, exec_lo
	v_cmpx_gt_i32_e64 s6, v5
	s_cbranch_execnz .LBB10_52
; %bb.46:
	s_or_b32 exec_lo, exec_lo, s3
	s_and_saveexec_b32 s0, vcc_lo
	s_xor_b32 s0, exec_lo, s0
	s_cbranch_execnz .LBB10_57
.LBB10_47:
	s_or_b32 exec_lo, exec_lo, s0
	s_mov_b32 s0, exec_lo
	v_cmpx_gt_i32_e64 s6, v0
	s_cbranch_execnz .LBB10_58
.LBB10_48:
	s_or_b32 exec_lo, exec_lo, s0
	s_mov_b32 s0, exec_lo
	v_cmpx_gt_i32_e64 s6, v0
	s_cbranch_execnz .LBB10_59
.LBB10_49:
	s_or_b32 exec_lo, exec_lo, s0
	s_mov_b32 s0, exec_lo
	v_cmpx_gt_i32_e64 s6, v0
	s_cbranch_execz .LBB10_51
.LBB10_50:
	v_add_nc_u32_e32 v0, s4, v0
	v_mov_b32_e32 v1, 0
	v_lshlrev_b64 v[0:1], 2, v[0:1]
	v_add_co_u32 v0, vcc_lo, s8, v0
	v_add_co_ci_u32_e64 v1, null, s9, v1, vcc_lo
	global_store_dword v[0:1], v6, off
.LBB10_51:
	s_endpgm
.LBB10_52:
	v_and_b32_e32 v5, 0x7fffffff, v2
                                        ; implicit-def: $vgpr8
                                        ; implicit-def: $vgpr6
	s_mov_b32 s1, exec_lo
	v_cmpx_ngt_f32_e64 0x48000000, |v2|
	s_xor_b32 s5, exec_lo, s1
	s_cbranch_execz .LBB10_54
; %bb.53:
	s_mov_b32 s0, 0x7fffff
	v_mov_b32_e32 v12, 0
	v_and_or_b32 v6, v5, s0, 0x800000
	v_lshrrev_b32_e32 v8, 23, v5
	v_mad_u64_u32 v[10:11], null, 0xfe5163ab, v6, 0
	v_add_nc_u32_e32 v8, 0xffffff88, v8
	v_cmp_lt_u32_e64 s0, 63, v8
	v_mad_u64_u32 v[13:14], null, 0x3c439041, v6, v[11:12]
	v_cndmask_b32_e64 v18, 0, 0xffffffc0, s0
	v_mov_b32_e32 v11, v14
	v_add_nc_u32_e32 v8, v18, v8
	v_mad_u64_u32 v[14:15], null, 0xdb629599, v6, v[11:12]
	v_cmp_lt_u32_e64 s1, 31, v8
	v_cndmask_b32_e64 v19, 0, 0xffffffe0, s1
	v_mov_b32_e32 v11, v15
	v_cndmask_b32_e64 v10, v14, v10, s0
	v_add_nc_u32_e32 v8, v19, v8
	v_mad_u64_u32 v[15:16], null, 0xf534ddc0, v6, v[11:12]
	v_cmp_lt_u32_e64 s2, 31, v8
	v_mov_b32_e32 v11, v16
	v_mad_u64_u32 v[16:17], null, 0xfc2757d1, v6, v[11:12]
	v_mov_b32_e32 v11, v17
	v_mad_u64_u32 v[17:18], null, 0x4e441529, v6, v[11:12]
	v_mov_b32_e32 v11, v18
	v_cndmask_b32_e64 v18, v17, v15, s0
	v_mad_u64_u32 v[11:12], null, 0xa2f9836e, v6, v[11:12]
	v_cndmask_b32_e64 v6, 0, 0xffffffe0, s2
	v_add_nc_u32_e32 v6, v6, v8
	v_cndmask_b32_e64 v11, v11, v16, s0
	v_cndmask_b32_e64 v12, v12, v17, s0
	;; [unrolled: 1-line block ×4, first 2 shown]
	v_sub_nc_u32_e32 v15, 32, v6
	v_cndmask_b32_e64 v13, v11, v18, s1
	v_cndmask_b32_e64 v11, v12, v11, s1
	;; [unrolled: 1-line block ×4, first 2 shown]
	v_cmp_eq_u32_e64 s0, 0, v6
	v_cndmask_b32_e64 v8, v8, v10, s1
	v_cndmask_b32_e64 v11, v11, v13, s2
	;; [unrolled: 1-line block ×5, first 2 shown]
	v_alignbit_b32 v17, v11, v13, v15
	v_alignbit_b32 v14, v13, v12, v15
	;; [unrolled: 1-line block ×3, first 2 shown]
	v_cndmask_b32_e64 v6, v17, v11, s0
	v_cndmask_b32_e64 v10, v14, v13, s0
	;; [unrolled: 1-line block ×3, first 2 shown]
	v_bfe_u32 v11, v6, 29, 1
	v_alignbit_b32 v13, v6, v10, 30
	v_alignbit_b32 v10, v10, v12, 30
	;; [unrolled: 1-line block ×3, first 2 shown]
	v_sub_nc_u32_e32 v14, 0, v11
	v_xor_b32_e32 v13, v13, v14
	v_xor_b32_e32 v10, v10, v14
	v_xor_b32_e32 v8, v8, v14
	v_lshrrev_b32_e32 v14, 29, v6
	v_ffbh_u32_e32 v15, v13
	v_min_u32_e32 v15, 32, v15
	v_sub_nc_u32_e32 v12, 31, v15
	v_lshlrev_b32_e32 v16, 23, v15
	v_alignbit_b32 v13, v13, v10, v12
	v_alignbit_b32 v8, v10, v8, v12
	v_lshlrev_b32_e32 v10, 31, v14
	v_alignbit_b32 v12, v13, v8, 9
	v_or_b32_e32 v14, 0.5, v10
	v_lshrrev_b32_e32 v13, 9, v13
	v_or_b32_e32 v10, 0x33000000, v10
	v_ffbh_u32_e32 v17, v12
	v_sub_nc_u32_e32 v14, v14, v16
	v_min_u32_e32 v16, 32, v17
	v_or_b32_e32 v13, v13, v14
	v_not_b32_e32 v14, v16
	v_mul_f32_e32 v17, 0x3fc90fda, v13
	v_add_lshl_u32 v15, v16, v15, 23
	v_alignbit_b32 v8, v12, v8, v14
	v_fma_f32 v12, 0x3fc90fda, v13, -v17
	v_sub_nc_u32_e32 v10, v10, v15
	v_lshrrev_b32_e32 v8, 9, v8
	v_fmamk_f32 v12, v13, 0x33a22168, v12
	v_or_b32_e32 v8, v10, v8
	v_fmac_f32_e32 v12, 0x3fc90fda, v8
	v_lshrrev_b32_e32 v8, 30, v6
	v_add_f32_e32 v6, v17, v12
	v_add_nc_u32_e32 v8, v11, v8
.LBB10_54:
	s_andn2_saveexec_b32 s0, s5
; %bb.55:
	v_mul_f32_e64 v6, 0x3f22f983, |v2|
	v_rndne_f32_e32 v8, v6
	v_fma_f32 v6, 0xbfc90fda, v8, |v2|
	v_fmamk_f32 v6, v8, 0xb3a22168, v6
	v_fmamk_f32 v6, v8, 0xa7c234c4, v6
	v_cvt_i32_f32_e32 v8, v8
; %bb.56:
	s_or_b32 exec_lo, exec_lo, s0
	v_mul_f32_e32 v10, v6, v6
	s_mov_b32 s0, 0xb94c1982
	s_mov_b32 s1, 0x37d75334
	v_and_b32_e32 v13, 1, v8
	v_lshlrev_b32_e32 v8, 30, v8
	v_fmaak_f32 v11, s0, v10, 0x3c0881c4
	v_fmaak_f32 v12, s1, v10, 0xbab64f3b
	v_xor_b32_e32 v5, v5, v2
	v_cmp_eq_u32_e64 s0, 0, v13
	v_and_b32_e32 v8, 0x80000000, v8
	v_fmaak_f32 v11, v10, v11, 0xbe2aaa9d
	v_fmaak_f32 v12, v10, v12, 0x3d2aabf7
	v_mul_f32_e32 v11, v10, v11
	v_fmaak_f32 v12, v10, v12, 0xbf000004
	v_fmac_f32_e32 v6, v6, v11
	v_fma_f32 v10, v10, v12, 1.0
	v_cndmask_b32_e64 v6, v10, v6, s0
	v_cmp_class_f32_e64 s0, v2, 0x1f8
	v_xor3_b32 v5, v5, v8, v6
	v_cndmask_b32_e64 v6, 0x7fc00000, v5, s0
	s_or_b32 exec_lo, exec_lo, s3
	s_and_saveexec_b32 s0, vcc_lo
	s_xor_b32 s0, exec_lo, s0
	s_cbranch_execz .LBB10_47
.LBB10_57:
	v_mov_b32_e32 v2, 0
	v_lshlrev_b64 v[0:1], 2, v[1:2]
	v_add_co_u32 v10, vcc_lo, s8, v0
	v_add_co_ci_u32_e64 v11, null, s9, v1, vcc_lo
	v_mov_b32_e32 v0, v3
	global_store_dword v[10:11], v4, off
	s_or_b32 exec_lo, exec_lo, s0
	s_mov_b32 s0, exec_lo
	v_cmpx_gt_i32_e64 s6, v0
	s_cbranch_execz .LBB10_48
.LBB10_58:
	v_add_nc_u32_e32 v1, s4, v0
	v_mov_b32_e32 v2, 0
	v_add_nc_u32_e32 v0, 0x100, v0
	v_lshlrev_b64 v[1:2], 2, v[1:2]
	v_add_co_u32 v1, vcc_lo, s8, v1
	v_add_co_ci_u32_e64 v2, null, s9, v2, vcc_lo
	global_store_dword v[1:2], v9, off
	s_or_b32 exec_lo, exec_lo, s0
	s_mov_b32 s0, exec_lo
	v_cmpx_gt_i32_e64 s6, v0
	s_cbranch_execz .LBB10_49
.LBB10_59:
	v_add_nc_u32_e32 v1, s4, v0
	v_mov_b32_e32 v2, 0
	v_add_nc_u32_e32 v0, 0x100, v0
	v_lshlrev_b64 v[1:2], 2, v[1:2]
	v_add_co_u32 v1, vcc_lo, s8, v1
	v_add_co_ci_u32_e64 v2, null, s9, v2, vcc_lo
	global_store_dword v[1:2], v7, off
	s_or_b32 exec_lo, exec_lo, s0
	s_mov_b32 s0, exec_lo
	v_cmpx_gt_i32_e64 s6, v0
	s_cbranch_execnz .LBB10_50
	s_branch .LBB10_51
	.section	.rodata,"a",@progbits
	.p2align	6, 0x0
	.amdhsa_kernel _ZN2at6native29vectorized_elementwise_kernelILi4EZZZNS0_15sin_kernel_cudaERNS_18TensorIteratorBaseEENKUlvE0_clEvENKUlvE0_clEvEUlfE_St5arrayIPcLm2EEEEviT0_T1_
		.amdhsa_group_segment_fixed_size 0
		.amdhsa_private_segment_fixed_size 0
		.amdhsa_kernarg_size 24
		.amdhsa_user_sgpr_count 6
		.amdhsa_user_sgpr_private_segment_buffer 1
		.amdhsa_user_sgpr_dispatch_ptr 0
		.amdhsa_user_sgpr_queue_ptr 0
		.amdhsa_user_sgpr_kernarg_segment_ptr 1
		.amdhsa_user_sgpr_dispatch_id 0
		.amdhsa_user_sgpr_flat_scratch_init 0
		.amdhsa_user_sgpr_private_segment_size 0
		.amdhsa_wavefront_size32 1
		.amdhsa_uses_dynamic_stack 0
		.amdhsa_system_sgpr_private_segment_wavefront_offset 0
		.amdhsa_system_sgpr_workgroup_id_x 1
		.amdhsa_system_sgpr_workgroup_id_y 0
		.amdhsa_system_sgpr_workgroup_id_z 0
		.amdhsa_system_sgpr_workgroup_info 0
		.amdhsa_system_vgpr_workitem_id 0
		.amdhsa_next_free_vgpr 28
		.amdhsa_next_free_sgpr 12
		.amdhsa_reserve_vcc 1
		.amdhsa_reserve_flat_scratch 0
		.amdhsa_float_round_mode_32 0
		.amdhsa_float_round_mode_16_64 0
		.amdhsa_float_denorm_mode_32 3
		.amdhsa_float_denorm_mode_16_64 3
		.amdhsa_dx10_clamp 1
		.amdhsa_ieee_mode 1
		.amdhsa_fp16_overflow 0
		.amdhsa_workgroup_processor_mode 1
		.amdhsa_memory_ordered 1
		.amdhsa_forward_progress 1
		.amdhsa_shared_vgpr_count 0
		.amdhsa_exception_fp_ieee_invalid_op 0
		.amdhsa_exception_fp_denorm_src 0
		.amdhsa_exception_fp_ieee_div_zero 0
		.amdhsa_exception_fp_ieee_overflow 0
		.amdhsa_exception_fp_ieee_underflow 0
		.amdhsa_exception_fp_ieee_inexact 0
		.amdhsa_exception_int_div_zero 0
	.end_amdhsa_kernel
	.section	.text._ZN2at6native29vectorized_elementwise_kernelILi4EZZZNS0_15sin_kernel_cudaERNS_18TensorIteratorBaseEENKUlvE0_clEvENKUlvE0_clEvEUlfE_St5arrayIPcLm2EEEEviT0_T1_,"axG",@progbits,_ZN2at6native29vectorized_elementwise_kernelILi4EZZZNS0_15sin_kernel_cudaERNS_18TensorIteratorBaseEENKUlvE0_clEvENKUlvE0_clEvEUlfE_St5arrayIPcLm2EEEEviT0_T1_,comdat
.Lfunc_end10:
	.size	_ZN2at6native29vectorized_elementwise_kernelILi4EZZZNS0_15sin_kernel_cudaERNS_18TensorIteratorBaseEENKUlvE0_clEvENKUlvE0_clEvEUlfE_St5arrayIPcLm2EEEEviT0_T1_, .Lfunc_end10-_ZN2at6native29vectorized_elementwise_kernelILi4EZZZNS0_15sin_kernel_cudaERNS_18TensorIteratorBaseEENKUlvE0_clEvENKUlvE0_clEvEUlfE_St5arrayIPcLm2EEEEviT0_T1_
                                        ; -- End function
	.set _ZN2at6native29vectorized_elementwise_kernelILi4EZZZNS0_15sin_kernel_cudaERNS_18TensorIteratorBaseEENKUlvE0_clEvENKUlvE0_clEvEUlfE_St5arrayIPcLm2EEEEviT0_T1_.num_vgpr, 28
	.set _ZN2at6native29vectorized_elementwise_kernelILi4EZZZNS0_15sin_kernel_cudaERNS_18TensorIteratorBaseEENKUlvE0_clEvENKUlvE0_clEvEUlfE_St5arrayIPcLm2EEEEviT0_T1_.num_agpr, 0
	.set _ZN2at6native29vectorized_elementwise_kernelILi4EZZZNS0_15sin_kernel_cudaERNS_18TensorIteratorBaseEENKUlvE0_clEvENKUlvE0_clEvEUlfE_St5arrayIPcLm2EEEEviT0_T1_.numbered_sgpr, 12
	.set _ZN2at6native29vectorized_elementwise_kernelILi4EZZZNS0_15sin_kernel_cudaERNS_18TensorIteratorBaseEENKUlvE0_clEvENKUlvE0_clEvEUlfE_St5arrayIPcLm2EEEEviT0_T1_.num_named_barrier, 0
	.set _ZN2at6native29vectorized_elementwise_kernelILi4EZZZNS0_15sin_kernel_cudaERNS_18TensorIteratorBaseEENKUlvE0_clEvENKUlvE0_clEvEUlfE_St5arrayIPcLm2EEEEviT0_T1_.private_seg_size, 0
	.set _ZN2at6native29vectorized_elementwise_kernelILi4EZZZNS0_15sin_kernel_cudaERNS_18TensorIteratorBaseEENKUlvE0_clEvENKUlvE0_clEvEUlfE_St5arrayIPcLm2EEEEviT0_T1_.uses_vcc, 1
	.set _ZN2at6native29vectorized_elementwise_kernelILi4EZZZNS0_15sin_kernel_cudaERNS_18TensorIteratorBaseEENKUlvE0_clEvENKUlvE0_clEvEUlfE_St5arrayIPcLm2EEEEviT0_T1_.uses_flat_scratch, 0
	.set _ZN2at6native29vectorized_elementwise_kernelILi4EZZZNS0_15sin_kernel_cudaERNS_18TensorIteratorBaseEENKUlvE0_clEvENKUlvE0_clEvEUlfE_St5arrayIPcLm2EEEEviT0_T1_.has_dyn_sized_stack, 0
	.set _ZN2at6native29vectorized_elementwise_kernelILi4EZZZNS0_15sin_kernel_cudaERNS_18TensorIteratorBaseEENKUlvE0_clEvENKUlvE0_clEvEUlfE_St5arrayIPcLm2EEEEviT0_T1_.has_recursion, 0
	.set _ZN2at6native29vectorized_elementwise_kernelILi4EZZZNS0_15sin_kernel_cudaERNS_18TensorIteratorBaseEENKUlvE0_clEvENKUlvE0_clEvEUlfE_St5arrayIPcLm2EEEEviT0_T1_.has_indirect_call, 0
	.section	.AMDGPU.csdata,"",@progbits
; Kernel info:
; codeLenInByte = 7244
; TotalNumSgprs: 14
; NumVgprs: 28
; ScratchSize: 0
; MemoryBound: 0
; FloatMode: 240
; IeeeMode: 1
; LDSByteSize: 0 bytes/workgroup (compile time only)
; SGPRBlocks: 0
; VGPRBlocks: 3
; NumSGPRsForWavesPerEU: 14
; NumVGPRsForWavesPerEU: 28
; Occupancy: 16
; WaveLimiterHint : 0
; COMPUTE_PGM_RSRC2:SCRATCH_EN: 0
; COMPUTE_PGM_RSRC2:USER_SGPR: 6
; COMPUTE_PGM_RSRC2:TRAP_HANDLER: 0
; COMPUTE_PGM_RSRC2:TGID_X_EN: 1
; COMPUTE_PGM_RSRC2:TGID_Y_EN: 0
; COMPUTE_PGM_RSRC2:TGID_Z_EN: 0
; COMPUTE_PGM_RSRC2:TIDIG_COMP_CNT: 0
	.section	.text._ZN2at6native29vectorized_elementwise_kernelILi2EZZZNS0_15sin_kernel_cudaERNS_18TensorIteratorBaseEENKUlvE0_clEvENKUlvE0_clEvEUlfE_St5arrayIPcLm2EEEEviT0_T1_,"axG",@progbits,_ZN2at6native29vectorized_elementwise_kernelILi2EZZZNS0_15sin_kernel_cudaERNS_18TensorIteratorBaseEENKUlvE0_clEvENKUlvE0_clEvEUlfE_St5arrayIPcLm2EEEEviT0_T1_,comdat
	.globl	_ZN2at6native29vectorized_elementwise_kernelILi2EZZZNS0_15sin_kernel_cudaERNS_18TensorIteratorBaseEENKUlvE0_clEvENKUlvE0_clEvEUlfE_St5arrayIPcLm2EEEEviT0_T1_ ; -- Begin function _ZN2at6native29vectorized_elementwise_kernelILi2EZZZNS0_15sin_kernel_cudaERNS_18TensorIteratorBaseEENKUlvE0_clEvENKUlvE0_clEvEUlfE_St5arrayIPcLm2EEEEviT0_T1_
	.p2align	8
	.type	_ZN2at6native29vectorized_elementwise_kernelILi2EZZZNS0_15sin_kernel_cudaERNS_18TensorIteratorBaseEENKUlvE0_clEvENKUlvE0_clEvEUlfE_St5arrayIPcLm2EEEEviT0_T1_,@function
_ZN2at6native29vectorized_elementwise_kernelILi2EZZZNS0_15sin_kernel_cudaERNS_18TensorIteratorBaseEENKUlvE0_clEvENKUlvE0_clEvEUlfE_St5arrayIPcLm2EEEEviT0_T1_: ; @_ZN2at6native29vectorized_elementwise_kernelILi2EZZZNS0_15sin_kernel_cudaERNS_18TensorIteratorBaseEENKUlvE0_clEvENKUlvE0_clEvEUlfE_St5arrayIPcLm2EEEEviT0_T1_
; %bb.0:
	s_clause 0x1
	s_load_dword s0, s[4:5], 0x0
	s_load_dwordx4 s[8:11], s[4:5], 0x8
	s_lshl_b32 s4, s6, 10
	s_waitcnt lgkmcnt(0)
	s_sub_i32 s6, s0, s4
	s_mov_b32 s0, -1
	s_cmpk_gt_i32 s6, 0x3ff
	s_cbranch_scc0 .LBB11_18
; %bb.1:
	s_ashr_i32 s5, s4, 31
	v_lshlrev_b32_e32 v7, 3, v0
	s_lshl_b64 s[2:3], s[4:5], 2
	v_mov_b32_e32 v6, 0
	s_add_u32 s0, s10, s2
	s_addc_u32 s1, s11, s3
	v_add_co_u32 v1, s5, s0, v7
	v_add_co_ci_u32_e64 v2, null, s1, 0, s5
	global_load_dwordx2 v[3:4], v7, s[0:1]
	v_add_co_u32 v1, vcc_lo, 0x800, v1
	v_add_co_ci_u32_e64 v2, null, 0, v2, vcc_lo
                                        ; implicit-def: $vgpr9
                                        ; implicit-def: $vgpr5
	global_load_dwordx2 v[1:2], v[1:2], off
	s_mov_b32 s1, exec_lo
	s_waitcnt vmcnt(1)
	v_and_b32_e32 v8, 0x7fffffff, v3
	v_cmpx_ngt_f32_e64 0x48000000, |v3|
	s_xor_b32 s5, exec_lo, s1
	s_cbranch_execz .LBB11_3
; %bb.2:
	s_mov_b32 s0, 0x7fffff
	v_lshrrev_b32_e32 v14, 23, v8
	v_and_or_b32 v16, v8, s0, 0x800000
	v_add_nc_u32_e32 v15, 0xffffff88, v14
	v_mad_u64_u32 v[9:10], null, 0xfe5163ab, v16, 0
	v_cmp_lt_u32_e32 vcc_lo, 63, v15
	v_mov_b32_e32 v5, v10
	v_cndmask_b32_e64 v17, 0, 0xffffffc0, vcc_lo
	v_mad_u64_u32 v[10:11], null, 0x3c439041, v16, v[5:6]
	v_add_nc_u32_e32 v17, v17, v15
	v_cmp_lt_u32_e64 s0, 31, v17
	v_mov_b32_e32 v5, v11
	v_cndmask_b32_e64 v18, 0, 0xffffffe0, s0
	v_mad_u64_u32 v[11:12], null, 0xdb629599, v16, v[5:6]
	v_mov_b32_e32 v5, v12
	v_cndmask_b32_e32 v9, v11, v9, vcc_lo
	v_mad_u64_u32 v[12:13], null, 0xf534ddc0, v16, v[5:6]
	v_mov_b32_e32 v5, v13
	v_cndmask_b32_e32 v10, v12, v10, vcc_lo
	v_mad_u64_u32 v[13:14], null, 0xfc2757d1, v16, v[5:6]
	v_cndmask_b32_e64 v9, v10, v9, s0
	v_mov_b32_e32 v5, v14
	v_mad_u64_u32 v[14:15], null, 0x4e441529, v16, v[5:6]
	v_mov_b32_e32 v5, v15
	v_add_nc_u32_e32 v15, v18, v17
	v_cndmask_b32_e32 v17, v14, v12, vcc_lo
	v_mad_u64_u32 v[5:6], null, 0xa2f9836e, v16, v[5:6]
	v_cmp_lt_u32_e64 s1, 31, v15
	v_cndmask_b32_e64 v16, 0, 0xffffffe0, s1
	v_cndmask_b32_e32 v5, v5, v13, vcc_lo
	v_cndmask_b32_e32 v6, v6, v14, vcc_lo
	;; [unrolled: 1-line block ×3, first 2 shown]
	v_add_nc_u32_e32 v14, v16, v15
	v_cndmask_b32_e64 v12, v5, v17, s0
	v_cndmask_b32_e64 v5, v6, v5, s0
	;; [unrolled: 1-line block ×4, first 2 shown]
	v_sub_nc_u32_e32 v15, 32, v14
	v_cmp_eq_u32_e32 vcc_lo, 0, v14
	v_cndmask_b32_e64 v5, v5, v12, s1
	v_cndmask_b32_e64 v12, v12, v6, s1
	;; [unrolled: 1-line block ×4, first 2 shown]
	v_alignbit_b32 v16, v5, v12, v15
	v_alignbit_b32 v11, v12, v6, v15
	;; [unrolled: 1-line block ×3, first 2 shown]
	v_cndmask_b32_e32 v5, v16, v5, vcc_lo
	v_cndmask_b32_e32 v10, v11, v12, vcc_lo
	;; [unrolled: 1-line block ×3, first 2 shown]
	v_bfe_u32 v11, v5, 29, 1
	v_alignbit_b32 v12, v5, v10, 30
	v_alignbit_b32 v10, v10, v6, 30
	;; [unrolled: 1-line block ×3, first 2 shown]
	v_sub_nc_u32_e32 v13, 0, v11
	v_xor_b32_e32 v12, v12, v13
	v_xor_b32_e32 v9, v10, v13
	;; [unrolled: 1-line block ×3, first 2 shown]
	v_lshrrev_b32_e32 v13, 29, v5
	v_ffbh_u32_e32 v14, v12
	v_min_u32_e32 v14, 32, v14
	v_sub_nc_u32_e32 v10, 31, v14
	v_lshlrev_b32_e32 v15, 23, v14
	v_alignbit_b32 v12, v12, v9, v10
	v_alignbit_b32 v6, v9, v6, v10
	v_lshlrev_b32_e32 v9, 31, v13
	v_alignbit_b32 v10, v12, v6, 9
	v_or_b32_e32 v13, 0.5, v9
	v_lshrrev_b32_e32 v12, 9, v12
	v_or_b32_e32 v9, 0x33000000, v9
	v_ffbh_u32_e32 v16, v10
	v_sub_nc_u32_e32 v13, v13, v15
	v_min_u32_e32 v15, 32, v16
	v_or_b32_e32 v12, v12, v13
	v_not_b32_e32 v13, v15
	v_mul_f32_e32 v16, 0x3fc90fda, v12
	v_add_lshl_u32 v14, v15, v14, 23
	v_alignbit_b32 v6, v10, v6, v13
	v_fma_f32 v10, 0x3fc90fda, v12, -v16
	v_sub_nc_u32_e32 v9, v9, v14
	v_lshrrev_b32_e32 v6, 9, v6
	v_fmamk_f32 v10, v12, 0x33a22168, v10
	v_or_b32_e32 v6, v9, v6
	v_fmac_f32_e32 v10, 0x3fc90fda, v6
	v_lshrrev_b32_e32 v6, 30, v5
	v_add_f32_e32 v5, v16, v10
	v_add_nc_u32_e32 v9, v11, v6
.LBB11_3:
	s_andn2_saveexec_b32 s0, s5
; %bb.4:
	v_mul_f32_e64 v5, 0x3f22f983, |v3|
	v_rndne_f32_e32 v6, v5
	v_fma_f32 v5, 0xbfc90fda, v6, |v3|
	v_cvt_i32_f32_e32 v9, v6
	v_fmamk_f32 v5, v6, 0xb3a22168, v5
	v_fmamk_f32 v5, v6, 0xa7c234c4, v5
; %bb.5:
	s_or_b32 exec_lo, exec_lo, s0
	v_and_b32_e32 v6, 0x7fffffff, v4
                                        ; implicit-def: $vgpr11
                                        ; implicit-def: $vgpr10
	s_mov_b32 s1, exec_lo
	v_cmpx_ngt_f32_e64 0x48000000, |v4|
	s_xor_b32 s5, exec_lo, s1
	s_cbranch_execz .LBB11_7
; %bb.6:
	s_mov_b32 s0, 0x7fffff
	v_mov_b32_e32 v12, 0
	v_and_or_b32 v19, v6, s0, 0x800000
	v_lshrrev_b32_e32 v17, 23, v6
	v_mad_u64_u32 v[10:11], null, 0xfe5163ab, v19, 0
	v_add_nc_u32_e32 v18, 0xffffff88, v17
	v_cmp_lt_u32_e32 vcc_lo, 63, v18
	v_mad_u64_u32 v[13:14], null, 0x3c439041, v19, v[11:12]
	v_cndmask_b32_e64 v20, 0, 0xffffffc0, vcc_lo
	v_mov_b32_e32 v11, v14
	v_add_nc_u32_e32 v20, v20, v18
	v_mad_u64_u32 v[14:15], null, 0xdb629599, v19, v[11:12]
	v_cmp_lt_u32_e64 s0, 31, v20
	v_cndmask_b32_e64 v21, 0, 0xffffffe0, s0
	v_mov_b32_e32 v11, v15
	v_cndmask_b32_e32 v10, v14, v10, vcc_lo
	v_mad_u64_u32 v[15:16], null, 0xf534ddc0, v19, v[11:12]
	v_mov_b32_e32 v11, v16
	v_cndmask_b32_e32 v13, v15, v13, vcc_lo
	v_mad_u64_u32 v[16:17], null, 0xfc2757d1, v19, v[11:12]
	v_cndmask_b32_e64 v10, v13, v10, s0
	v_mov_b32_e32 v11, v17
	v_mad_u64_u32 v[17:18], null, 0x4e441529, v19, v[11:12]
	v_mov_b32_e32 v11, v18
	v_add_nc_u32_e32 v18, v21, v20
	v_cndmask_b32_e32 v20, v17, v15, vcc_lo
	v_mad_u64_u32 v[11:12], null, 0xa2f9836e, v19, v[11:12]
	v_cmp_lt_u32_e64 s1, 31, v18
	v_cndmask_b32_e64 v19, 0, 0xffffffe0, s1
	v_cndmask_b32_e32 v11, v11, v16, vcc_lo
	v_cndmask_b32_e32 v12, v12, v17, vcc_lo
	;; [unrolled: 1-line block ×3, first 2 shown]
	v_add_nc_u32_e32 v17, v19, v18
	v_cndmask_b32_e64 v15, v11, v20, s0
	v_cndmask_b32_e64 v11, v12, v11, s0
	;; [unrolled: 1-line block ×4, first 2 shown]
	v_sub_nc_u32_e32 v18, 32, v17
	v_cmp_eq_u32_e32 vcc_lo, 0, v17
	v_cndmask_b32_e64 v11, v11, v15, s1
	v_cndmask_b32_e64 v15, v15, v12, s1
	v_cndmask_b32_e64 v12, v12, v16, s1
	v_cndmask_b32_e64 v10, v16, v10, s1
	v_alignbit_b32 v19, v11, v15, v18
	v_alignbit_b32 v14, v15, v12, v18
	;; [unrolled: 1-line block ×3, first 2 shown]
	v_cndmask_b32_e32 v11, v19, v11, vcc_lo
	v_cndmask_b32_e32 v13, v14, v15, vcc_lo
	;; [unrolled: 1-line block ×3, first 2 shown]
	v_bfe_u32 v14, v11, 29, 1
	v_alignbit_b32 v15, v11, v13, 30
	v_alignbit_b32 v13, v13, v12, 30
	;; [unrolled: 1-line block ×3, first 2 shown]
	v_sub_nc_u32_e32 v16, 0, v14
	v_xor_b32_e32 v15, v15, v16
	v_xor_b32_e32 v12, v13, v16
	;; [unrolled: 1-line block ×3, first 2 shown]
	v_lshrrev_b32_e32 v16, 29, v11
	v_lshrrev_b32_e32 v11, 30, v11
	v_ffbh_u32_e32 v17, v15
	v_add_nc_u32_e32 v11, v14, v11
	v_min_u32_e32 v17, 32, v17
	v_sub_nc_u32_e32 v13, 31, v17
	v_lshlrev_b32_e32 v18, 23, v17
	v_alignbit_b32 v15, v15, v12, v13
	v_alignbit_b32 v10, v12, v10, v13
	v_lshlrev_b32_e32 v12, 31, v16
	v_alignbit_b32 v13, v15, v10, 9
	v_or_b32_e32 v16, 0.5, v12
	v_lshrrev_b32_e32 v15, 9, v15
	v_or_b32_e32 v12, 0x33000000, v12
	v_ffbh_u32_e32 v19, v13
	v_sub_nc_u32_e32 v16, v16, v18
	v_min_u32_e32 v18, 32, v19
	v_or_b32_e32 v15, v15, v16
	v_not_b32_e32 v16, v18
	v_mul_f32_e32 v19, 0x3fc90fda, v15
	v_add_lshl_u32 v17, v18, v17, 23
	v_alignbit_b32 v10, v13, v10, v16
	v_fma_f32 v13, 0x3fc90fda, v15, -v19
	v_sub_nc_u32_e32 v12, v12, v17
	v_lshrrev_b32_e32 v10, 9, v10
	v_fmamk_f32 v13, v15, 0x33a22168, v13
	v_or_b32_e32 v10, v12, v10
	v_fmac_f32_e32 v13, 0x3fc90fda, v10
	v_add_f32_e32 v10, v19, v13
.LBB11_7:
	s_andn2_saveexec_b32 s0, s5
; %bb.8:
	v_mul_f32_e64 v10, 0x3f22f983, |v4|
	v_rndne_f32_e32 v11, v10
	v_fma_f32 v10, 0xbfc90fda, v11, |v4|
	v_fmamk_f32 v10, v11, 0xb3a22168, v10
	v_fmamk_f32 v10, v11, 0xa7c234c4, v10
	v_cvt_i32_f32_e32 v11, v11
; %bb.9:
	s_or_b32 exec_lo, exec_lo, s0
	s_waitcnt vmcnt(0)
	v_and_b32_e32 v12, 0x7fffffff, v1
                                        ; implicit-def: $vgpr14
                                        ; implicit-def: $vgpr13
	s_mov_b32 s1, exec_lo
	v_cmpx_ngt_f32_e64 0x48000000, |v1|
	s_xor_b32 s5, exec_lo, s1
	s_cbranch_execz .LBB11_11
; %bb.10:
	s_mov_b32 s0, 0x7fffff
	v_mov_b32_e32 v15, 0
	v_and_or_b32 v22, v12, s0, 0x800000
	v_lshrrev_b32_e32 v20, 23, v12
	v_mad_u64_u32 v[13:14], null, 0xfe5163ab, v22, 0
	v_add_nc_u32_e32 v21, 0xffffff88, v20
	v_cmp_lt_u32_e32 vcc_lo, 63, v21
	v_mad_u64_u32 v[16:17], null, 0x3c439041, v22, v[14:15]
	v_cndmask_b32_e64 v23, 0, 0xffffffc0, vcc_lo
	v_mov_b32_e32 v14, v17
	v_add_nc_u32_e32 v23, v23, v21
	v_mad_u64_u32 v[17:18], null, 0xdb629599, v22, v[14:15]
	v_cmp_lt_u32_e64 s0, 31, v23
	v_cndmask_b32_e64 v24, 0, 0xffffffe0, s0
	v_mov_b32_e32 v14, v18
	v_cndmask_b32_e32 v13, v17, v13, vcc_lo
	v_mad_u64_u32 v[18:19], null, 0xf534ddc0, v22, v[14:15]
	v_mov_b32_e32 v14, v19
	v_cndmask_b32_e32 v16, v18, v16, vcc_lo
	v_mad_u64_u32 v[19:20], null, 0xfc2757d1, v22, v[14:15]
	v_cndmask_b32_e64 v13, v16, v13, s0
	v_mov_b32_e32 v14, v20
	v_mad_u64_u32 v[20:21], null, 0x4e441529, v22, v[14:15]
	v_mov_b32_e32 v14, v21
	v_add_nc_u32_e32 v21, v24, v23
	v_cndmask_b32_e32 v23, v20, v18, vcc_lo
	v_mad_u64_u32 v[14:15], null, 0xa2f9836e, v22, v[14:15]
	v_cmp_lt_u32_e64 s1, 31, v21
	v_cndmask_b32_e64 v22, 0, 0xffffffe0, s1
	v_cndmask_b32_e32 v14, v14, v19, vcc_lo
	v_cndmask_b32_e32 v15, v15, v20, vcc_lo
	;; [unrolled: 1-line block ×3, first 2 shown]
	v_add_nc_u32_e32 v20, v22, v21
	v_cndmask_b32_e64 v18, v14, v23, s0
	v_cndmask_b32_e64 v14, v15, v14, s0
	v_cndmask_b32_e64 v15, v23, v19, s0
	v_cndmask_b32_e64 v19, v19, v16, s0
	v_sub_nc_u32_e32 v21, 32, v20
	v_cmp_eq_u32_e32 vcc_lo, 0, v20
	v_cndmask_b32_e64 v14, v14, v18, s1
	v_cndmask_b32_e64 v18, v18, v15, s1
	;; [unrolled: 1-line block ×4, first 2 shown]
	v_alignbit_b32 v22, v14, v18, v21
	v_alignbit_b32 v17, v18, v15, v21
	;; [unrolled: 1-line block ×3, first 2 shown]
	v_cndmask_b32_e32 v14, v22, v14, vcc_lo
	v_cndmask_b32_e32 v16, v17, v18, vcc_lo
	;; [unrolled: 1-line block ×3, first 2 shown]
	v_bfe_u32 v17, v14, 29, 1
	v_alignbit_b32 v18, v14, v16, 30
	v_alignbit_b32 v16, v16, v15, 30
	;; [unrolled: 1-line block ×3, first 2 shown]
	v_sub_nc_u32_e32 v19, 0, v17
	v_xor_b32_e32 v18, v18, v19
	v_xor_b32_e32 v15, v16, v19
	;; [unrolled: 1-line block ×3, first 2 shown]
	v_lshrrev_b32_e32 v19, 29, v14
	v_lshrrev_b32_e32 v14, 30, v14
	v_ffbh_u32_e32 v20, v18
	v_add_nc_u32_e32 v14, v17, v14
	v_min_u32_e32 v20, 32, v20
	v_sub_nc_u32_e32 v16, 31, v20
	v_lshlrev_b32_e32 v21, 23, v20
	v_alignbit_b32 v18, v18, v15, v16
	v_alignbit_b32 v13, v15, v13, v16
	v_lshlrev_b32_e32 v15, 31, v19
	v_alignbit_b32 v16, v18, v13, 9
	v_or_b32_e32 v19, 0.5, v15
	v_lshrrev_b32_e32 v18, 9, v18
	v_or_b32_e32 v15, 0x33000000, v15
	v_ffbh_u32_e32 v22, v16
	v_sub_nc_u32_e32 v19, v19, v21
	v_min_u32_e32 v21, 32, v22
	v_or_b32_e32 v18, v18, v19
	v_not_b32_e32 v19, v21
	v_mul_f32_e32 v22, 0x3fc90fda, v18
	v_add_lshl_u32 v20, v21, v20, 23
	v_alignbit_b32 v13, v16, v13, v19
	v_fma_f32 v16, 0x3fc90fda, v18, -v22
	v_sub_nc_u32_e32 v15, v15, v20
	v_lshrrev_b32_e32 v13, 9, v13
	v_fmamk_f32 v16, v18, 0x33a22168, v16
	v_or_b32_e32 v13, v15, v13
	v_fmac_f32_e32 v16, 0x3fc90fda, v13
	v_add_f32_e32 v13, v22, v16
.LBB11_11:
	s_andn2_saveexec_b32 s0, s5
; %bb.12:
	v_mul_f32_e64 v13, 0x3f22f983, |v1|
	v_rndne_f32_e32 v14, v13
	v_fma_f32 v13, 0xbfc90fda, v14, |v1|
	v_fmamk_f32 v13, v14, 0xb3a22168, v13
	v_fmamk_f32 v13, v14, 0xa7c234c4, v13
	v_cvt_i32_f32_e32 v14, v14
; %bb.13:
	s_or_b32 exec_lo, exec_lo, s0
	v_and_b32_e32 v15, 0x7fffffff, v2
                                        ; implicit-def: $vgpr17
                                        ; implicit-def: $vgpr16
	s_mov_b32 s1, exec_lo
	v_cmpx_ngt_f32_e64 0x48000000, |v2|
	s_xor_b32 s5, exec_lo, s1
	s_cbranch_execz .LBB11_15
; %bb.14:
	s_mov_b32 s0, 0x7fffff
	v_mov_b32_e32 v18, 0
	v_and_or_b32 v25, v15, s0, 0x800000
	v_lshrrev_b32_e32 v23, 23, v15
	v_mad_u64_u32 v[16:17], null, 0xfe5163ab, v25, 0
	v_add_nc_u32_e32 v24, 0xffffff88, v23
	v_cmp_lt_u32_e32 vcc_lo, 63, v24
	v_mad_u64_u32 v[19:20], null, 0x3c439041, v25, v[17:18]
	v_cndmask_b32_e64 v26, 0, 0xffffffc0, vcc_lo
	v_mov_b32_e32 v17, v20
	v_add_nc_u32_e32 v26, v26, v24
	v_mad_u64_u32 v[20:21], null, 0xdb629599, v25, v[17:18]
	v_cmp_lt_u32_e64 s0, 31, v26
	v_cndmask_b32_e64 v27, 0, 0xffffffe0, s0
	v_mov_b32_e32 v17, v21
	v_cndmask_b32_e32 v16, v20, v16, vcc_lo
	v_mad_u64_u32 v[21:22], null, 0xf534ddc0, v25, v[17:18]
	v_mov_b32_e32 v17, v22
	v_cndmask_b32_e32 v19, v21, v19, vcc_lo
	v_mad_u64_u32 v[22:23], null, 0xfc2757d1, v25, v[17:18]
	v_cndmask_b32_e64 v16, v19, v16, s0
	v_mov_b32_e32 v17, v23
	v_mad_u64_u32 v[23:24], null, 0x4e441529, v25, v[17:18]
	v_mov_b32_e32 v17, v24
	v_add_nc_u32_e32 v24, v27, v26
	v_cndmask_b32_e32 v26, v23, v21, vcc_lo
	v_mad_u64_u32 v[17:18], null, 0xa2f9836e, v25, v[17:18]
	v_cmp_lt_u32_e64 s1, 31, v24
	v_cndmask_b32_e64 v25, 0, 0xffffffe0, s1
	v_cndmask_b32_e32 v17, v17, v22, vcc_lo
	v_cndmask_b32_e32 v18, v18, v23, vcc_lo
	;; [unrolled: 1-line block ×3, first 2 shown]
	v_add_nc_u32_e32 v23, v25, v24
	v_cndmask_b32_e64 v21, v17, v26, s0
	v_cndmask_b32_e64 v17, v18, v17, s0
	;; [unrolled: 1-line block ×4, first 2 shown]
	v_sub_nc_u32_e32 v24, 32, v23
	v_cmp_eq_u32_e32 vcc_lo, 0, v23
	v_cndmask_b32_e64 v17, v17, v21, s1
	v_cndmask_b32_e64 v21, v21, v18, s1
	;; [unrolled: 1-line block ×4, first 2 shown]
	v_alignbit_b32 v25, v17, v21, v24
	v_alignbit_b32 v20, v21, v18, v24
	;; [unrolled: 1-line block ×3, first 2 shown]
	v_cndmask_b32_e32 v17, v25, v17, vcc_lo
	v_cndmask_b32_e32 v19, v20, v21, vcc_lo
	;; [unrolled: 1-line block ×3, first 2 shown]
	v_bfe_u32 v20, v17, 29, 1
	v_alignbit_b32 v21, v17, v19, 30
	v_alignbit_b32 v19, v19, v18, 30
	v_alignbit_b32 v16, v18, v16, 30
	v_sub_nc_u32_e32 v22, 0, v20
	v_xor_b32_e32 v21, v21, v22
	v_xor_b32_e32 v18, v19, v22
	;; [unrolled: 1-line block ×3, first 2 shown]
	v_lshrrev_b32_e32 v22, 29, v17
	v_lshrrev_b32_e32 v17, 30, v17
	v_ffbh_u32_e32 v23, v21
	v_add_nc_u32_e32 v17, v20, v17
	v_min_u32_e32 v23, 32, v23
	v_sub_nc_u32_e32 v19, 31, v23
	v_lshlrev_b32_e32 v24, 23, v23
	v_alignbit_b32 v21, v21, v18, v19
	v_alignbit_b32 v16, v18, v16, v19
	v_lshlrev_b32_e32 v18, 31, v22
	v_alignbit_b32 v19, v21, v16, 9
	v_or_b32_e32 v22, 0.5, v18
	v_lshrrev_b32_e32 v21, 9, v21
	v_or_b32_e32 v18, 0x33000000, v18
	v_ffbh_u32_e32 v25, v19
	v_sub_nc_u32_e32 v22, v22, v24
	v_min_u32_e32 v24, 32, v25
	v_or_b32_e32 v21, v21, v22
	v_not_b32_e32 v22, v24
	v_mul_f32_e32 v25, 0x3fc90fda, v21
	v_add_lshl_u32 v23, v24, v23, 23
	v_alignbit_b32 v16, v19, v16, v22
	v_fma_f32 v19, 0x3fc90fda, v21, -v25
	v_sub_nc_u32_e32 v18, v18, v23
	v_lshrrev_b32_e32 v16, 9, v16
	v_fmamk_f32 v19, v21, 0x33a22168, v19
	v_or_b32_e32 v16, v18, v16
	v_fmac_f32_e32 v19, 0x3fc90fda, v16
	v_add_f32_e32 v16, v25, v19
.LBB11_15:
	s_andn2_saveexec_b32 s0, s5
; %bb.16:
	v_mul_f32_e64 v16, 0x3f22f983, |v2|
	v_rndne_f32_e32 v17, v16
	v_fma_f32 v16, 0xbfc90fda, v17, |v2|
	v_fmamk_f32 v16, v17, 0xb3a22168, v16
	v_fmamk_f32 v16, v17, 0xa7c234c4, v16
	v_cvt_i32_f32_e32 v17, v17
; %bb.17:
	s_or_b32 exec_lo, exec_lo, s0
	v_mul_f32_e32 v18, v5, v5
	s_mov_b32 s0, 0xb94c1982
	s_mov_b32 s1, 0x37d75334
	v_mul_f32_e32 v19, v10, v10
	v_lshlrev_b32_e32 v22, 30, v9
	v_fmaak_f32 v20, s0, v18, 0x3c0881c4
	v_fmaak_f32 v21, s1, v18, 0xbab64f3b
	v_and_b32_e32 v9, 1, v9
	v_fmaak_f32 v23, s0, v19, 0x3c0881c4
	v_fmaak_f32 v24, s1, v19, 0xbab64f3b
	;; [unrolled: 1-line block ×4, first 2 shown]
	v_cmp_eq_u32_e32 vcc_lo, 0, v9
	v_fmaak_f32 v23, v19, v23, 0xbe2aaa9d
	v_fmaak_f32 v24, v19, v24, 0x3d2aabf7
	v_mul_f32_e32 v20, v18, v20
	v_fmaak_f32 v21, v18, v21, 0xbf000004
	v_xor_b32_e32 v8, v8, v3
	v_mul_f32_e32 v23, v19, v23
	v_fmaak_f32 v24, v19, v24, 0xbf000004
	v_fmac_f32_e32 v5, v5, v20
	v_fma_f32 v18, v18, v21, 1.0
	v_lshlrev_b32_e32 v20, 30, v11
	v_and_b32_e32 v11, 1, v11
	v_fmac_f32_e32 v10, v10, v23
	v_fma_f32 v19, v19, v24, 1.0
	v_cndmask_b32_e32 v5, v18, v5, vcc_lo
	v_and_b32_e32 v22, 0x80000000, v22
	v_cmp_eq_u32_e32 vcc_lo, 0, v11
	v_xor_b32_e32 v6, v6, v4
	v_and_b32_e32 v9, 0x80000000, v20
	v_mul_f32_e32 v11, v13, v13
	v_xor3_b32 v5, v8, v22, v5
	v_cndmask_b32_e32 v10, v19, v10, vcc_lo
	v_mul_f32_e32 v8, v16, v16
	v_lshlrev_b32_e32 v19, 30, v14
	v_and_b32_e32 v14, 1, v14
	s_add_u32 s2, s8, s2
	v_xor3_b32 v6, v6, v9, v10
	v_xor_b32_e32 v9, v12, v1
	v_fmaak_f32 v10, s0, v11, 0x3c0881c4
	v_fmaak_f32 v12, s1, v11, 0xbab64f3b
	;; [unrolled: 1-line block ×4, first 2 shown]
	v_cmp_eq_u32_e32 vcc_lo, 0, v14
	v_fmaak_f32 v10, v11, v10, 0xbe2aaa9d
	v_fmaak_f32 v12, v11, v12, 0x3d2aabf7
	v_fmaak_f32 v18, v8, v18, 0xbe2aaa9d
	v_fmaak_f32 v20, v8, v20, 0x3d2aabf7
	v_and_b32_e32 v19, 0x80000000, v19
	v_mul_f32_e32 v10, v11, v10
	v_fmaak_f32 v12, v11, v12, 0xbf000004
	v_mul_f32_e32 v18, v8, v18
	v_fmaak_f32 v20, v8, v20, 0xbf000004
	s_addc_u32 s3, s9, s3
	v_fmac_f32_e32 v13, v13, v10
	v_fma_f32 v10, v11, v12, 1.0
	v_and_b32_e32 v11, 1, v17
	v_fmac_f32_e32 v16, v16, v18
	v_fma_f32 v8, v8, v20, 1.0
	v_lshlrev_b32_e32 v12, 30, v17
	v_cndmask_b32_e32 v10, v10, v13, vcc_lo
	v_cmp_eq_u32_e32 vcc_lo, 0, v11
	v_and_b32_e32 v11, 0x80000000, v12
	v_xor_b32_e32 v12, v15, v2
	v_cndmask_b32_e32 v8, v8, v16, vcc_lo
	v_cmp_class_f32_e64 vcc_lo, v3, 0x1f8
	v_cndmask_b32_e32 v3, 0x7fc00000, v5, vcc_lo
	v_cmp_class_f32_e64 vcc_lo, v4, 0x1f8
	v_xor3_b32 v5, v9, v19, v10
	v_cndmask_b32_e32 v4, 0x7fc00000, v6, vcc_lo
	v_cmp_class_f32_e64 vcc_lo, v1, 0x1f8
	v_xor3_b32 v6, v12, v11, v8
	v_add_co_u32 v8, s0, s2, v7
	v_add_co_ci_u32_e64 v9, null, s3, 0, s0
	v_cndmask_b32_e32 v1, 0x7fc00000, v5, vcc_lo
	v_cmp_class_f32_e64 vcc_lo, v2, 0x1f8
	s_mov_b32 s0, 0
	v_cndmask_b32_e32 v2, 0x7fc00000, v6, vcc_lo
	v_add_co_u32 v5, vcc_lo, 0x800, v8
	v_add_co_ci_u32_e64 v6, null, 0, v9, vcc_lo
	global_store_dwordx2 v7, v[3:4], s[2:3]
	global_store_dwordx2 v[5:6], v[1:2], off
.LBB11_18:
	s_and_b32 vcc_lo, exec_lo, s0
	s_cbranch_vccz .LBB11_51
; %bb.19:
	v_cmp_gt_i32_e32 vcc_lo, s6, v0
	v_mov_b32_e32 v8, 0
	v_or_b32_e32 v1, s4, v0
	v_or_b32_e32 v3, 0x100, v0
	v_mov_b32_e32 v10, 0
	v_mov_b32_e32 v4, v0
	s_and_saveexec_b32 s1, vcc_lo
	s_cbranch_execz .LBB11_21
; %bb.20:
	v_mov_b32_e32 v2, 0
	v_lshlrev_b64 v[4:5], 2, v[1:2]
	v_add_co_u32 v4, s0, s10, v4
	v_add_co_ci_u32_e64 v5, null, s11, v5, s0
	global_load_dword v10, v[4:5], off
	v_or_b32_e32 v4, 0x100, v0
.LBB11_21:
	s_or_b32 exec_lo, exec_lo, s1
	s_mov_b32 s1, exec_lo
	v_cmpx_gt_i32_e64 s6, v4
	s_cbranch_execz .LBB11_23
; %bb.22:
	v_add_nc_u32_e32 v5, s4, v4
	v_mov_b32_e32 v6, 0
	v_add_nc_u32_e32 v4, 0x100, v4
	v_lshlrev_b64 v[5:6], 2, v[5:6]
	v_add_co_u32 v5, s0, s10, v5
	v_add_co_ci_u32_e64 v6, null, s11, v6, s0
	global_load_dword v8, v[5:6], off
.LBB11_23:
	s_or_b32 exec_lo, exec_lo, s1
	v_mov_b32_e32 v2, 0
	v_mov_b32_e32 v5, 0
	s_mov_b32 s1, exec_lo
	v_cmpx_gt_i32_e64 s6, v4
	s_cbranch_execz .LBB11_25
; %bb.24:
	v_add_nc_u32_e32 v5, s4, v4
	v_mov_b32_e32 v6, 0
	v_add_nc_u32_e32 v4, 0x100, v4
	v_lshlrev_b64 v[5:6], 2, v[5:6]
	v_add_co_u32 v5, s0, s10, v5
	v_add_co_ci_u32_e64 v6, null, s11, v6, s0
	global_load_dword v5, v[5:6], off
.LBB11_25:
	s_or_b32 exec_lo, exec_lo, s1
	s_mov_b32 s1, exec_lo
	v_cmpx_gt_i32_e64 s6, v4
	s_cbranch_execz .LBB11_27
; %bb.26:
	v_add_nc_u32_e32 v6, s4, v4
	v_mov_b32_e32 v7, 0
	v_lshlrev_b64 v[6:7], 2, v[6:7]
	v_add_co_u32 v6, s0, s10, v6
	v_add_co_ci_u32_e64 v7, null, s11, v7, s0
	global_load_dword v2, v[6:7], off
.LBB11_27:
	s_or_b32 exec_lo, exec_lo, s1
	v_mov_b32_e32 v4, 0
	v_mov_b32_e32 v9, v4
	;; [unrolled: 1-line block ×4, first 2 shown]
	s_and_saveexec_b32 s3, vcc_lo
	s_cbranch_execz .LBB11_33
; %bb.28:
	s_waitcnt vmcnt(0)
	v_and_b32_e32 v4, 0x7fffffff, v10
                                        ; implicit-def: $vgpr7
                                        ; implicit-def: $vgpr6
	s_mov_b32 s1, exec_lo
	v_cmpx_ngt_f32_e64 0x48000000, |v10|
	s_xor_b32 s5, exec_lo, s1
	s_cbranch_execz .LBB11_30
; %bb.29:
	s_mov_b32 s0, 0x7fffff
	v_mov_b32_e32 v12, 0
	v_and_or_b32 v9, v4, s0, 0x800000
	v_mad_u64_u32 v[6:7], null, 0xfe5163ab, v9, 0
	v_mov_b32_e32 v11, v7
	v_lshrrev_b32_e32 v7, 23, v4
	v_mad_u64_u32 v[13:14], null, 0x3c439041, v9, v[11:12]
	v_add_nc_u32_e32 v7, 0xffffff88, v7
	v_cmp_lt_u32_e64 s0, 63, v7
	v_mov_b32_e32 v11, v14
	v_cndmask_b32_e64 v18, 0, 0xffffffc0, s0
	v_mad_u64_u32 v[14:15], null, 0xdb629599, v9, v[11:12]
	v_add_nc_u32_e32 v7, v18, v7
	v_mov_b32_e32 v11, v15
	v_cmp_lt_u32_e64 s1, 31, v7
	v_cndmask_b32_e64 v6, v14, v6, s0
	v_mad_u64_u32 v[15:16], null, 0xf534ddc0, v9, v[11:12]
	v_cndmask_b32_e64 v19, 0, 0xffffffe0, s1
	v_add_nc_u32_e32 v7, v19, v7
	v_mov_b32_e32 v11, v16
	v_cmp_lt_u32_e64 s2, 31, v7
	v_mad_u64_u32 v[16:17], null, 0xfc2757d1, v9, v[11:12]
	v_mov_b32_e32 v11, v17
	v_mad_u64_u32 v[17:18], null, 0x4e441529, v9, v[11:12]
	v_mov_b32_e32 v11, v18
	v_cndmask_b32_e64 v18, v17, v15, s0
	v_mad_u64_u32 v[11:12], null, 0xa2f9836e, v9, v[11:12]
	v_cndmask_b32_e64 v9, 0, 0xffffffe0, s2
	v_add_nc_u32_e32 v7, v9, v7
	v_cndmask_b32_e64 v11, v11, v16, s0
	v_cndmask_b32_e64 v12, v12, v17, s0
	;; [unrolled: 1-line block ×4, first 2 shown]
	v_sub_nc_u32_e32 v15, 32, v7
	v_cndmask_b32_e64 v13, v11, v18, s1
	v_cndmask_b32_e64 v11, v12, v11, s1
	v_cndmask_b32_e64 v12, v18, v16, s1
	v_cndmask_b32_e64 v16, v16, v9, s1
	v_cmp_eq_u32_e64 s0, 0, v7
	v_cndmask_b32_e64 v6, v9, v6, s1
	v_cndmask_b32_e64 v11, v11, v13, s2
	;; [unrolled: 1-line block ×5, first 2 shown]
	v_alignbit_b32 v17, v11, v13, v15
	v_alignbit_b32 v14, v13, v12, v15
	;; [unrolled: 1-line block ×3, first 2 shown]
	v_cndmask_b32_e64 v7, v17, v11, s0
	v_cndmask_b32_e64 v9, v14, v13, s0
	;; [unrolled: 1-line block ×3, first 2 shown]
	v_bfe_u32 v11, v7, 29, 1
	v_alignbit_b32 v13, v7, v9, 30
	v_alignbit_b32 v9, v9, v12, 30
	;; [unrolled: 1-line block ×3, first 2 shown]
	v_sub_nc_u32_e32 v14, 0, v11
	v_xor_b32_e32 v13, v13, v14
	v_xor_b32_e32 v9, v9, v14
	;; [unrolled: 1-line block ×3, first 2 shown]
	v_lshrrev_b32_e32 v14, 29, v7
	v_lshrrev_b32_e32 v7, 30, v7
	v_ffbh_u32_e32 v15, v13
	v_add_nc_u32_e32 v7, v11, v7
	v_min_u32_e32 v15, 32, v15
	v_sub_nc_u32_e32 v12, 31, v15
	v_lshlrev_b32_e32 v16, 23, v15
	v_alignbit_b32 v13, v13, v9, v12
	v_alignbit_b32 v6, v9, v6, v12
	v_lshlrev_b32_e32 v9, 31, v14
	v_alignbit_b32 v12, v13, v6, 9
	v_or_b32_e32 v14, 0.5, v9
	v_lshrrev_b32_e32 v13, 9, v13
	v_or_b32_e32 v9, 0x33000000, v9
	v_ffbh_u32_e32 v17, v12
	v_sub_nc_u32_e32 v14, v14, v16
	v_min_u32_e32 v16, 32, v17
	v_or_b32_e32 v13, v13, v14
	v_not_b32_e32 v14, v16
	v_mul_f32_e32 v17, 0x3fc90fda, v13
	v_add_lshl_u32 v15, v16, v15, 23
	v_alignbit_b32 v6, v12, v6, v14
	v_fma_f32 v12, 0x3fc90fda, v13, -v17
	v_sub_nc_u32_e32 v9, v9, v15
	v_lshrrev_b32_e32 v6, 9, v6
	v_fmamk_f32 v12, v13, 0x33a22168, v12
	v_or_b32_e32 v6, v9, v6
	v_fmac_f32_e32 v12, 0x3fc90fda, v6
	v_add_f32_e32 v6, v17, v12
.LBB11_30:
	s_andn2_saveexec_b32 s0, s5
; %bb.31:
	v_mul_f32_e64 v6, 0x3f22f983, |v10|
	v_rndne_f32_e32 v7, v6
	v_fma_f32 v6, 0xbfc90fda, v7, |v10|
	v_fmamk_f32 v6, v7, 0xb3a22168, v6
	v_fmamk_f32 v6, v7, 0xa7c234c4, v6
	v_cvt_i32_f32_e32 v7, v7
; %bb.32:
	s_or_b32 exec_lo, exec_lo, s0
	v_mul_f32_e32 v9, v6, v6
	s_mov_b32 s0, 0xb94c1982
	s_mov_b32 s1, 0x37d75334
	v_and_b32_e32 v13, 1, v7
	v_lshlrev_b32_e32 v7, 30, v7
	v_fmaak_f32 v11, s0, v9, 0x3c0881c4
	v_fmaak_f32 v12, s1, v9, 0xbab64f3b
	v_xor_b32_e32 v4, v4, v10
	v_cmp_eq_u32_e64 s0, 0, v13
	v_and_b32_e32 v7, 0x80000000, v7
	v_fmaak_f32 v11, v9, v11, 0xbe2aaa9d
	v_fmaak_f32 v12, v9, v12, 0x3d2aabf7
	v_mul_f32_e32 v11, v9, v11
	v_fmaak_f32 v12, v9, v12, 0xbf000004
	v_fmac_f32_e32 v6, v6, v11
	v_fma_f32 v9, v9, v12, 1.0
	v_cndmask_b32_e64 v6, v9, v6, s0
	v_mov_b32_e32 v9, 0
	v_cmp_class_f32_e64 s0, v10, 0x1f8
	v_xor3_b32 v4, v4, v7, v6
	v_mov_b32_e32 v7, v9
	v_mov_b32_e32 v6, v9
	v_cndmask_b32_e64 v4, 0x7fc00000, v4, s0
.LBB11_33:
	s_or_b32 exec_lo, exec_lo, s3
	s_mov_b32 s3, exec_lo
	v_cmpx_gt_i32_e64 s6, v3
	s_cbranch_execz .LBB11_39
; %bb.34:
	s_waitcnt vmcnt(0)
	v_and_b32_e32 v9, 0x7fffffff, v8
                                        ; implicit-def: $vgpr11
                                        ; implicit-def: $vgpr10
	s_mov_b32 s1, exec_lo
	v_cmpx_ngt_f32_e64 0x48000000, |v8|
	s_xor_b32 s5, exec_lo, s1
	s_cbranch_execz .LBB11_36
; %bb.35:
	s_mov_b32 s0, 0x7fffff
	v_mov_b32_e32 v12, 0
	v_and_or_b32 v19, v9, s0, 0x800000
	v_lshrrev_b32_e32 v17, 23, v9
	v_mad_u64_u32 v[10:11], null, 0xfe5163ab, v19, 0
	v_add_nc_u32_e32 v18, 0xffffff88, v17
	v_cmp_lt_u32_e64 s0, 63, v18
	v_mad_u64_u32 v[13:14], null, 0x3c439041, v19, v[11:12]
	v_cndmask_b32_e64 v20, 0, 0xffffffc0, s0
	v_mov_b32_e32 v11, v14
	v_add_nc_u32_e32 v20, v20, v18
	v_mad_u64_u32 v[14:15], null, 0xdb629599, v19, v[11:12]
	v_cmp_lt_u32_e64 s1, 31, v20
	v_cndmask_b32_e64 v21, 0, 0xffffffe0, s1
	v_mov_b32_e32 v11, v15
	v_cndmask_b32_e64 v10, v14, v10, s0
	v_mad_u64_u32 v[15:16], null, 0xf534ddc0, v19, v[11:12]
	v_mov_b32_e32 v11, v16
	v_cndmask_b32_e64 v13, v15, v13, s0
	v_mad_u64_u32 v[16:17], null, 0xfc2757d1, v19, v[11:12]
	v_cndmask_b32_e64 v10, v13, v10, s1
	v_mov_b32_e32 v11, v17
	v_mad_u64_u32 v[17:18], null, 0x4e441529, v19, v[11:12]
	v_mov_b32_e32 v11, v18
	v_add_nc_u32_e32 v18, v21, v20
	v_cndmask_b32_e64 v20, v17, v15, s0
	v_mad_u64_u32 v[11:12], null, 0xa2f9836e, v19, v[11:12]
	v_cmp_lt_u32_e64 s2, 31, v18
	v_cndmask_b32_e64 v19, 0, 0xffffffe0, s2
	v_cndmask_b32_e64 v11, v11, v16, s0
	;; [unrolled: 1-line block ×4, first 2 shown]
	v_add_nc_u32_e32 v17, v19, v18
	v_cndmask_b32_e64 v15, v11, v20, s1
	v_cndmask_b32_e64 v11, v12, v11, s1
	;; [unrolled: 1-line block ×4, first 2 shown]
	v_sub_nc_u32_e32 v18, 32, v17
	v_cmp_eq_u32_e64 s0, 0, v17
	v_cndmask_b32_e64 v11, v11, v15, s2
	v_cndmask_b32_e64 v15, v15, v12, s2
	;; [unrolled: 1-line block ×4, first 2 shown]
	v_alignbit_b32 v19, v11, v15, v18
	v_alignbit_b32 v14, v15, v12, v18
	;; [unrolled: 1-line block ×3, first 2 shown]
	v_cndmask_b32_e64 v11, v19, v11, s0
	v_cndmask_b32_e64 v13, v14, v15, s0
	;; [unrolled: 1-line block ×3, first 2 shown]
	v_bfe_u32 v14, v11, 29, 1
	v_alignbit_b32 v15, v11, v13, 30
	v_alignbit_b32 v13, v13, v12, 30
	;; [unrolled: 1-line block ×3, first 2 shown]
	v_sub_nc_u32_e32 v16, 0, v14
	v_xor_b32_e32 v15, v15, v16
	v_xor_b32_e32 v12, v13, v16
	;; [unrolled: 1-line block ×3, first 2 shown]
	v_lshrrev_b32_e32 v16, 29, v11
	v_lshrrev_b32_e32 v11, 30, v11
	v_ffbh_u32_e32 v17, v15
	v_add_nc_u32_e32 v11, v14, v11
	v_min_u32_e32 v17, 32, v17
	v_sub_nc_u32_e32 v13, 31, v17
	v_lshlrev_b32_e32 v18, 23, v17
	v_alignbit_b32 v15, v15, v12, v13
	v_alignbit_b32 v10, v12, v10, v13
	v_lshlrev_b32_e32 v12, 31, v16
	v_alignbit_b32 v13, v15, v10, 9
	v_or_b32_e32 v16, 0.5, v12
	v_lshrrev_b32_e32 v15, 9, v15
	v_or_b32_e32 v12, 0x33000000, v12
	v_ffbh_u32_e32 v19, v13
	v_sub_nc_u32_e32 v16, v16, v18
	v_min_u32_e32 v18, 32, v19
	v_or_b32_e32 v15, v15, v16
	v_not_b32_e32 v16, v18
	v_mul_f32_e32 v19, 0x3fc90fda, v15
	v_add_lshl_u32 v17, v18, v17, 23
	v_alignbit_b32 v10, v13, v10, v16
	v_fma_f32 v13, 0x3fc90fda, v15, -v19
	v_sub_nc_u32_e32 v12, v12, v17
	v_lshrrev_b32_e32 v10, 9, v10
	v_fmamk_f32 v13, v15, 0x33a22168, v13
	v_or_b32_e32 v10, v12, v10
	v_fmac_f32_e32 v13, 0x3fc90fda, v10
	v_add_f32_e32 v10, v19, v13
.LBB11_36:
	s_andn2_saveexec_b32 s0, s5
; %bb.37:
	v_mul_f32_e64 v10, 0x3f22f983, |v8|
	v_rndne_f32_e32 v11, v10
	v_fma_f32 v10, 0xbfc90fda, v11, |v8|
	v_fmamk_f32 v10, v11, 0xb3a22168, v10
	v_fmamk_f32 v10, v11, 0xa7c234c4, v10
	v_cvt_i32_f32_e32 v11, v11
; %bb.38:
	s_or_b32 exec_lo, exec_lo, s0
	v_mul_f32_e32 v12, v10, v10
	s_mov_b32 s0, 0xb94c1982
	s_mov_b32 s1, 0x37d75334
	v_and_b32_e32 v15, 1, v11
	v_lshlrev_b32_e32 v11, 30, v11
	v_fmaak_f32 v13, s0, v12, 0x3c0881c4
	v_fmaak_f32 v14, s1, v12, 0xbab64f3b
	v_xor_b32_e32 v9, v9, v8
	v_cmp_eq_u32_e64 s0, 0, v15
	v_and_b32_e32 v11, 0x80000000, v11
	v_fmaak_f32 v13, v12, v13, 0xbe2aaa9d
	v_fmaak_f32 v14, v12, v14, 0x3d2aabf7
	v_mul_f32_e32 v13, v12, v13
	v_fmaak_f32 v14, v12, v14, 0xbf000004
	v_fmac_f32_e32 v10, v10, v13
	v_fma_f32 v12, v12, v14, 1.0
	v_cndmask_b32_e64 v10, v12, v10, s0
	v_cmp_class_f32_e64 s0, v8, 0x1f8
	v_xor3_b32 v9, v9, v11, v10
	v_cndmask_b32_e64 v9, 0x7fc00000, v9, s0
.LBB11_39:
	s_or_b32 exec_lo, exec_lo, s3
	s_waitcnt vmcnt(0)
	v_or_b32_e32 v8, 0x200, v0
	s_mov_b32 s3, exec_lo
	v_cmpx_gt_i32_e64 s6, v8
	s_cbranch_execz .LBB11_45
; %bb.40:
	v_and_b32_e32 v7, 0x7fffffff, v5
                                        ; implicit-def: $vgpr10
                                        ; implicit-def: $vgpr8
	s_mov_b32 s1, exec_lo
	v_cmpx_ngt_f32_e64 0x48000000, |v5|
	s_xor_b32 s5, exec_lo, s1
	s_cbranch_execz .LBB11_42
; %bb.41:
	s_mov_b32 s0, 0x7fffff
	v_mov_b32_e32 v12, 0
	v_and_or_b32 v8, v7, s0, 0x800000
	v_lshrrev_b32_e32 v17, 23, v7
	v_mad_u64_u32 v[10:11], null, 0xfe5163ab, v8, 0
	v_add_nc_u32_e32 v18, 0xffffff88, v17
	v_cmp_lt_u32_e64 s0, 63, v18
	v_mad_u64_u32 v[13:14], null, 0x3c439041, v8, v[11:12]
	v_cndmask_b32_e64 v19, 0, 0xffffffc0, s0
	v_mov_b32_e32 v11, v14
	v_add_nc_u32_e32 v19, v19, v18
	v_mad_u64_u32 v[14:15], null, 0xdb629599, v8, v[11:12]
	v_cmp_lt_u32_e64 s1, 31, v19
	v_cndmask_b32_e64 v20, 0, 0xffffffe0, s1
	v_mov_b32_e32 v11, v15
	v_cndmask_b32_e64 v10, v14, v10, s0
	v_mad_u64_u32 v[15:16], null, 0xf534ddc0, v8, v[11:12]
	v_mov_b32_e32 v11, v16
	v_cndmask_b32_e64 v13, v15, v13, s0
	v_mad_u64_u32 v[16:17], null, 0xfc2757d1, v8, v[11:12]
	v_cndmask_b32_e64 v10, v13, v10, s1
	v_mov_b32_e32 v11, v17
	v_mad_u64_u32 v[17:18], null, 0x4e441529, v8, v[11:12]
	v_mov_b32_e32 v11, v18
	v_add_nc_u32_e32 v18, v20, v19
	v_cndmask_b32_e64 v19, v17, v15, s0
	v_mad_u64_u32 v[11:12], null, 0xa2f9836e, v8, v[11:12]
	v_cmp_lt_u32_e64 s2, 31, v18
	v_cndmask_b32_e64 v8, 0, 0xffffffe0, s2
	v_cndmask_b32_e64 v11, v11, v16, s0
	;; [unrolled: 1-line block ×4, first 2 shown]
	v_add_nc_u32_e32 v8, v8, v18
	v_cndmask_b32_e64 v15, v11, v19, s1
	v_cndmask_b32_e64 v11, v12, v11, s1
	;; [unrolled: 1-line block ×4, first 2 shown]
	v_sub_nc_u32_e32 v17, 32, v8
	v_cmp_eq_u32_e64 s0, 0, v8
	v_cndmask_b32_e64 v11, v11, v15, s2
	v_cndmask_b32_e64 v15, v15, v12, s2
	;; [unrolled: 1-line block ×4, first 2 shown]
	v_alignbit_b32 v18, v11, v15, v17
	v_alignbit_b32 v14, v15, v12, v17
	;; [unrolled: 1-line block ×3, first 2 shown]
	v_cndmask_b32_e64 v8, v18, v11, s0
	v_cndmask_b32_e64 v11, v14, v15, s0
	;; [unrolled: 1-line block ×3, first 2 shown]
	v_bfe_u32 v13, v8, 29, 1
	v_alignbit_b32 v14, v8, v11, 30
	v_alignbit_b32 v11, v11, v12, 30
	;; [unrolled: 1-line block ×3, first 2 shown]
	v_sub_nc_u32_e32 v15, 0, v13
	v_xor_b32_e32 v14, v14, v15
	v_xor_b32_e32 v11, v11, v15
	;; [unrolled: 1-line block ×3, first 2 shown]
	v_lshrrev_b32_e32 v15, 29, v8
	v_ffbh_u32_e32 v16, v14
	v_min_u32_e32 v16, 32, v16
	v_sub_nc_u32_e32 v12, 31, v16
	v_lshlrev_b32_e32 v17, 23, v16
	v_alignbit_b32 v14, v14, v11, v12
	v_alignbit_b32 v10, v11, v10, v12
	v_lshlrev_b32_e32 v11, 31, v15
	v_alignbit_b32 v12, v14, v10, 9
	v_or_b32_e32 v15, 0.5, v11
	v_lshrrev_b32_e32 v14, 9, v14
	v_or_b32_e32 v11, 0x33000000, v11
	v_ffbh_u32_e32 v18, v12
	v_sub_nc_u32_e32 v15, v15, v17
	v_min_u32_e32 v17, 32, v18
	v_or_b32_e32 v14, v14, v15
	v_not_b32_e32 v15, v17
	v_mul_f32_e32 v18, 0x3fc90fda, v14
	v_add_lshl_u32 v16, v17, v16, 23
	v_alignbit_b32 v10, v12, v10, v15
	v_fma_f32 v12, 0x3fc90fda, v14, -v18
	v_sub_nc_u32_e32 v11, v11, v16
	v_lshrrev_b32_e32 v10, 9, v10
	v_fmamk_f32 v12, v14, 0x33a22168, v12
	v_or_b32_e32 v10, v11, v10
	v_fmac_f32_e32 v12, 0x3fc90fda, v10
	v_lshrrev_b32_e32 v10, 30, v8
	v_add_f32_e32 v8, v18, v12
	v_add_nc_u32_e32 v10, v13, v10
.LBB11_42:
	s_andn2_saveexec_b32 s0, s5
; %bb.43:
	v_mul_f32_e64 v8, 0x3f22f983, |v5|
	v_rndne_f32_e32 v10, v8
	v_fma_f32 v8, 0xbfc90fda, v10, |v5|
	v_fmamk_f32 v8, v10, 0xb3a22168, v8
	v_fmamk_f32 v8, v10, 0xa7c234c4, v8
	v_cvt_i32_f32_e32 v10, v10
; %bb.44:
	s_or_b32 exec_lo, exec_lo, s0
	v_mul_f32_e32 v11, v8, v8
	s_mov_b32 s0, 0xb94c1982
	s_mov_b32 s1, 0x37d75334
	v_and_b32_e32 v14, 1, v10
	v_lshlrev_b32_e32 v10, 30, v10
	v_fmaak_f32 v12, s0, v11, 0x3c0881c4
	v_fmaak_f32 v13, s1, v11, 0xbab64f3b
	v_xor_b32_e32 v7, v7, v5
	v_cmp_eq_u32_e64 s0, 0, v14
	v_and_b32_e32 v10, 0x80000000, v10
	v_fmaak_f32 v12, v11, v12, 0xbe2aaa9d
	v_fmaak_f32 v13, v11, v13, 0x3d2aabf7
	v_mul_f32_e32 v12, v11, v12
	v_fmaak_f32 v13, v11, v13, 0xbf000004
	v_fmac_f32_e32 v8, v8, v12
	v_fma_f32 v11, v11, v13, 1.0
	v_cndmask_b32_e64 v8, v11, v8, s0
	v_cmp_class_f32_e64 s0, v5, 0x1f8
	v_xor3_b32 v7, v7, v10, v8
	v_cndmask_b32_e64 v7, 0x7fc00000, v7, s0
.LBB11_45:
	s_or_b32 exec_lo, exec_lo, s3
	v_or_b32_e32 v5, 0x300, v0
	s_mov_b32 s3, exec_lo
	v_cmpx_gt_i32_e64 s6, v5
	s_cbranch_execnz .LBB11_52
; %bb.46:
	s_or_b32 exec_lo, exec_lo, s3
	s_and_saveexec_b32 s0, vcc_lo
	s_xor_b32 s0, exec_lo, s0
	s_cbranch_execnz .LBB11_57
.LBB11_47:
	s_or_b32 exec_lo, exec_lo, s0
	s_mov_b32 s0, exec_lo
	v_cmpx_gt_i32_e64 s6, v0
	s_cbranch_execnz .LBB11_58
.LBB11_48:
	s_or_b32 exec_lo, exec_lo, s0
	s_mov_b32 s0, exec_lo
	v_cmpx_gt_i32_e64 s6, v0
	s_cbranch_execnz .LBB11_59
.LBB11_49:
	s_or_b32 exec_lo, exec_lo, s0
	s_mov_b32 s0, exec_lo
	v_cmpx_gt_i32_e64 s6, v0
	s_cbranch_execz .LBB11_51
.LBB11_50:
	v_add_nc_u32_e32 v0, s4, v0
	v_mov_b32_e32 v1, 0
	v_lshlrev_b64 v[0:1], 2, v[0:1]
	v_add_co_u32 v0, vcc_lo, s8, v0
	v_add_co_ci_u32_e64 v1, null, s9, v1, vcc_lo
	global_store_dword v[0:1], v6, off
.LBB11_51:
	s_endpgm
.LBB11_52:
	v_and_b32_e32 v5, 0x7fffffff, v2
                                        ; implicit-def: $vgpr8
                                        ; implicit-def: $vgpr6
	s_mov_b32 s1, exec_lo
	v_cmpx_ngt_f32_e64 0x48000000, |v2|
	s_xor_b32 s5, exec_lo, s1
	s_cbranch_execz .LBB11_54
; %bb.53:
	s_mov_b32 s0, 0x7fffff
	v_mov_b32_e32 v12, 0
	v_and_or_b32 v6, v5, s0, 0x800000
	v_lshrrev_b32_e32 v8, 23, v5
	v_mad_u64_u32 v[10:11], null, 0xfe5163ab, v6, 0
	v_add_nc_u32_e32 v8, 0xffffff88, v8
	v_cmp_lt_u32_e64 s0, 63, v8
	v_mad_u64_u32 v[13:14], null, 0x3c439041, v6, v[11:12]
	v_cndmask_b32_e64 v18, 0, 0xffffffc0, s0
	v_mov_b32_e32 v11, v14
	v_add_nc_u32_e32 v8, v18, v8
	v_mad_u64_u32 v[14:15], null, 0xdb629599, v6, v[11:12]
	v_cmp_lt_u32_e64 s1, 31, v8
	v_cndmask_b32_e64 v19, 0, 0xffffffe0, s1
	v_mov_b32_e32 v11, v15
	v_cndmask_b32_e64 v10, v14, v10, s0
	v_add_nc_u32_e32 v8, v19, v8
	v_mad_u64_u32 v[15:16], null, 0xf534ddc0, v6, v[11:12]
	v_cmp_lt_u32_e64 s2, 31, v8
	v_mov_b32_e32 v11, v16
	v_mad_u64_u32 v[16:17], null, 0xfc2757d1, v6, v[11:12]
	v_mov_b32_e32 v11, v17
	v_mad_u64_u32 v[17:18], null, 0x4e441529, v6, v[11:12]
	v_mov_b32_e32 v11, v18
	v_cndmask_b32_e64 v18, v17, v15, s0
	v_mad_u64_u32 v[11:12], null, 0xa2f9836e, v6, v[11:12]
	v_cndmask_b32_e64 v6, 0, 0xffffffe0, s2
	v_add_nc_u32_e32 v6, v6, v8
	v_cndmask_b32_e64 v11, v11, v16, s0
	v_cndmask_b32_e64 v12, v12, v17, s0
	;; [unrolled: 1-line block ×4, first 2 shown]
	v_sub_nc_u32_e32 v15, 32, v6
	v_cndmask_b32_e64 v13, v11, v18, s1
	v_cndmask_b32_e64 v11, v12, v11, s1
	;; [unrolled: 1-line block ×4, first 2 shown]
	v_cmp_eq_u32_e64 s0, 0, v6
	v_cndmask_b32_e64 v8, v8, v10, s1
	v_cndmask_b32_e64 v11, v11, v13, s2
	;; [unrolled: 1-line block ×5, first 2 shown]
	v_alignbit_b32 v17, v11, v13, v15
	v_alignbit_b32 v14, v13, v12, v15
	;; [unrolled: 1-line block ×3, first 2 shown]
	v_cndmask_b32_e64 v6, v17, v11, s0
	v_cndmask_b32_e64 v10, v14, v13, s0
	;; [unrolled: 1-line block ×3, first 2 shown]
	v_bfe_u32 v11, v6, 29, 1
	v_alignbit_b32 v13, v6, v10, 30
	v_alignbit_b32 v10, v10, v12, 30
	;; [unrolled: 1-line block ×3, first 2 shown]
	v_sub_nc_u32_e32 v14, 0, v11
	v_xor_b32_e32 v13, v13, v14
	v_xor_b32_e32 v10, v10, v14
	;; [unrolled: 1-line block ×3, first 2 shown]
	v_lshrrev_b32_e32 v14, 29, v6
	v_ffbh_u32_e32 v15, v13
	v_min_u32_e32 v15, 32, v15
	v_sub_nc_u32_e32 v12, 31, v15
	v_lshlrev_b32_e32 v16, 23, v15
	v_alignbit_b32 v13, v13, v10, v12
	v_alignbit_b32 v8, v10, v8, v12
	v_lshlrev_b32_e32 v10, 31, v14
	v_alignbit_b32 v12, v13, v8, 9
	v_or_b32_e32 v14, 0.5, v10
	v_lshrrev_b32_e32 v13, 9, v13
	v_or_b32_e32 v10, 0x33000000, v10
	v_ffbh_u32_e32 v17, v12
	v_sub_nc_u32_e32 v14, v14, v16
	v_min_u32_e32 v16, 32, v17
	v_or_b32_e32 v13, v13, v14
	v_not_b32_e32 v14, v16
	v_mul_f32_e32 v17, 0x3fc90fda, v13
	v_add_lshl_u32 v15, v16, v15, 23
	v_alignbit_b32 v8, v12, v8, v14
	v_fma_f32 v12, 0x3fc90fda, v13, -v17
	v_sub_nc_u32_e32 v10, v10, v15
	v_lshrrev_b32_e32 v8, 9, v8
	v_fmamk_f32 v12, v13, 0x33a22168, v12
	v_or_b32_e32 v8, v10, v8
	v_fmac_f32_e32 v12, 0x3fc90fda, v8
	v_lshrrev_b32_e32 v8, 30, v6
	v_add_f32_e32 v6, v17, v12
	v_add_nc_u32_e32 v8, v11, v8
.LBB11_54:
	s_andn2_saveexec_b32 s0, s5
; %bb.55:
	v_mul_f32_e64 v6, 0x3f22f983, |v2|
	v_rndne_f32_e32 v8, v6
	v_fma_f32 v6, 0xbfc90fda, v8, |v2|
	v_fmamk_f32 v6, v8, 0xb3a22168, v6
	v_fmamk_f32 v6, v8, 0xa7c234c4, v6
	v_cvt_i32_f32_e32 v8, v8
; %bb.56:
	s_or_b32 exec_lo, exec_lo, s0
	v_mul_f32_e32 v10, v6, v6
	s_mov_b32 s0, 0xb94c1982
	s_mov_b32 s1, 0x37d75334
	v_and_b32_e32 v13, 1, v8
	v_lshlrev_b32_e32 v8, 30, v8
	v_fmaak_f32 v11, s0, v10, 0x3c0881c4
	v_fmaak_f32 v12, s1, v10, 0xbab64f3b
	v_xor_b32_e32 v5, v5, v2
	v_cmp_eq_u32_e64 s0, 0, v13
	v_and_b32_e32 v8, 0x80000000, v8
	v_fmaak_f32 v11, v10, v11, 0xbe2aaa9d
	v_fmaak_f32 v12, v10, v12, 0x3d2aabf7
	v_mul_f32_e32 v11, v10, v11
	v_fmaak_f32 v12, v10, v12, 0xbf000004
	v_fmac_f32_e32 v6, v6, v11
	v_fma_f32 v10, v10, v12, 1.0
	v_cndmask_b32_e64 v6, v10, v6, s0
	v_cmp_class_f32_e64 s0, v2, 0x1f8
	v_xor3_b32 v5, v5, v8, v6
	v_cndmask_b32_e64 v6, 0x7fc00000, v5, s0
	s_or_b32 exec_lo, exec_lo, s3
	s_and_saveexec_b32 s0, vcc_lo
	s_xor_b32 s0, exec_lo, s0
	s_cbranch_execz .LBB11_47
.LBB11_57:
	v_mov_b32_e32 v2, 0
	v_lshlrev_b64 v[0:1], 2, v[1:2]
	v_add_co_u32 v10, vcc_lo, s8, v0
	v_add_co_ci_u32_e64 v11, null, s9, v1, vcc_lo
	v_mov_b32_e32 v0, v3
	global_store_dword v[10:11], v4, off
	s_or_b32 exec_lo, exec_lo, s0
	s_mov_b32 s0, exec_lo
	v_cmpx_gt_i32_e64 s6, v0
	s_cbranch_execz .LBB11_48
.LBB11_58:
	v_add_nc_u32_e32 v1, s4, v0
	v_mov_b32_e32 v2, 0
	v_add_nc_u32_e32 v0, 0x100, v0
	v_lshlrev_b64 v[1:2], 2, v[1:2]
	v_add_co_u32 v1, vcc_lo, s8, v1
	v_add_co_ci_u32_e64 v2, null, s9, v2, vcc_lo
	global_store_dword v[1:2], v9, off
	s_or_b32 exec_lo, exec_lo, s0
	s_mov_b32 s0, exec_lo
	v_cmpx_gt_i32_e64 s6, v0
	s_cbranch_execz .LBB11_49
.LBB11_59:
	v_add_nc_u32_e32 v1, s4, v0
	v_mov_b32_e32 v2, 0
	v_add_nc_u32_e32 v0, 0x100, v0
	v_lshlrev_b64 v[1:2], 2, v[1:2]
	v_add_co_u32 v1, vcc_lo, s8, v1
	v_add_co_ci_u32_e64 v2, null, s9, v2, vcc_lo
	global_store_dword v[1:2], v7, off
	s_or_b32 exec_lo, exec_lo, s0
	s_mov_b32 s0, exec_lo
	v_cmpx_gt_i32_e64 s6, v0
	s_cbranch_execnz .LBB11_50
	s_branch .LBB11_51
	.section	.rodata,"a",@progbits
	.p2align	6, 0x0
	.amdhsa_kernel _ZN2at6native29vectorized_elementwise_kernelILi2EZZZNS0_15sin_kernel_cudaERNS_18TensorIteratorBaseEENKUlvE0_clEvENKUlvE0_clEvEUlfE_St5arrayIPcLm2EEEEviT0_T1_
		.amdhsa_group_segment_fixed_size 0
		.amdhsa_private_segment_fixed_size 0
		.amdhsa_kernarg_size 24
		.amdhsa_user_sgpr_count 6
		.amdhsa_user_sgpr_private_segment_buffer 1
		.amdhsa_user_sgpr_dispatch_ptr 0
		.amdhsa_user_sgpr_queue_ptr 0
		.amdhsa_user_sgpr_kernarg_segment_ptr 1
		.amdhsa_user_sgpr_dispatch_id 0
		.amdhsa_user_sgpr_flat_scratch_init 0
		.amdhsa_user_sgpr_private_segment_size 0
		.amdhsa_wavefront_size32 1
		.amdhsa_uses_dynamic_stack 0
		.amdhsa_system_sgpr_private_segment_wavefront_offset 0
		.amdhsa_system_sgpr_workgroup_id_x 1
		.amdhsa_system_sgpr_workgroup_id_y 0
		.amdhsa_system_sgpr_workgroup_id_z 0
		.amdhsa_system_sgpr_workgroup_info 0
		.amdhsa_system_vgpr_workitem_id 0
		.amdhsa_next_free_vgpr 28
		.amdhsa_next_free_sgpr 12
		.amdhsa_reserve_vcc 1
		.amdhsa_reserve_flat_scratch 0
		.amdhsa_float_round_mode_32 0
		.amdhsa_float_round_mode_16_64 0
		.amdhsa_float_denorm_mode_32 3
		.amdhsa_float_denorm_mode_16_64 3
		.amdhsa_dx10_clamp 1
		.amdhsa_ieee_mode 1
		.amdhsa_fp16_overflow 0
		.amdhsa_workgroup_processor_mode 1
		.amdhsa_memory_ordered 1
		.amdhsa_forward_progress 1
		.amdhsa_shared_vgpr_count 0
		.amdhsa_exception_fp_ieee_invalid_op 0
		.amdhsa_exception_fp_denorm_src 0
		.amdhsa_exception_fp_ieee_div_zero 0
		.amdhsa_exception_fp_ieee_overflow 0
		.amdhsa_exception_fp_ieee_underflow 0
		.amdhsa_exception_fp_ieee_inexact 0
		.amdhsa_exception_int_div_zero 0
	.end_amdhsa_kernel
	.section	.text._ZN2at6native29vectorized_elementwise_kernelILi2EZZZNS0_15sin_kernel_cudaERNS_18TensorIteratorBaseEENKUlvE0_clEvENKUlvE0_clEvEUlfE_St5arrayIPcLm2EEEEviT0_T1_,"axG",@progbits,_ZN2at6native29vectorized_elementwise_kernelILi2EZZZNS0_15sin_kernel_cudaERNS_18TensorIteratorBaseEENKUlvE0_clEvENKUlvE0_clEvEUlfE_St5arrayIPcLm2EEEEviT0_T1_,comdat
.Lfunc_end11:
	.size	_ZN2at6native29vectorized_elementwise_kernelILi2EZZZNS0_15sin_kernel_cudaERNS_18TensorIteratorBaseEENKUlvE0_clEvENKUlvE0_clEvEUlfE_St5arrayIPcLm2EEEEviT0_T1_, .Lfunc_end11-_ZN2at6native29vectorized_elementwise_kernelILi2EZZZNS0_15sin_kernel_cudaERNS_18TensorIteratorBaseEENKUlvE0_clEvENKUlvE0_clEvEUlfE_St5arrayIPcLm2EEEEviT0_T1_
                                        ; -- End function
	.set _ZN2at6native29vectorized_elementwise_kernelILi2EZZZNS0_15sin_kernel_cudaERNS_18TensorIteratorBaseEENKUlvE0_clEvENKUlvE0_clEvEUlfE_St5arrayIPcLm2EEEEviT0_T1_.num_vgpr, 28
	.set _ZN2at6native29vectorized_elementwise_kernelILi2EZZZNS0_15sin_kernel_cudaERNS_18TensorIteratorBaseEENKUlvE0_clEvENKUlvE0_clEvEUlfE_St5arrayIPcLm2EEEEviT0_T1_.num_agpr, 0
	.set _ZN2at6native29vectorized_elementwise_kernelILi2EZZZNS0_15sin_kernel_cudaERNS_18TensorIteratorBaseEENKUlvE0_clEvENKUlvE0_clEvEUlfE_St5arrayIPcLm2EEEEviT0_T1_.numbered_sgpr, 12
	.set _ZN2at6native29vectorized_elementwise_kernelILi2EZZZNS0_15sin_kernel_cudaERNS_18TensorIteratorBaseEENKUlvE0_clEvENKUlvE0_clEvEUlfE_St5arrayIPcLm2EEEEviT0_T1_.num_named_barrier, 0
	.set _ZN2at6native29vectorized_elementwise_kernelILi2EZZZNS0_15sin_kernel_cudaERNS_18TensorIteratorBaseEENKUlvE0_clEvENKUlvE0_clEvEUlfE_St5arrayIPcLm2EEEEviT0_T1_.private_seg_size, 0
	.set _ZN2at6native29vectorized_elementwise_kernelILi2EZZZNS0_15sin_kernel_cudaERNS_18TensorIteratorBaseEENKUlvE0_clEvENKUlvE0_clEvEUlfE_St5arrayIPcLm2EEEEviT0_T1_.uses_vcc, 1
	.set _ZN2at6native29vectorized_elementwise_kernelILi2EZZZNS0_15sin_kernel_cudaERNS_18TensorIteratorBaseEENKUlvE0_clEvENKUlvE0_clEvEUlfE_St5arrayIPcLm2EEEEviT0_T1_.uses_flat_scratch, 0
	.set _ZN2at6native29vectorized_elementwise_kernelILi2EZZZNS0_15sin_kernel_cudaERNS_18TensorIteratorBaseEENKUlvE0_clEvENKUlvE0_clEvEUlfE_St5arrayIPcLm2EEEEviT0_T1_.has_dyn_sized_stack, 0
	.set _ZN2at6native29vectorized_elementwise_kernelILi2EZZZNS0_15sin_kernel_cudaERNS_18TensorIteratorBaseEENKUlvE0_clEvENKUlvE0_clEvEUlfE_St5arrayIPcLm2EEEEviT0_T1_.has_recursion, 0
	.set _ZN2at6native29vectorized_elementwise_kernelILi2EZZZNS0_15sin_kernel_cudaERNS_18TensorIteratorBaseEENKUlvE0_clEvENKUlvE0_clEvEUlfE_St5arrayIPcLm2EEEEviT0_T1_.has_indirect_call, 0
	.section	.AMDGPU.csdata,"",@progbits
; Kernel info:
; codeLenInByte = 7336
; TotalNumSgprs: 14
; NumVgprs: 28
; ScratchSize: 0
; MemoryBound: 0
; FloatMode: 240
; IeeeMode: 1
; LDSByteSize: 0 bytes/workgroup (compile time only)
; SGPRBlocks: 0
; VGPRBlocks: 3
; NumSGPRsForWavesPerEU: 14
; NumVGPRsForWavesPerEU: 28
; Occupancy: 16
; WaveLimiterHint : 1
; COMPUTE_PGM_RSRC2:SCRATCH_EN: 0
; COMPUTE_PGM_RSRC2:USER_SGPR: 6
; COMPUTE_PGM_RSRC2:TRAP_HANDLER: 0
; COMPUTE_PGM_RSRC2:TGID_X_EN: 1
; COMPUTE_PGM_RSRC2:TGID_Y_EN: 0
; COMPUTE_PGM_RSRC2:TGID_Z_EN: 0
; COMPUTE_PGM_RSRC2:TIDIG_COMP_CNT: 0
	.section	.text._ZN2at6native27unrolled_elementwise_kernelIZZZNS0_15sin_kernel_cudaERNS_18TensorIteratorBaseEENKUlvE0_clEvENKUlvE0_clEvEUlfE_St5arrayIPcLm2EELi4E23TrivialOffsetCalculatorILi1EjESB_NS0_6memory15LoadWithoutCastENSC_16StoreWithoutCastEEEviT_T0_T2_T3_T4_T5_,"axG",@progbits,_ZN2at6native27unrolled_elementwise_kernelIZZZNS0_15sin_kernel_cudaERNS_18TensorIteratorBaseEENKUlvE0_clEvENKUlvE0_clEvEUlfE_St5arrayIPcLm2EELi4E23TrivialOffsetCalculatorILi1EjESB_NS0_6memory15LoadWithoutCastENSC_16StoreWithoutCastEEEviT_T0_T2_T3_T4_T5_,comdat
	.globl	_ZN2at6native27unrolled_elementwise_kernelIZZZNS0_15sin_kernel_cudaERNS_18TensorIteratorBaseEENKUlvE0_clEvENKUlvE0_clEvEUlfE_St5arrayIPcLm2EELi4E23TrivialOffsetCalculatorILi1EjESB_NS0_6memory15LoadWithoutCastENSC_16StoreWithoutCastEEEviT_T0_T2_T3_T4_T5_ ; -- Begin function _ZN2at6native27unrolled_elementwise_kernelIZZZNS0_15sin_kernel_cudaERNS_18TensorIteratorBaseEENKUlvE0_clEvENKUlvE0_clEvEUlfE_St5arrayIPcLm2EELi4E23TrivialOffsetCalculatorILi1EjESB_NS0_6memory15LoadWithoutCastENSC_16StoreWithoutCastEEEviT_T0_T2_T3_T4_T5_
	.p2align	8
	.type	_ZN2at6native27unrolled_elementwise_kernelIZZZNS0_15sin_kernel_cudaERNS_18TensorIteratorBaseEENKUlvE0_clEvENKUlvE0_clEvEUlfE_St5arrayIPcLm2EELi4E23TrivialOffsetCalculatorILi1EjESB_NS0_6memory15LoadWithoutCastENSC_16StoreWithoutCastEEEviT_T0_T2_T3_T4_T5_,@function
_ZN2at6native27unrolled_elementwise_kernelIZZZNS0_15sin_kernel_cudaERNS_18TensorIteratorBaseEENKUlvE0_clEvENKUlvE0_clEvEUlfE_St5arrayIPcLm2EELi4E23TrivialOffsetCalculatorILi1EjESB_NS0_6memory15LoadWithoutCastENSC_16StoreWithoutCastEEEviT_T0_T2_T3_T4_T5_: ; @_ZN2at6native27unrolled_elementwise_kernelIZZZNS0_15sin_kernel_cudaERNS_18TensorIteratorBaseEENKUlvE0_clEvENKUlvE0_clEvEUlfE_St5arrayIPcLm2EELi4E23TrivialOffsetCalculatorILi1EjESB_NS0_6memory15LoadWithoutCastENSC_16StoreWithoutCastEEEviT_T0_T2_T3_T4_T5_
; %bb.0:
	s_clause 0x1
	s_load_dword s0, s[4:5], 0x0
	s_load_dwordx4 s[8:11], s[4:5], 0x8
	s_lshl_b32 s3, s6, 10
	v_mov_b32_e32 v8, 0
	v_mov_b32_e32 v10, 0
	v_or_b32_e32 v1, s3, v0
	v_or_b32_e32 v3, 0x100, v0
	v_mov_b32_e32 v4, v0
	s_waitcnt lgkmcnt(0)
	s_sub_i32 s4, s0, s3
	v_cmp_gt_i32_e32 vcc_lo, s4, v0
	s_and_saveexec_b32 s1, vcc_lo
	s_cbranch_execz .LBB12_2
; %bb.1:
	v_mov_b32_e32 v2, 0
	v_lshlrev_b64 v[4:5], 2, v[1:2]
	v_add_co_u32 v4, s0, s10, v4
	v_add_co_ci_u32_e64 v5, null, s11, v5, s0
	global_load_dword v10, v[4:5], off
	v_or_b32_e32 v4, 0x100, v0
.LBB12_2:
	s_or_b32 exec_lo, exec_lo, s1
	s_mov_b32 s1, exec_lo
	v_cmpx_gt_i32_e64 s4, v4
	s_cbranch_execz .LBB12_4
; %bb.3:
	v_add_nc_u32_e32 v5, s3, v4
	v_mov_b32_e32 v6, 0
	v_add_nc_u32_e32 v4, 0x100, v4
	v_lshlrev_b64 v[5:6], 2, v[5:6]
	v_add_co_u32 v5, s0, s10, v5
	v_add_co_ci_u32_e64 v6, null, s11, v6, s0
	global_load_dword v8, v[5:6], off
.LBB12_4:
	s_or_b32 exec_lo, exec_lo, s1
	v_mov_b32_e32 v2, 0
	v_mov_b32_e32 v5, 0
	s_mov_b32 s1, exec_lo
	v_cmpx_gt_i32_e64 s4, v4
	s_cbranch_execz .LBB12_6
; %bb.5:
	v_add_nc_u32_e32 v5, s3, v4
	v_mov_b32_e32 v6, 0
	v_add_nc_u32_e32 v4, 0x100, v4
	v_lshlrev_b64 v[5:6], 2, v[5:6]
	v_add_co_u32 v5, s0, s10, v5
	v_add_co_ci_u32_e64 v6, null, s11, v6, s0
	global_load_dword v5, v[5:6], off
.LBB12_6:
	s_or_b32 exec_lo, exec_lo, s1
	s_mov_b32 s1, exec_lo
	v_cmpx_gt_i32_e64 s4, v4
	s_cbranch_execz .LBB12_8
; %bb.7:
	v_add_nc_u32_e32 v6, s3, v4
	v_mov_b32_e32 v7, 0
	v_lshlrev_b64 v[6:7], 2, v[6:7]
	v_add_co_u32 v6, s0, s10, v6
	v_add_co_ci_u32_e64 v7, null, s11, v7, s0
	global_load_dword v2, v[6:7], off
.LBB12_8:
	s_or_b32 exec_lo, exec_lo, s1
	v_mov_b32_e32 v4, 0
	v_mov_b32_e32 v9, v4
	;; [unrolled: 1-line block ×4, first 2 shown]
	s_and_saveexec_b32 s5, vcc_lo
	s_cbranch_execz .LBB12_14
; %bb.9:
	s_waitcnt vmcnt(0)
	v_and_b32_e32 v4, 0x7fffffff, v10
                                        ; implicit-def: $vgpr7
                                        ; implicit-def: $vgpr6
	s_mov_b32 s1, exec_lo
	v_cmpx_ngt_f32_e64 0x48000000, |v10|
	s_xor_b32 s6, exec_lo, s1
	s_cbranch_execz .LBB12_11
; %bb.10:
	s_mov_b32 s0, 0x7fffff
	v_mov_b32_e32 v12, 0
	v_and_or_b32 v9, v4, s0, 0x800000
	v_mad_u64_u32 v[6:7], null, 0xfe5163ab, v9, 0
	v_mov_b32_e32 v11, v7
	v_lshrrev_b32_e32 v7, 23, v4
	v_mad_u64_u32 v[13:14], null, 0x3c439041, v9, v[11:12]
	v_add_nc_u32_e32 v7, 0xffffff88, v7
	v_cmp_lt_u32_e64 s0, 63, v7
	v_mov_b32_e32 v11, v14
	v_cndmask_b32_e64 v18, 0, 0xffffffc0, s0
	v_mad_u64_u32 v[14:15], null, 0xdb629599, v9, v[11:12]
	v_add_nc_u32_e32 v7, v18, v7
	v_mov_b32_e32 v11, v15
	v_cmp_lt_u32_e64 s1, 31, v7
	v_cndmask_b32_e64 v6, v14, v6, s0
	v_mad_u64_u32 v[15:16], null, 0xf534ddc0, v9, v[11:12]
	v_cndmask_b32_e64 v19, 0, 0xffffffe0, s1
	v_add_nc_u32_e32 v7, v19, v7
	v_mov_b32_e32 v11, v16
	v_cmp_lt_u32_e64 s2, 31, v7
	v_mad_u64_u32 v[16:17], null, 0xfc2757d1, v9, v[11:12]
	v_mov_b32_e32 v11, v17
	v_mad_u64_u32 v[17:18], null, 0x4e441529, v9, v[11:12]
	v_mov_b32_e32 v11, v18
	v_cndmask_b32_e64 v18, v17, v15, s0
	v_mad_u64_u32 v[11:12], null, 0xa2f9836e, v9, v[11:12]
	v_cndmask_b32_e64 v9, 0, 0xffffffe0, s2
	v_add_nc_u32_e32 v7, v9, v7
	v_cndmask_b32_e64 v11, v11, v16, s0
	v_cndmask_b32_e64 v12, v12, v17, s0
	;; [unrolled: 1-line block ×4, first 2 shown]
	v_sub_nc_u32_e32 v15, 32, v7
	v_cndmask_b32_e64 v13, v11, v18, s1
	v_cndmask_b32_e64 v11, v12, v11, s1
	v_cndmask_b32_e64 v12, v18, v16, s1
	v_cndmask_b32_e64 v16, v16, v9, s1
	v_cmp_eq_u32_e64 s0, 0, v7
	v_cndmask_b32_e64 v6, v9, v6, s1
	v_cndmask_b32_e64 v11, v11, v13, s2
	;; [unrolled: 1-line block ×5, first 2 shown]
	v_alignbit_b32 v17, v11, v13, v15
	v_alignbit_b32 v14, v13, v12, v15
	;; [unrolled: 1-line block ×3, first 2 shown]
	v_cndmask_b32_e64 v7, v17, v11, s0
	v_cndmask_b32_e64 v9, v14, v13, s0
	v_cndmask_b32_e64 v12, v15, v12, s0
	v_bfe_u32 v11, v7, 29, 1
	v_alignbit_b32 v13, v7, v9, 30
	v_alignbit_b32 v9, v9, v12, 30
	;; [unrolled: 1-line block ×3, first 2 shown]
	v_sub_nc_u32_e32 v14, 0, v11
	v_xor_b32_e32 v13, v13, v14
	v_xor_b32_e32 v9, v9, v14
	;; [unrolled: 1-line block ×3, first 2 shown]
	v_lshrrev_b32_e32 v14, 29, v7
	v_lshrrev_b32_e32 v7, 30, v7
	v_ffbh_u32_e32 v15, v13
	v_add_nc_u32_e32 v7, v11, v7
	v_min_u32_e32 v15, 32, v15
	v_sub_nc_u32_e32 v12, 31, v15
	v_lshlrev_b32_e32 v16, 23, v15
	v_alignbit_b32 v13, v13, v9, v12
	v_alignbit_b32 v6, v9, v6, v12
	v_lshlrev_b32_e32 v9, 31, v14
	v_alignbit_b32 v12, v13, v6, 9
	v_or_b32_e32 v14, 0.5, v9
	v_lshrrev_b32_e32 v13, 9, v13
	v_or_b32_e32 v9, 0x33000000, v9
	v_ffbh_u32_e32 v17, v12
	v_sub_nc_u32_e32 v14, v14, v16
	v_min_u32_e32 v16, 32, v17
	v_or_b32_e32 v13, v13, v14
	v_not_b32_e32 v14, v16
	v_mul_f32_e32 v17, 0x3fc90fda, v13
	v_add_lshl_u32 v15, v16, v15, 23
	v_alignbit_b32 v6, v12, v6, v14
	v_fma_f32 v12, 0x3fc90fda, v13, -v17
	v_sub_nc_u32_e32 v9, v9, v15
	v_lshrrev_b32_e32 v6, 9, v6
	v_fmamk_f32 v12, v13, 0x33a22168, v12
	v_or_b32_e32 v6, v9, v6
	v_fmac_f32_e32 v12, 0x3fc90fda, v6
	v_add_f32_e32 v6, v17, v12
.LBB12_11:
	s_andn2_saveexec_b32 s0, s6
; %bb.12:
	v_mul_f32_e64 v6, 0x3f22f983, |v10|
	v_rndne_f32_e32 v7, v6
	v_fma_f32 v6, 0xbfc90fda, v7, |v10|
	v_fmamk_f32 v6, v7, 0xb3a22168, v6
	v_fmamk_f32 v6, v7, 0xa7c234c4, v6
	v_cvt_i32_f32_e32 v7, v7
; %bb.13:
	s_or_b32 exec_lo, exec_lo, s0
	v_mul_f32_e32 v9, v6, v6
	s_mov_b32 s0, 0xb94c1982
	s_mov_b32 s1, 0x37d75334
	v_and_b32_e32 v13, 1, v7
	v_lshlrev_b32_e32 v7, 30, v7
	v_fmaak_f32 v11, s0, v9, 0x3c0881c4
	v_fmaak_f32 v12, s1, v9, 0xbab64f3b
	v_xor_b32_e32 v4, v4, v10
	v_cmp_eq_u32_e64 s0, 0, v13
	v_and_b32_e32 v7, 0x80000000, v7
	v_fmaak_f32 v11, v9, v11, 0xbe2aaa9d
	v_fmaak_f32 v12, v9, v12, 0x3d2aabf7
	v_mul_f32_e32 v11, v9, v11
	v_fmaak_f32 v12, v9, v12, 0xbf000004
	v_fmac_f32_e32 v6, v6, v11
	v_fma_f32 v9, v9, v12, 1.0
	v_cndmask_b32_e64 v6, v9, v6, s0
	v_mov_b32_e32 v9, 0
	v_cmp_class_f32_e64 s0, v10, 0x1f8
	v_xor3_b32 v4, v4, v7, v6
	v_mov_b32_e32 v7, v9
	v_mov_b32_e32 v6, v9
	v_cndmask_b32_e64 v4, 0x7fc00000, v4, s0
.LBB12_14:
	s_or_b32 exec_lo, exec_lo, s5
	s_mov_b32 s5, exec_lo
	v_cmpx_gt_i32_e64 s4, v3
	s_cbranch_execz .LBB12_20
; %bb.15:
	s_waitcnt vmcnt(0)
	v_and_b32_e32 v9, 0x7fffffff, v8
                                        ; implicit-def: $vgpr11
                                        ; implicit-def: $vgpr10
	s_mov_b32 s1, exec_lo
	v_cmpx_ngt_f32_e64 0x48000000, |v8|
	s_xor_b32 s6, exec_lo, s1
	s_cbranch_execz .LBB12_17
; %bb.16:
	s_mov_b32 s0, 0x7fffff
	v_mov_b32_e32 v12, 0
	v_and_or_b32 v19, v9, s0, 0x800000
	v_lshrrev_b32_e32 v17, 23, v9
	v_mad_u64_u32 v[10:11], null, 0xfe5163ab, v19, 0
	v_add_nc_u32_e32 v18, 0xffffff88, v17
	v_cmp_lt_u32_e64 s0, 63, v18
	v_mad_u64_u32 v[13:14], null, 0x3c439041, v19, v[11:12]
	v_cndmask_b32_e64 v20, 0, 0xffffffc0, s0
	v_mov_b32_e32 v11, v14
	v_add_nc_u32_e32 v20, v20, v18
	v_mad_u64_u32 v[14:15], null, 0xdb629599, v19, v[11:12]
	v_cmp_lt_u32_e64 s1, 31, v20
	v_cndmask_b32_e64 v21, 0, 0xffffffe0, s1
	v_mov_b32_e32 v11, v15
	v_cndmask_b32_e64 v10, v14, v10, s0
	v_mad_u64_u32 v[15:16], null, 0xf534ddc0, v19, v[11:12]
	v_mov_b32_e32 v11, v16
	v_cndmask_b32_e64 v13, v15, v13, s0
	v_mad_u64_u32 v[16:17], null, 0xfc2757d1, v19, v[11:12]
	v_cndmask_b32_e64 v10, v13, v10, s1
	v_mov_b32_e32 v11, v17
	v_mad_u64_u32 v[17:18], null, 0x4e441529, v19, v[11:12]
	v_mov_b32_e32 v11, v18
	v_add_nc_u32_e32 v18, v21, v20
	v_cndmask_b32_e64 v20, v17, v15, s0
	v_mad_u64_u32 v[11:12], null, 0xa2f9836e, v19, v[11:12]
	v_cmp_lt_u32_e64 s2, 31, v18
	v_cndmask_b32_e64 v19, 0, 0xffffffe0, s2
	v_cndmask_b32_e64 v11, v11, v16, s0
	;; [unrolled: 1-line block ×4, first 2 shown]
	v_add_nc_u32_e32 v17, v19, v18
	v_cndmask_b32_e64 v15, v11, v20, s1
	v_cndmask_b32_e64 v11, v12, v11, s1
	;; [unrolled: 1-line block ×4, first 2 shown]
	v_sub_nc_u32_e32 v18, 32, v17
	v_cmp_eq_u32_e64 s0, 0, v17
	v_cndmask_b32_e64 v11, v11, v15, s2
	v_cndmask_b32_e64 v15, v15, v12, s2
	;; [unrolled: 1-line block ×4, first 2 shown]
	v_alignbit_b32 v19, v11, v15, v18
	v_alignbit_b32 v14, v15, v12, v18
	;; [unrolled: 1-line block ×3, first 2 shown]
	v_cndmask_b32_e64 v11, v19, v11, s0
	v_cndmask_b32_e64 v13, v14, v15, s0
	;; [unrolled: 1-line block ×3, first 2 shown]
	v_bfe_u32 v14, v11, 29, 1
	v_alignbit_b32 v15, v11, v13, 30
	v_alignbit_b32 v13, v13, v12, 30
	;; [unrolled: 1-line block ×3, first 2 shown]
	v_sub_nc_u32_e32 v16, 0, v14
	v_xor_b32_e32 v15, v15, v16
	v_xor_b32_e32 v12, v13, v16
	;; [unrolled: 1-line block ×3, first 2 shown]
	v_lshrrev_b32_e32 v16, 29, v11
	v_lshrrev_b32_e32 v11, 30, v11
	v_ffbh_u32_e32 v17, v15
	v_add_nc_u32_e32 v11, v14, v11
	v_min_u32_e32 v17, 32, v17
	v_sub_nc_u32_e32 v13, 31, v17
	v_lshlrev_b32_e32 v18, 23, v17
	v_alignbit_b32 v15, v15, v12, v13
	v_alignbit_b32 v10, v12, v10, v13
	v_lshlrev_b32_e32 v12, 31, v16
	v_alignbit_b32 v13, v15, v10, 9
	v_or_b32_e32 v16, 0.5, v12
	v_lshrrev_b32_e32 v15, 9, v15
	v_or_b32_e32 v12, 0x33000000, v12
	v_ffbh_u32_e32 v19, v13
	v_sub_nc_u32_e32 v16, v16, v18
	v_min_u32_e32 v18, 32, v19
	v_or_b32_e32 v15, v15, v16
	v_not_b32_e32 v16, v18
	v_mul_f32_e32 v19, 0x3fc90fda, v15
	v_add_lshl_u32 v17, v18, v17, 23
	v_alignbit_b32 v10, v13, v10, v16
	v_fma_f32 v13, 0x3fc90fda, v15, -v19
	v_sub_nc_u32_e32 v12, v12, v17
	v_lshrrev_b32_e32 v10, 9, v10
	v_fmamk_f32 v13, v15, 0x33a22168, v13
	v_or_b32_e32 v10, v12, v10
	v_fmac_f32_e32 v13, 0x3fc90fda, v10
	v_add_f32_e32 v10, v19, v13
.LBB12_17:
	s_andn2_saveexec_b32 s0, s6
; %bb.18:
	v_mul_f32_e64 v10, 0x3f22f983, |v8|
	v_rndne_f32_e32 v11, v10
	v_fma_f32 v10, 0xbfc90fda, v11, |v8|
	v_fmamk_f32 v10, v11, 0xb3a22168, v10
	v_fmamk_f32 v10, v11, 0xa7c234c4, v10
	v_cvt_i32_f32_e32 v11, v11
; %bb.19:
	s_or_b32 exec_lo, exec_lo, s0
	v_mul_f32_e32 v12, v10, v10
	s_mov_b32 s0, 0xb94c1982
	s_mov_b32 s1, 0x37d75334
	v_and_b32_e32 v15, 1, v11
	v_lshlrev_b32_e32 v11, 30, v11
	v_fmaak_f32 v13, s0, v12, 0x3c0881c4
	v_fmaak_f32 v14, s1, v12, 0xbab64f3b
	v_xor_b32_e32 v9, v9, v8
	v_cmp_eq_u32_e64 s0, 0, v15
	v_and_b32_e32 v11, 0x80000000, v11
	v_fmaak_f32 v13, v12, v13, 0xbe2aaa9d
	v_fmaak_f32 v14, v12, v14, 0x3d2aabf7
	v_mul_f32_e32 v13, v12, v13
	v_fmaak_f32 v14, v12, v14, 0xbf000004
	v_fmac_f32_e32 v10, v10, v13
	v_fma_f32 v12, v12, v14, 1.0
	v_cndmask_b32_e64 v10, v12, v10, s0
	v_cmp_class_f32_e64 s0, v8, 0x1f8
	v_xor3_b32 v9, v9, v11, v10
	v_cndmask_b32_e64 v9, 0x7fc00000, v9, s0
.LBB12_20:
	s_or_b32 exec_lo, exec_lo, s5
	s_waitcnt vmcnt(0)
	v_or_b32_e32 v8, 0x200, v0
	s_mov_b32 s5, exec_lo
	v_cmpx_gt_i32_e64 s4, v8
	s_cbranch_execz .LBB12_26
; %bb.21:
	v_and_b32_e32 v7, 0x7fffffff, v5
                                        ; implicit-def: $vgpr10
                                        ; implicit-def: $vgpr8
	s_mov_b32 s1, exec_lo
	v_cmpx_ngt_f32_e64 0x48000000, |v5|
	s_xor_b32 s6, exec_lo, s1
	s_cbranch_execz .LBB12_23
; %bb.22:
	s_mov_b32 s0, 0x7fffff
	v_mov_b32_e32 v12, 0
	v_and_or_b32 v8, v7, s0, 0x800000
	v_lshrrev_b32_e32 v17, 23, v7
	v_mad_u64_u32 v[10:11], null, 0xfe5163ab, v8, 0
	v_add_nc_u32_e32 v18, 0xffffff88, v17
	v_cmp_lt_u32_e64 s0, 63, v18
	v_mad_u64_u32 v[13:14], null, 0x3c439041, v8, v[11:12]
	v_cndmask_b32_e64 v19, 0, 0xffffffc0, s0
	v_mov_b32_e32 v11, v14
	v_add_nc_u32_e32 v19, v19, v18
	v_mad_u64_u32 v[14:15], null, 0xdb629599, v8, v[11:12]
	v_cmp_lt_u32_e64 s1, 31, v19
	v_cndmask_b32_e64 v20, 0, 0xffffffe0, s1
	v_mov_b32_e32 v11, v15
	v_cndmask_b32_e64 v10, v14, v10, s0
	v_mad_u64_u32 v[15:16], null, 0xf534ddc0, v8, v[11:12]
	v_mov_b32_e32 v11, v16
	v_cndmask_b32_e64 v13, v15, v13, s0
	v_mad_u64_u32 v[16:17], null, 0xfc2757d1, v8, v[11:12]
	v_cndmask_b32_e64 v10, v13, v10, s1
	v_mov_b32_e32 v11, v17
	v_mad_u64_u32 v[17:18], null, 0x4e441529, v8, v[11:12]
	v_mov_b32_e32 v11, v18
	v_add_nc_u32_e32 v18, v20, v19
	v_cndmask_b32_e64 v19, v17, v15, s0
	v_mad_u64_u32 v[11:12], null, 0xa2f9836e, v8, v[11:12]
	v_cmp_lt_u32_e64 s2, 31, v18
	v_cndmask_b32_e64 v8, 0, 0xffffffe0, s2
	v_cndmask_b32_e64 v11, v11, v16, s0
	v_cndmask_b32_e64 v12, v12, v17, s0
	v_cndmask_b32_e64 v16, v16, v14, s0
	v_add_nc_u32_e32 v8, v8, v18
	v_cndmask_b32_e64 v15, v11, v19, s1
	v_cndmask_b32_e64 v11, v12, v11, s1
	;; [unrolled: 1-line block ×4, first 2 shown]
	v_sub_nc_u32_e32 v17, 32, v8
	v_cmp_eq_u32_e64 s0, 0, v8
	v_cndmask_b32_e64 v11, v11, v15, s2
	v_cndmask_b32_e64 v15, v15, v12, s2
	;; [unrolled: 1-line block ×4, first 2 shown]
	v_alignbit_b32 v18, v11, v15, v17
	v_alignbit_b32 v14, v15, v12, v17
	;; [unrolled: 1-line block ×3, first 2 shown]
	v_cndmask_b32_e64 v8, v18, v11, s0
	v_cndmask_b32_e64 v11, v14, v15, s0
	v_cndmask_b32_e64 v12, v16, v12, s0
	v_bfe_u32 v13, v8, 29, 1
	v_alignbit_b32 v14, v8, v11, 30
	v_alignbit_b32 v11, v11, v12, 30
	;; [unrolled: 1-line block ×3, first 2 shown]
	v_sub_nc_u32_e32 v15, 0, v13
	v_xor_b32_e32 v14, v14, v15
	v_xor_b32_e32 v11, v11, v15
	;; [unrolled: 1-line block ×3, first 2 shown]
	v_lshrrev_b32_e32 v15, 29, v8
	v_ffbh_u32_e32 v16, v14
	v_min_u32_e32 v16, 32, v16
	v_sub_nc_u32_e32 v12, 31, v16
	v_lshlrev_b32_e32 v17, 23, v16
	v_alignbit_b32 v14, v14, v11, v12
	v_alignbit_b32 v10, v11, v10, v12
	v_lshlrev_b32_e32 v11, 31, v15
	v_alignbit_b32 v12, v14, v10, 9
	v_or_b32_e32 v15, 0.5, v11
	v_lshrrev_b32_e32 v14, 9, v14
	v_or_b32_e32 v11, 0x33000000, v11
	v_ffbh_u32_e32 v18, v12
	v_sub_nc_u32_e32 v15, v15, v17
	v_min_u32_e32 v17, 32, v18
	v_or_b32_e32 v14, v14, v15
	v_not_b32_e32 v15, v17
	v_mul_f32_e32 v18, 0x3fc90fda, v14
	v_add_lshl_u32 v16, v17, v16, 23
	v_alignbit_b32 v10, v12, v10, v15
	v_fma_f32 v12, 0x3fc90fda, v14, -v18
	v_sub_nc_u32_e32 v11, v11, v16
	v_lshrrev_b32_e32 v10, 9, v10
	v_fmamk_f32 v12, v14, 0x33a22168, v12
	v_or_b32_e32 v10, v11, v10
	v_fmac_f32_e32 v12, 0x3fc90fda, v10
	v_lshrrev_b32_e32 v10, 30, v8
	v_add_f32_e32 v8, v18, v12
	v_add_nc_u32_e32 v10, v13, v10
.LBB12_23:
	s_andn2_saveexec_b32 s0, s6
; %bb.24:
	v_mul_f32_e64 v8, 0x3f22f983, |v5|
	v_rndne_f32_e32 v10, v8
	v_fma_f32 v8, 0xbfc90fda, v10, |v5|
	v_fmamk_f32 v8, v10, 0xb3a22168, v8
	v_fmamk_f32 v8, v10, 0xa7c234c4, v8
	v_cvt_i32_f32_e32 v10, v10
; %bb.25:
	s_or_b32 exec_lo, exec_lo, s0
	v_mul_f32_e32 v11, v8, v8
	s_mov_b32 s0, 0xb94c1982
	s_mov_b32 s1, 0x37d75334
	v_and_b32_e32 v14, 1, v10
	v_lshlrev_b32_e32 v10, 30, v10
	v_fmaak_f32 v12, s0, v11, 0x3c0881c4
	v_fmaak_f32 v13, s1, v11, 0xbab64f3b
	v_xor_b32_e32 v7, v7, v5
	v_cmp_eq_u32_e64 s0, 0, v14
	v_and_b32_e32 v10, 0x80000000, v10
	v_fmaak_f32 v12, v11, v12, 0xbe2aaa9d
	v_fmaak_f32 v13, v11, v13, 0x3d2aabf7
	v_mul_f32_e32 v12, v11, v12
	v_fmaak_f32 v13, v11, v13, 0xbf000004
	v_fmac_f32_e32 v8, v8, v12
	v_fma_f32 v11, v11, v13, 1.0
	v_cndmask_b32_e64 v8, v11, v8, s0
	v_cmp_class_f32_e64 s0, v5, 0x1f8
	v_xor3_b32 v7, v7, v10, v8
	v_cndmask_b32_e64 v7, 0x7fc00000, v7, s0
.LBB12_26:
	s_or_b32 exec_lo, exec_lo, s5
	v_or_b32_e32 v5, 0x300, v0
	s_mov_b32 s5, exec_lo
	v_cmpx_gt_i32_e64 s4, v5
	s_cbranch_execnz .LBB12_32
; %bb.27:
	s_or_b32 exec_lo, exec_lo, s5
	s_and_saveexec_b32 s0, vcc_lo
	s_xor_b32 s0, exec_lo, s0
	s_cbranch_execnz .LBB12_37
.LBB12_28:
	s_or_b32 exec_lo, exec_lo, s0
	s_mov_b32 s0, exec_lo
	v_cmpx_gt_i32_e64 s4, v0
	s_cbranch_execnz .LBB12_38
.LBB12_29:
	s_or_b32 exec_lo, exec_lo, s0
	s_mov_b32 s0, exec_lo
	v_cmpx_gt_i32_e64 s4, v0
	s_cbranch_execnz .LBB12_39
.LBB12_30:
	s_or_b32 exec_lo, exec_lo, s0
	s_mov_b32 s0, exec_lo
	v_cmpx_gt_i32_e64 s4, v0
	s_cbranch_execnz .LBB12_40
.LBB12_31:
	s_endpgm
.LBB12_32:
	v_and_b32_e32 v5, 0x7fffffff, v2
                                        ; implicit-def: $vgpr8
                                        ; implicit-def: $vgpr6
	s_mov_b32 s1, exec_lo
	v_cmpx_ngt_f32_e64 0x48000000, |v2|
	s_xor_b32 s6, exec_lo, s1
	s_cbranch_execz .LBB12_34
; %bb.33:
	s_mov_b32 s0, 0x7fffff
	v_mov_b32_e32 v12, 0
	v_and_or_b32 v6, v5, s0, 0x800000
	v_lshrrev_b32_e32 v8, 23, v5
	v_mad_u64_u32 v[10:11], null, 0xfe5163ab, v6, 0
	v_add_nc_u32_e32 v8, 0xffffff88, v8
	v_cmp_lt_u32_e64 s0, 63, v8
	v_mad_u64_u32 v[13:14], null, 0x3c439041, v6, v[11:12]
	v_cndmask_b32_e64 v18, 0, 0xffffffc0, s0
	v_mov_b32_e32 v11, v14
	v_add_nc_u32_e32 v8, v18, v8
	v_mad_u64_u32 v[14:15], null, 0xdb629599, v6, v[11:12]
	v_cmp_lt_u32_e64 s1, 31, v8
	v_cndmask_b32_e64 v19, 0, 0xffffffe0, s1
	v_mov_b32_e32 v11, v15
	v_cndmask_b32_e64 v10, v14, v10, s0
	v_add_nc_u32_e32 v8, v19, v8
	v_mad_u64_u32 v[15:16], null, 0xf534ddc0, v6, v[11:12]
	v_cmp_lt_u32_e64 s2, 31, v8
	v_mov_b32_e32 v11, v16
	v_mad_u64_u32 v[16:17], null, 0xfc2757d1, v6, v[11:12]
	v_mov_b32_e32 v11, v17
	v_mad_u64_u32 v[17:18], null, 0x4e441529, v6, v[11:12]
	v_mov_b32_e32 v11, v18
	v_cndmask_b32_e64 v18, v17, v15, s0
	v_mad_u64_u32 v[11:12], null, 0xa2f9836e, v6, v[11:12]
	v_cndmask_b32_e64 v6, 0, 0xffffffe0, s2
	v_add_nc_u32_e32 v6, v6, v8
	v_cndmask_b32_e64 v11, v11, v16, s0
	v_cndmask_b32_e64 v12, v12, v17, s0
	;; [unrolled: 1-line block ×4, first 2 shown]
	v_sub_nc_u32_e32 v15, 32, v6
	v_cndmask_b32_e64 v13, v11, v18, s1
	v_cndmask_b32_e64 v11, v12, v11, s1
	;; [unrolled: 1-line block ×4, first 2 shown]
	v_cmp_eq_u32_e64 s0, 0, v6
	v_cndmask_b32_e64 v8, v8, v10, s1
	v_cndmask_b32_e64 v11, v11, v13, s2
	;; [unrolled: 1-line block ×5, first 2 shown]
	v_alignbit_b32 v17, v11, v13, v15
	v_alignbit_b32 v14, v13, v12, v15
	;; [unrolled: 1-line block ×3, first 2 shown]
	v_cndmask_b32_e64 v6, v17, v11, s0
	v_cndmask_b32_e64 v10, v14, v13, s0
	;; [unrolled: 1-line block ×3, first 2 shown]
	v_bfe_u32 v11, v6, 29, 1
	v_alignbit_b32 v13, v6, v10, 30
	v_alignbit_b32 v10, v10, v12, 30
	;; [unrolled: 1-line block ×3, first 2 shown]
	v_sub_nc_u32_e32 v14, 0, v11
	v_xor_b32_e32 v13, v13, v14
	v_xor_b32_e32 v10, v10, v14
	;; [unrolled: 1-line block ×3, first 2 shown]
	v_lshrrev_b32_e32 v14, 29, v6
	v_ffbh_u32_e32 v15, v13
	v_min_u32_e32 v15, 32, v15
	v_sub_nc_u32_e32 v12, 31, v15
	v_lshlrev_b32_e32 v16, 23, v15
	v_alignbit_b32 v13, v13, v10, v12
	v_alignbit_b32 v8, v10, v8, v12
	v_lshlrev_b32_e32 v10, 31, v14
	v_alignbit_b32 v12, v13, v8, 9
	v_or_b32_e32 v14, 0.5, v10
	v_lshrrev_b32_e32 v13, 9, v13
	v_or_b32_e32 v10, 0x33000000, v10
	v_ffbh_u32_e32 v17, v12
	v_sub_nc_u32_e32 v14, v14, v16
	v_min_u32_e32 v16, 32, v17
	v_or_b32_e32 v13, v13, v14
	v_not_b32_e32 v14, v16
	v_mul_f32_e32 v17, 0x3fc90fda, v13
	v_add_lshl_u32 v15, v16, v15, 23
	v_alignbit_b32 v8, v12, v8, v14
	v_fma_f32 v12, 0x3fc90fda, v13, -v17
	v_sub_nc_u32_e32 v10, v10, v15
	v_lshrrev_b32_e32 v8, 9, v8
	v_fmamk_f32 v12, v13, 0x33a22168, v12
	v_or_b32_e32 v8, v10, v8
	v_fmac_f32_e32 v12, 0x3fc90fda, v8
	v_lshrrev_b32_e32 v8, 30, v6
	v_add_f32_e32 v6, v17, v12
	v_add_nc_u32_e32 v8, v11, v8
.LBB12_34:
	s_andn2_saveexec_b32 s0, s6
; %bb.35:
	v_mul_f32_e64 v6, 0x3f22f983, |v2|
	v_rndne_f32_e32 v8, v6
	v_fma_f32 v6, 0xbfc90fda, v8, |v2|
	v_fmamk_f32 v6, v8, 0xb3a22168, v6
	v_fmamk_f32 v6, v8, 0xa7c234c4, v6
	v_cvt_i32_f32_e32 v8, v8
; %bb.36:
	s_or_b32 exec_lo, exec_lo, s0
	v_mul_f32_e32 v10, v6, v6
	s_mov_b32 s0, 0xb94c1982
	s_mov_b32 s1, 0x37d75334
	v_and_b32_e32 v13, 1, v8
	v_lshlrev_b32_e32 v8, 30, v8
	v_fmaak_f32 v11, s0, v10, 0x3c0881c4
	v_fmaak_f32 v12, s1, v10, 0xbab64f3b
	v_xor_b32_e32 v5, v5, v2
	v_cmp_eq_u32_e64 s0, 0, v13
	v_and_b32_e32 v8, 0x80000000, v8
	v_fmaak_f32 v11, v10, v11, 0xbe2aaa9d
	v_fmaak_f32 v12, v10, v12, 0x3d2aabf7
	v_mul_f32_e32 v11, v10, v11
	v_fmaak_f32 v12, v10, v12, 0xbf000004
	v_fmac_f32_e32 v6, v6, v11
	v_fma_f32 v10, v10, v12, 1.0
	v_cndmask_b32_e64 v6, v10, v6, s0
	v_cmp_class_f32_e64 s0, v2, 0x1f8
	v_xor3_b32 v5, v5, v8, v6
	v_cndmask_b32_e64 v6, 0x7fc00000, v5, s0
	s_or_b32 exec_lo, exec_lo, s5
	s_and_saveexec_b32 s0, vcc_lo
	s_xor_b32 s0, exec_lo, s0
	s_cbranch_execz .LBB12_28
.LBB12_37:
	v_mov_b32_e32 v2, 0
	v_lshlrev_b64 v[0:1], 2, v[1:2]
	v_add_co_u32 v10, vcc_lo, s8, v0
	v_add_co_ci_u32_e64 v11, null, s9, v1, vcc_lo
	v_mov_b32_e32 v0, v3
	global_store_dword v[10:11], v4, off
	s_or_b32 exec_lo, exec_lo, s0
	s_mov_b32 s0, exec_lo
	v_cmpx_gt_i32_e64 s4, v0
	s_cbranch_execz .LBB12_29
.LBB12_38:
	v_add_nc_u32_e32 v1, s3, v0
	v_mov_b32_e32 v2, 0
	v_add_nc_u32_e32 v0, 0x100, v0
	v_lshlrev_b64 v[1:2], 2, v[1:2]
	v_add_co_u32 v1, vcc_lo, s8, v1
	v_add_co_ci_u32_e64 v2, null, s9, v2, vcc_lo
	global_store_dword v[1:2], v9, off
	s_or_b32 exec_lo, exec_lo, s0
	s_mov_b32 s0, exec_lo
	v_cmpx_gt_i32_e64 s4, v0
	s_cbranch_execz .LBB12_30
.LBB12_39:
	v_add_nc_u32_e32 v1, s3, v0
	v_mov_b32_e32 v2, 0
	v_add_nc_u32_e32 v0, 0x100, v0
	v_lshlrev_b64 v[1:2], 2, v[1:2]
	v_add_co_u32 v1, vcc_lo, s8, v1
	v_add_co_ci_u32_e64 v2, null, s9, v2, vcc_lo
	global_store_dword v[1:2], v7, off
	s_or_b32 exec_lo, exec_lo, s0
	s_mov_b32 s0, exec_lo
	v_cmpx_gt_i32_e64 s4, v0
	s_cbranch_execz .LBB12_31
.LBB12_40:
	v_add_nc_u32_e32 v0, s3, v0
	v_mov_b32_e32 v1, 0
	v_lshlrev_b64 v[0:1], 2, v[0:1]
	v_add_co_u32 v0, vcc_lo, s8, v0
	v_add_co_ci_u32_e64 v1, null, s9, v1, vcc_lo
	global_store_dword v[0:1], v6, off
	s_endpgm
	.section	.rodata,"a",@progbits
	.p2align	6, 0x0
	.amdhsa_kernel _ZN2at6native27unrolled_elementwise_kernelIZZZNS0_15sin_kernel_cudaERNS_18TensorIteratorBaseEENKUlvE0_clEvENKUlvE0_clEvEUlfE_St5arrayIPcLm2EELi4E23TrivialOffsetCalculatorILi1EjESB_NS0_6memory15LoadWithoutCastENSC_16StoreWithoutCastEEEviT_T0_T2_T3_T4_T5_
		.amdhsa_group_segment_fixed_size 0
		.amdhsa_private_segment_fixed_size 0
		.amdhsa_kernarg_size 28
		.amdhsa_user_sgpr_count 6
		.amdhsa_user_sgpr_private_segment_buffer 1
		.amdhsa_user_sgpr_dispatch_ptr 0
		.amdhsa_user_sgpr_queue_ptr 0
		.amdhsa_user_sgpr_kernarg_segment_ptr 1
		.amdhsa_user_sgpr_dispatch_id 0
		.amdhsa_user_sgpr_flat_scratch_init 0
		.amdhsa_user_sgpr_private_segment_size 0
		.amdhsa_wavefront_size32 1
		.amdhsa_uses_dynamic_stack 0
		.amdhsa_system_sgpr_private_segment_wavefront_offset 0
		.amdhsa_system_sgpr_workgroup_id_x 1
		.amdhsa_system_sgpr_workgroup_id_y 0
		.amdhsa_system_sgpr_workgroup_id_z 0
		.amdhsa_system_sgpr_workgroup_info 0
		.amdhsa_system_vgpr_workitem_id 0
		.amdhsa_next_free_vgpr 22
		.amdhsa_next_free_sgpr 12
		.amdhsa_reserve_vcc 1
		.amdhsa_reserve_flat_scratch 0
		.amdhsa_float_round_mode_32 0
		.amdhsa_float_round_mode_16_64 0
		.amdhsa_float_denorm_mode_32 3
		.amdhsa_float_denorm_mode_16_64 3
		.amdhsa_dx10_clamp 1
		.amdhsa_ieee_mode 1
		.amdhsa_fp16_overflow 0
		.amdhsa_workgroup_processor_mode 1
		.amdhsa_memory_ordered 1
		.amdhsa_forward_progress 1
		.amdhsa_shared_vgpr_count 0
		.amdhsa_exception_fp_ieee_invalid_op 0
		.amdhsa_exception_fp_denorm_src 0
		.amdhsa_exception_fp_ieee_div_zero 0
		.amdhsa_exception_fp_ieee_overflow 0
		.amdhsa_exception_fp_ieee_underflow 0
		.amdhsa_exception_fp_ieee_inexact 0
		.amdhsa_exception_int_div_zero 0
	.end_amdhsa_kernel
	.section	.text._ZN2at6native27unrolled_elementwise_kernelIZZZNS0_15sin_kernel_cudaERNS_18TensorIteratorBaseEENKUlvE0_clEvENKUlvE0_clEvEUlfE_St5arrayIPcLm2EELi4E23TrivialOffsetCalculatorILi1EjESB_NS0_6memory15LoadWithoutCastENSC_16StoreWithoutCastEEEviT_T0_T2_T3_T4_T5_,"axG",@progbits,_ZN2at6native27unrolled_elementwise_kernelIZZZNS0_15sin_kernel_cudaERNS_18TensorIteratorBaseEENKUlvE0_clEvENKUlvE0_clEvEUlfE_St5arrayIPcLm2EELi4E23TrivialOffsetCalculatorILi1EjESB_NS0_6memory15LoadWithoutCastENSC_16StoreWithoutCastEEEviT_T0_T2_T3_T4_T5_,comdat
.Lfunc_end12:
	.size	_ZN2at6native27unrolled_elementwise_kernelIZZZNS0_15sin_kernel_cudaERNS_18TensorIteratorBaseEENKUlvE0_clEvENKUlvE0_clEvEUlfE_St5arrayIPcLm2EELi4E23TrivialOffsetCalculatorILi1EjESB_NS0_6memory15LoadWithoutCastENSC_16StoreWithoutCastEEEviT_T0_T2_T3_T4_T5_, .Lfunc_end12-_ZN2at6native27unrolled_elementwise_kernelIZZZNS0_15sin_kernel_cudaERNS_18TensorIteratorBaseEENKUlvE0_clEvENKUlvE0_clEvEUlfE_St5arrayIPcLm2EELi4E23TrivialOffsetCalculatorILi1EjESB_NS0_6memory15LoadWithoutCastENSC_16StoreWithoutCastEEEviT_T0_T2_T3_T4_T5_
                                        ; -- End function
	.set _ZN2at6native27unrolled_elementwise_kernelIZZZNS0_15sin_kernel_cudaERNS_18TensorIteratorBaseEENKUlvE0_clEvENKUlvE0_clEvEUlfE_St5arrayIPcLm2EELi4E23TrivialOffsetCalculatorILi1EjESB_NS0_6memory15LoadWithoutCastENSC_16StoreWithoutCastEEEviT_T0_T2_T3_T4_T5_.num_vgpr, 22
	.set _ZN2at6native27unrolled_elementwise_kernelIZZZNS0_15sin_kernel_cudaERNS_18TensorIteratorBaseEENKUlvE0_clEvENKUlvE0_clEvEUlfE_St5arrayIPcLm2EELi4E23TrivialOffsetCalculatorILi1EjESB_NS0_6memory15LoadWithoutCastENSC_16StoreWithoutCastEEEviT_T0_T2_T3_T4_T5_.num_agpr, 0
	.set _ZN2at6native27unrolled_elementwise_kernelIZZZNS0_15sin_kernel_cudaERNS_18TensorIteratorBaseEENKUlvE0_clEvENKUlvE0_clEvEUlfE_St5arrayIPcLm2EELi4E23TrivialOffsetCalculatorILi1EjESB_NS0_6memory15LoadWithoutCastENSC_16StoreWithoutCastEEEviT_T0_T2_T3_T4_T5_.numbered_sgpr, 12
	.set _ZN2at6native27unrolled_elementwise_kernelIZZZNS0_15sin_kernel_cudaERNS_18TensorIteratorBaseEENKUlvE0_clEvENKUlvE0_clEvEUlfE_St5arrayIPcLm2EELi4E23TrivialOffsetCalculatorILi1EjESB_NS0_6memory15LoadWithoutCastENSC_16StoreWithoutCastEEEviT_T0_T2_T3_T4_T5_.num_named_barrier, 0
	.set _ZN2at6native27unrolled_elementwise_kernelIZZZNS0_15sin_kernel_cudaERNS_18TensorIteratorBaseEENKUlvE0_clEvENKUlvE0_clEvEUlfE_St5arrayIPcLm2EELi4E23TrivialOffsetCalculatorILi1EjESB_NS0_6memory15LoadWithoutCastENSC_16StoreWithoutCastEEEviT_T0_T2_T3_T4_T5_.private_seg_size, 0
	.set _ZN2at6native27unrolled_elementwise_kernelIZZZNS0_15sin_kernel_cudaERNS_18TensorIteratorBaseEENKUlvE0_clEvENKUlvE0_clEvEUlfE_St5arrayIPcLm2EELi4E23TrivialOffsetCalculatorILi1EjESB_NS0_6memory15LoadWithoutCastENSC_16StoreWithoutCastEEEviT_T0_T2_T3_T4_T5_.uses_vcc, 1
	.set _ZN2at6native27unrolled_elementwise_kernelIZZZNS0_15sin_kernel_cudaERNS_18TensorIteratorBaseEENKUlvE0_clEvENKUlvE0_clEvEUlfE_St5arrayIPcLm2EELi4E23TrivialOffsetCalculatorILi1EjESB_NS0_6memory15LoadWithoutCastENSC_16StoreWithoutCastEEEviT_T0_T2_T3_T4_T5_.uses_flat_scratch, 0
	.set _ZN2at6native27unrolled_elementwise_kernelIZZZNS0_15sin_kernel_cudaERNS_18TensorIteratorBaseEENKUlvE0_clEvENKUlvE0_clEvEUlfE_St5arrayIPcLm2EELi4E23TrivialOffsetCalculatorILi1EjESB_NS0_6memory15LoadWithoutCastENSC_16StoreWithoutCastEEEviT_T0_T2_T3_T4_T5_.has_dyn_sized_stack, 0
	.set _ZN2at6native27unrolled_elementwise_kernelIZZZNS0_15sin_kernel_cudaERNS_18TensorIteratorBaseEENKUlvE0_clEvENKUlvE0_clEvEUlfE_St5arrayIPcLm2EELi4E23TrivialOffsetCalculatorILi1EjESB_NS0_6memory15LoadWithoutCastENSC_16StoreWithoutCastEEEviT_T0_T2_T3_T4_T5_.has_recursion, 0
	.set _ZN2at6native27unrolled_elementwise_kernelIZZZNS0_15sin_kernel_cudaERNS_18TensorIteratorBaseEENKUlvE0_clEvENKUlvE0_clEvEUlfE_St5arrayIPcLm2EELi4E23TrivialOffsetCalculatorILi1EjESB_NS0_6memory15LoadWithoutCastENSC_16StoreWithoutCastEEEviT_T0_T2_T3_T4_T5_.has_indirect_call, 0
	.section	.AMDGPU.csdata,"",@progbits
; Kernel info:
; codeLenInByte = 4112
; TotalNumSgprs: 14
; NumVgprs: 22
; ScratchSize: 0
; MemoryBound: 0
; FloatMode: 240
; IeeeMode: 1
; LDSByteSize: 0 bytes/workgroup (compile time only)
; SGPRBlocks: 0
; VGPRBlocks: 2
; NumSGPRsForWavesPerEU: 14
; NumVGPRsForWavesPerEU: 22
; Occupancy: 16
; WaveLimiterHint : 0
; COMPUTE_PGM_RSRC2:SCRATCH_EN: 0
; COMPUTE_PGM_RSRC2:USER_SGPR: 6
; COMPUTE_PGM_RSRC2:TRAP_HANDLER: 0
; COMPUTE_PGM_RSRC2:TGID_X_EN: 1
; COMPUTE_PGM_RSRC2:TGID_Y_EN: 0
; COMPUTE_PGM_RSRC2:TGID_Z_EN: 0
; COMPUTE_PGM_RSRC2:TIDIG_COMP_CNT: 0
	.section	.text._ZN2at6native32elementwise_kernel_manual_unrollILi128ELi4EZNS0_22gpu_kernel_impl_nocastIZZZNS0_15sin_kernel_cudaERNS_18TensorIteratorBaseEENKUlvE0_clEvENKUlvE0_clEvEUlfE_EEvS4_RKT_EUlibE_EEviT1_,"axG",@progbits,_ZN2at6native32elementwise_kernel_manual_unrollILi128ELi4EZNS0_22gpu_kernel_impl_nocastIZZZNS0_15sin_kernel_cudaERNS_18TensorIteratorBaseEENKUlvE0_clEvENKUlvE0_clEvEUlfE_EEvS4_RKT_EUlibE_EEviT1_,comdat
	.globl	_ZN2at6native32elementwise_kernel_manual_unrollILi128ELi4EZNS0_22gpu_kernel_impl_nocastIZZZNS0_15sin_kernel_cudaERNS_18TensorIteratorBaseEENKUlvE0_clEvENKUlvE0_clEvEUlfE_EEvS4_RKT_EUlibE_EEviT1_ ; -- Begin function _ZN2at6native32elementwise_kernel_manual_unrollILi128ELi4EZNS0_22gpu_kernel_impl_nocastIZZZNS0_15sin_kernel_cudaERNS_18TensorIteratorBaseEENKUlvE0_clEvENKUlvE0_clEvEUlfE_EEvS4_RKT_EUlibE_EEviT1_
	.p2align	8
	.type	_ZN2at6native32elementwise_kernel_manual_unrollILi128ELi4EZNS0_22gpu_kernel_impl_nocastIZZZNS0_15sin_kernel_cudaERNS_18TensorIteratorBaseEENKUlvE0_clEvENKUlvE0_clEvEUlfE_EEvS4_RKT_EUlibE_EEviT1_,@function
_ZN2at6native32elementwise_kernel_manual_unrollILi128ELi4EZNS0_22gpu_kernel_impl_nocastIZZZNS0_15sin_kernel_cudaERNS_18TensorIteratorBaseEENKUlvE0_clEvENKUlvE0_clEvEUlfE_EEvS4_RKT_EUlibE_EEviT1_: ; @_ZN2at6native32elementwise_kernel_manual_unrollILi128ELi4EZNS0_22gpu_kernel_impl_nocastIZZZNS0_15sin_kernel_cudaERNS_18TensorIteratorBaseEENKUlvE0_clEvENKUlvE0_clEvEUlfE_EEvS4_RKT_EUlibE_EEviT1_
; %bb.0:
	s_clause 0x1
	s_load_dword s22, s[4:5], 0x8
	s_load_dword s27, s[4:5], 0x0
	v_lshl_or_b32 v6, s6, 9, v0
	s_add_u32 s2, s4, 8
	s_addc_u32 s3, s5, 0
	s_mov_b32 s0, exec_lo
	v_or_b32_e32 v11, 0x180, v6
	s_waitcnt lgkmcnt(0)
	s_add_i32 s23, s22, -1
	s_cmp_gt_u32 s23, 1
	s_cselect_b32 s24, -1, 0
	v_cmpx_le_i32_e64 s27, v11
	s_xor_b32 s25, exec_lo, s0
	s_cbranch_execz .LBB13_7
; %bb.1:
	s_clause 0x3
	s_load_dwordx4 s[12:15], s[2:3], 0x4
	s_load_dwordx2 s[16:17], s[2:3], 0x14
	s_load_dwordx4 s[8:11], s[2:3], 0xc4
	s_load_dwordx4 s[4:7], s[2:3], 0x148
	s_cmp_lg_u32 s22, 0
	s_mov_b32 s30, exec_lo
	s_cselect_b32 s29, -1, 0
	s_add_u32 s18, s2, 0xc4
	s_addc_u32 s19, s3, 0
	s_min_u32 s28, s23, 15
	s_cmp_gt_u32 s22, 1
	s_cselect_b32 s26, -1, 0
	v_cmpx_gt_i32_e64 s27, v6
	s_cbranch_execz .LBB13_14
; %bb.2:
	s_andn2_b32 vcc_lo, exec_lo, s24
	s_cbranch_vccnz .LBB13_21
; %bb.3:
	s_andn2_b32 vcc_lo, exec_lo, s29
	s_cbranch_vccnz .LBB13_89
; %bb.4:
	s_add_i32 s33, s28, 1
	s_cmp_eq_u32 s23, 2
	s_cbranch_scc1 .LBB13_91
; %bb.5:
	v_mov_b32_e32 v2, 0
	v_mov_b32_e32 v0, 0
	;; [unrolled: 1-line block ×3, first 2 shown]
	s_and_b32 s31, s33, 28
	s_mov_b32 s34, 0
	s_mov_b64 s[0:1], s[2:3]
	s_mov_b64 s[20:21], s[18:19]
.LBB13_6:                               ; =>This Inner Loop Header: Depth=1
	s_clause 0x1
	s_load_dwordx8 s[36:43], s[0:1], 0x4
	s_load_dwordx4 s[52:55], s[0:1], 0x24
	s_load_dwordx8 s[44:51], s[20:21], 0x0
	s_add_u32 s0, s0, 48
	s_addc_u32 s1, s1, 0
	s_add_i32 s34, s34, 4
	s_add_u32 s20, s20, 32
	s_addc_u32 s21, s21, 0
	s_cmp_lg_u32 s31, s34
	s_waitcnt lgkmcnt(0)
	v_mul_hi_u32 v3, s37, v1
	v_add_nc_u32_e32 v3, v1, v3
	v_lshrrev_b32_e32 v3, s38, v3
	v_mul_hi_u32 v4, s40, v3
	v_mul_lo_u32 v7, v3, s36
	v_add_nc_u32_e32 v4, v3, v4
	v_sub_nc_u32_e32 v1, v1, v7
	v_lshrrev_b32_e32 v4, s41, v4
	v_mul_lo_u32 v7, v1, s44
	v_mul_lo_u32 v9, v1, s45
	v_mul_hi_u32 v5, s43, v4
	v_add_nc_u32_e32 v5, v4, v5
	v_lshrrev_b32_e32 v5, s52, v5
	v_mul_hi_u32 v8, s54, v5
	v_mul_lo_u32 v10, v5, s42
	v_add_nc_u32_e32 v1, v5, v8
	v_mul_lo_u32 v8, v4, s39
	v_sub_nc_u32_e32 v4, v4, v10
	v_lshrrev_b32_e32 v1, s55, v1
	v_mul_lo_u32 v10, v4, s48
	v_mul_lo_u32 v4, v4, s49
	v_sub_nc_u32_e32 v3, v3, v8
	v_mul_lo_u32 v11, v1, s53
	v_mul_lo_u32 v8, v3, s46
	;; [unrolled: 1-line block ×3, first 2 shown]
	v_sub_nc_u32_e32 v5, v5, v11
	v_add3_u32 v0, v7, v0, v8
	v_mul_lo_u32 v11, v5, s50
	v_mul_lo_u32 v5, v5, s51
	v_add3_u32 v2, v9, v2, v3
	v_add3_u32 v0, v10, v0, v11
	;; [unrolled: 1-line block ×3, first 2 shown]
	s_cbranch_scc1 .LBB13_6
	s_branch .LBB13_92
.LBB13_7:
	s_andn2_saveexec_b32 s0, s25
	s_cbranch_execz .LBB13_125
.LBB13_8:
	v_cndmask_b32_e64 v10, 0, 1, s24
	s_andn2_b32 vcc_lo, exec_lo, s24
	s_cbranch_vccnz .LBB13_20
; %bb.9:
	s_cmp_lg_u32 s22, 0
	s_waitcnt lgkmcnt(0)
	s_mov_b32 s6, 0
	s_cbranch_scc0 .LBB13_23
; %bb.10:
	s_min_u32 s8, s23, 15
	s_add_i32 s8, s8, 1
	s_cmp_eq_u32 s23, 2
	s_cbranch_scc1 .LBB13_24
; %bb.11:
	v_mov_b32_e32 v4, 0
	v_mov_b32_e32 v0, 0
	;; [unrolled: 1-line block ×3, first 2 shown]
	s_and_b32 s7, s8, 28
	s_add_u32 s0, s2, 0xc4
	s_addc_u32 s1, s3, 0
	s_mov_b32 s9, 0
	s_mov_b64 s[4:5], s[2:3]
.LBB13_12:                              ; =>This Inner Loop Header: Depth=1
	s_clause 0x1
	s_load_dwordx8 s[12:19], s[4:5], 0x4
	s_load_dwordx4 s[36:39], s[4:5], 0x24
	s_load_dwordx8 s[24:31], s[0:1], 0x0
	s_add_u32 s4, s4, 48
	s_addc_u32 s5, s5, 0
	s_add_i32 s9, s9, 4
	s_add_u32 s0, s0, 32
	s_addc_u32 s1, s1, 0
	s_cmp_lg_u32 s7, s9
	s_waitcnt lgkmcnt(0)
	v_mul_hi_u32 v2, s13, v1
	v_add_nc_u32_e32 v2, v1, v2
	v_lshrrev_b32_e32 v2, s14, v2
	v_mul_hi_u32 v3, s16, v2
	v_mul_lo_u32 v7, v2, s12
	v_add_nc_u32_e32 v3, v2, v3
	v_sub_nc_u32_e32 v1, v1, v7
	v_lshrrev_b32_e32 v3, s17, v3
	v_mul_lo_u32 v7, v1, s24
	v_mul_lo_u32 v9, v1, s25
	v_mul_hi_u32 v5, s19, v3
	v_add_nc_u32_e32 v5, v3, v5
	v_lshrrev_b32_e32 v5, s36, v5
	v_mul_hi_u32 v8, s38, v5
	v_mul_lo_u32 v12, v5, s18
	v_add_nc_u32_e32 v1, v5, v8
	v_mul_lo_u32 v8, v3, s15
	v_sub_nc_u32_e32 v3, v3, v12
	v_lshrrev_b32_e32 v1, s39, v1
	v_mul_lo_u32 v12, v3, s28
	v_mul_lo_u32 v3, v3, s29
	v_sub_nc_u32_e32 v2, v2, v8
	v_mul_lo_u32 v13, v1, s37
	v_mul_lo_u32 v8, v2, s26
	;; [unrolled: 1-line block ×3, first 2 shown]
	v_sub_nc_u32_e32 v5, v5, v13
	v_add3_u32 v0, v7, v0, v8
	v_mul_lo_u32 v13, v5, s30
	v_mul_lo_u32 v5, v5, s31
	v_add3_u32 v2, v9, v4, v2
	v_add3_u32 v0, v12, v0, v13
	;; [unrolled: 1-line block ×3, first 2 shown]
	s_cbranch_scc1 .LBB13_12
; %bb.13:
	s_and_b32 s8, s8, 3
	s_cmp_eq_u32 s8, 0
	s_cbranch_scc0 .LBB13_25
	s_branch .LBB13_27
.LBB13_14:
	s_or_b32 exec_lo, exec_lo, s30
	s_mov_b32 s30, exec_lo
	v_cmpx_gt_i32_e64 s27, v6
	s_cbranch_execz .LBB13_103
.LBB13_15:
	s_andn2_b32 vcc_lo, exec_lo, s24
	s_cbranch_vccnz .LBB13_22
; %bb.16:
	s_andn2_b32 vcc_lo, exec_lo, s29
	s_cbranch_vccnz .LBB13_90
; %bb.17:
	s_add_i32 s33, s28, 1
	s_cmp_eq_u32 s23, 2
	s_cbranch_scc1 .LBB13_111
; %bb.18:
	v_mov_b32_e32 v2, 0
	v_mov_b32_e32 v0, 0
	;; [unrolled: 1-line block ×3, first 2 shown]
	s_and_b32 s31, s33, 28
	s_mov_b32 s34, 0
	s_mov_b64 s[0:1], s[2:3]
	s_mov_b64 s[20:21], s[18:19]
.LBB13_19:                              ; =>This Inner Loop Header: Depth=1
	s_clause 0x1
	s_load_dwordx8 s[36:43], s[0:1], 0x4
	s_load_dwordx4 s[52:55], s[0:1], 0x24
	s_load_dwordx8 s[44:51], s[20:21], 0x0
	s_add_u32 s0, s0, 48
	s_addc_u32 s1, s1, 0
	s_add_i32 s34, s34, 4
	s_add_u32 s20, s20, 32
	s_addc_u32 s21, s21, 0
	s_cmp_eq_u32 s31, s34
	s_waitcnt lgkmcnt(0)
	v_mul_hi_u32 v3, s37, v1
	v_add_nc_u32_e32 v3, v1, v3
	v_lshrrev_b32_e32 v3, s38, v3
	v_mul_hi_u32 v4, s40, v3
	v_mul_lo_u32 v7, v3, s36
	v_add_nc_u32_e32 v4, v3, v4
	v_sub_nc_u32_e32 v1, v1, v7
	v_lshrrev_b32_e32 v4, s41, v4
	v_mul_lo_u32 v7, v1, s44
	v_mul_lo_u32 v9, v1, s45
	v_mul_hi_u32 v5, s43, v4
	v_add_nc_u32_e32 v5, v4, v5
	v_lshrrev_b32_e32 v5, s52, v5
	v_mul_hi_u32 v8, s54, v5
	v_mul_lo_u32 v10, v5, s42
	v_add_nc_u32_e32 v1, v5, v8
	v_mul_lo_u32 v8, v4, s39
	v_sub_nc_u32_e32 v4, v4, v10
	v_lshrrev_b32_e32 v1, s55, v1
	v_mul_lo_u32 v10, v4, s48
	v_mul_lo_u32 v4, v4, s49
	v_sub_nc_u32_e32 v3, v3, v8
	v_mul_lo_u32 v11, v1, s53
	v_mul_lo_u32 v8, v3, s46
	;; [unrolled: 1-line block ×3, first 2 shown]
	v_sub_nc_u32_e32 v5, v5, v11
	v_add3_u32 v0, v7, v0, v8
	v_mul_lo_u32 v11, v5, s50
	v_mul_lo_u32 v5, v5, s51
	v_add3_u32 v2, v9, v2, v3
	v_add3_u32 v0, v10, v0, v11
	;; [unrolled: 1-line block ×3, first 2 shown]
	s_cbranch_scc0 .LBB13_19
	s_branch .LBB13_112
.LBB13_20:
	s_waitcnt lgkmcnt(0)
	s_mov_b32 s6, -1
                                        ; implicit-def: $vgpr0
                                        ; implicit-def: $vgpr4
	s_branch .LBB13_27
.LBB13_21:
                                        ; implicit-def: $vgpr0
                                        ; implicit-def: $vgpr2
	s_branch .LBB13_96
.LBB13_22:
                                        ; implicit-def: $vgpr0
                                        ; implicit-def: $vgpr2
	s_branch .LBB13_116
.LBB13_23:
	v_mov_b32_e32 v0, 0
	v_mov_b32_e32 v4, 0
	s_branch .LBB13_27
.LBB13_24:
	v_mov_b32_e32 v0, 0
	v_mov_b32_e32 v4, 0
	;; [unrolled: 1-line block ×3, first 2 shown]
	s_mov_b32 s7, 0
	s_and_b32 s8, s8, 3
	s_cmp_eq_u32 s8, 0
	s_cbranch_scc1 .LBB13_27
.LBB13_25:
	s_lshl_b32 s0, s7, 3
	s_mul_i32 s4, s7, 12
	s_add_u32 s0, s2, s0
	s_addc_u32 s1, s3, 0
	s_add_u32 s0, s0, 0xc4
	s_addc_u32 s1, s1, 0
	;; [unrolled: 2-line block ×3, first 2 shown]
	.p2align	6
.LBB13_26:                              ; =>This Inner Loop Header: Depth=1
	s_clause 0x1
	s_load_dwordx2 s[10:11], s[4:5], 0x4
	s_load_dword s7, s[4:5], 0xc
	s_load_dwordx2 s[12:13], s[0:1], 0x0
	s_add_u32 s4, s4, 12
	s_addc_u32 s5, s5, 0
	s_add_u32 s0, s0, 8
	s_addc_u32 s1, s1, 0
	s_add_i32 s8, s8, -1
	s_cmp_lg_u32 s8, 0
	s_waitcnt lgkmcnt(0)
	v_mul_hi_u32 v2, s11, v1
	v_add_nc_u32_e32 v2, v1, v2
	v_lshrrev_b32_e32 v2, s7, v2
	v_mul_lo_u32 v3, v2, s10
	v_sub_nc_u32_e32 v3, v1, v3
	v_mad_u64_u32 v[0:1], null, v3, s12, v[0:1]
	v_mad_u64_u32 v[4:5], null, v3, s13, v[4:5]
	v_mov_b32_e32 v1, v2
	s_cbranch_scc1 .LBB13_26
.LBB13_27:
	s_andn2_b32 vcc_lo, exec_lo, s6
	s_cbranch_vccnz .LBB13_30
; %bb.28:
	s_clause 0x1
	s_load_dwordx4 s[4:7], s[2:3], 0x4
	s_load_dwordx2 s[0:1], s[2:3], 0xc4
	s_cmp_lt_u32 s22, 2
	s_waitcnt lgkmcnt(0)
	v_mul_hi_u32 v0, s5, v6
	v_add_nc_u32_e32 v0, v6, v0
	v_lshrrev_b32_e32 v1, s6, v0
	v_mul_lo_u32 v0, v1, s4
	v_sub_nc_u32_e32 v2, v6, v0
	v_mul_lo_u32 v0, v2, s0
	v_mul_lo_u32 v4, v2, s1
	s_cbranch_scc1 .LBB13_30
; %bb.29:
	s_clause 0x1
	s_load_dwordx4 s[4:7], s[2:3], 0x10
	s_load_dwordx2 s[0:1], s[2:3], 0xcc
	s_waitcnt lgkmcnt(0)
	v_mul_hi_u32 v2, s5, v1
	v_add_nc_u32_e32 v2, v1, v2
	v_lshrrev_b32_e32 v2, s6, v2
	v_mul_lo_u32 v2, v2, s4
	v_sub_nc_u32_e32 v2, v1, v2
	v_mad_u64_u32 v[0:1], null, v2, s0, v[0:1]
	v_mad_u64_u32 v[4:5], null, v2, s1, v[4:5]
.LBB13_30:
	v_cmp_ne_u32_e32 vcc_lo, 1, v10
	v_add_nc_u32_e32 v3, 0x80, v6
	s_cbranch_vccnz .LBB13_36
; %bb.31:
	s_cmp_lg_u32 s22, 0
	s_mov_b32 s6, 0
	s_cbranch_scc0 .LBB13_37
; %bb.32:
	s_min_u32 s8, s23, 15
	s_add_i32 s8, s8, 1
	s_cmp_eq_u32 s23, 2
	s_cbranch_scc1 .LBB13_38
; %bb.33:
	v_mov_b32_e32 v7, 0
	v_mov_b32_e32 v1, 0
	;; [unrolled: 1-line block ×3, first 2 shown]
	s_and_b32 s7, s8, 28
	s_add_u32 s0, s2, 0xc4
	s_addc_u32 s1, s3, 0
	s_mov_b32 s9, 0
	s_mov_b64 s[4:5], s[2:3]
.LBB13_34:                              ; =>This Inner Loop Header: Depth=1
	s_clause 0x1
	s_load_dwordx8 s[12:19], s[4:5], 0x4
	s_load_dwordx4 s[36:39], s[4:5], 0x24
	s_load_dwordx8 s[24:31], s[0:1], 0x0
	s_add_u32 s4, s4, 48
	s_addc_u32 s5, s5, 0
	s_add_i32 s9, s9, 4
	s_add_u32 s0, s0, 32
	s_addc_u32 s1, s1, 0
	s_cmp_lg_u32 s7, s9
	s_waitcnt lgkmcnt(0)
	v_mul_hi_u32 v5, s13, v2
	v_add_nc_u32_e32 v5, v2, v5
	v_lshrrev_b32_e32 v5, s14, v5
	v_mul_hi_u32 v8, s16, v5
	v_mul_lo_u32 v12, v5, s12
	v_add_nc_u32_e32 v8, v5, v8
	v_sub_nc_u32_e32 v2, v2, v12
	v_lshrrev_b32_e32 v8, s17, v8
	v_mul_lo_u32 v12, v2, s24
	v_mul_lo_u32 v14, v2, s25
	v_mul_hi_u32 v9, s19, v8
	v_add_nc_u32_e32 v9, v8, v9
	v_lshrrev_b32_e32 v9, s36, v9
	v_mul_hi_u32 v13, s38, v9
	v_mul_lo_u32 v15, v9, s18
	v_add_nc_u32_e32 v2, v9, v13
	v_mul_lo_u32 v13, v8, s15
	v_sub_nc_u32_e32 v8, v8, v15
	v_lshrrev_b32_e32 v2, s39, v2
	v_mul_lo_u32 v15, v8, s28
	v_mul_lo_u32 v8, v8, s29
	v_sub_nc_u32_e32 v5, v5, v13
	v_mul_lo_u32 v16, v2, s37
	v_mul_lo_u32 v13, v5, s26
	;; [unrolled: 1-line block ×3, first 2 shown]
	v_sub_nc_u32_e32 v9, v9, v16
	v_add3_u32 v1, v12, v1, v13
	v_mul_lo_u32 v16, v9, s30
	v_mul_lo_u32 v9, v9, s31
	v_add3_u32 v5, v14, v7, v5
	v_add3_u32 v1, v15, v1, v16
	;; [unrolled: 1-line block ×3, first 2 shown]
	s_cbranch_scc1 .LBB13_34
; %bb.35:
	s_and_b32 s8, s8, 3
	s_cmp_eq_u32 s8, 0
	s_cbranch_scc0 .LBB13_39
	s_branch .LBB13_41
.LBB13_36:
	s_mov_b32 s6, -1
                                        ; implicit-def: $vgpr1
                                        ; implicit-def: $vgpr7
	s_branch .LBB13_41
.LBB13_37:
	v_mov_b32_e32 v1, 0
	v_mov_b32_e32 v7, 0
	s_branch .LBB13_41
.LBB13_38:
	v_mov_b32_e32 v1, 0
	v_mov_b32_e32 v7, 0
	v_mov_b32_e32 v2, v3
	s_mov_b32 s7, 0
	s_and_b32 s8, s8, 3
	s_cmp_eq_u32 s8, 0
	s_cbranch_scc1 .LBB13_41
.LBB13_39:
	s_lshl_b32 s0, s7, 3
	s_mul_i32 s4, s7, 12
	s_add_u32 s0, s2, s0
	s_addc_u32 s1, s3, 0
	s_add_u32 s0, s0, 0xc4
	s_addc_u32 s1, s1, 0
	;; [unrolled: 2-line block ×3, first 2 shown]
	.p2align	6
.LBB13_40:                              ; =>This Inner Loop Header: Depth=1
	s_clause 0x1
	s_load_dwordx2 s[10:11], s[4:5], 0x4
	s_load_dword s7, s[4:5], 0xc
	s_load_dwordx2 s[12:13], s[0:1], 0x0
	s_add_u32 s4, s4, 12
	s_addc_u32 s5, s5, 0
	s_add_u32 s0, s0, 8
	s_addc_u32 s1, s1, 0
	s_add_i32 s8, s8, -1
	s_cmp_lg_u32 s8, 0
	s_waitcnt lgkmcnt(0)
	v_mul_hi_u32 v5, s11, v2
	v_add_nc_u32_e32 v5, v2, v5
	v_lshrrev_b32_e32 v5, s7, v5
	v_mul_lo_u32 v8, v5, s10
	v_sub_nc_u32_e32 v8, v2, v8
	v_mad_u64_u32 v[1:2], null, v8, s12, v[1:2]
	v_mad_u64_u32 v[7:8], null, v8, s13, v[7:8]
	v_mov_b32_e32 v2, v5
	s_cbranch_scc1 .LBB13_40
.LBB13_41:
	s_andn2_b32 vcc_lo, exec_lo, s6
	s_cbranch_vccnz .LBB13_44
; %bb.42:
	s_clause 0x1
	s_load_dwordx4 s[4:7], s[2:3], 0x4
	s_load_dwordx2 s[0:1], s[2:3], 0xc4
	s_cmp_lt_u32 s22, 2
	s_waitcnt lgkmcnt(0)
	v_mul_hi_u32 v1, s5, v3
	v_add_nc_u32_e32 v1, v3, v1
	v_lshrrev_b32_e32 v2, s6, v1
	v_mul_lo_u32 v1, v2, s4
	v_sub_nc_u32_e32 v3, v3, v1
	v_mul_lo_u32 v1, v3, s0
	v_mul_lo_u32 v7, v3, s1
	s_cbranch_scc1 .LBB13_44
; %bb.43:
	s_clause 0x1
	s_load_dwordx4 s[4:7], s[2:3], 0x10
	s_load_dwordx2 s[0:1], s[2:3], 0xcc
	s_waitcnt lgkmcnt(0)
	v_mul_hi_u32 v3, s5, v2
	v_add_nc_u32_e32 v3, v2, v3
	v_lshrrev_b32_e32 v3, s6, v3
	v_mul_lo_u32 v3, v3, s4
	v_sub_nc_u32_e32 v3, v2, v3
	v_mad_u64_u32 v[1:2], null, v3, s0, v[1:2]
	v_mad_u64_u32 v[7:8], null, v3, s1, v[7:8]
.LBB13_44:
	v_cmp_ne_u32_e32 vcc_lo, 1, v10
	v_add_nc_u32_e32 v5, 0x100, v6
	s_cbranch_vccnz .LBB13_50
; %bb.45:
	s_cmp_lg_u32 s22, 0
	s_mov_b32 s6, 0
	s_cbranch_scc0 .LBB13_51
; %bb.46:
	s_min_u32 s8, s23, 15
	s_add_i32 s8, s8, 1
	s_cmp_eq_u32 s23, 2
	s_cbranch_scc1 .LBB13_52
; %bb.47:
	v_mov_b32_e32 v8, 0
	v_mov_b32_e32 v2, 0
	;; [unrolled: 1-line block ×3, first 2 shown]
	s_and_b32 s7, s8, 28
	s_add_u32 s0, s2, 0xc4
	s_addc_u32 s1, s3, 0
	s_mov_b32 s9, 0
	s_mov_b64 s[4:5], s[2:3]
.LBB13_48:                              ; =>This Inner Loop Header: Depth=1
	s_clause 0x1
	s_load_dwordx8 s[12:19], s[4:5], 0x4
	s_load_dwordx4 s[36:39], s[4:5], 0x24
	s_load_dwordx8 s[24:31], s[0:1], 0x0
	s_add_u32 s4, s4, 48
	s_addc_u32 s5, s5, 0
	s_add_i32 s9, s9, 4
	s_add_u32 s0, s0, 32
	s_addc_u32 s1, s1, 0
	s_cmp_lg_u32 s7, s9
	s_waitcnt lgkmcnt(0)
	v_mul_hi_u32 v6, s13, v3
	v_add_nc_u32_e32 v6, v3, v6
	v_lshrrev_b32_e32 v6, s14, v6
	v_mul_hi_u32 v9, s16, v6
	v_mul_lo_u32 v13, v6, s12
	v_add_nc_u32_e32 v9, v6, v9
	v_sub_nc_u32_e32 v3, v3, v13
	v_lshrrev_b32_e32 v9, s17, v9
	v_mul_lo_u32 v13, v3, s24
	v_mul_lo_u32 v15, v3, s25
	v_mul_hi_u32 v12, s19, v9
	v_add_nc_u32_e32 v12, v9, v12
	v_lshrrev_b32_e32 v12, s36, v12
	v_mul_hi_u32 v14, s38, v12
	v_mul_lo_u32 v16, v12, s18
	v_add_nc_u32_e32 v3, v12, v14
	v_mul_lo_u32 v14, v9, s15
	v_sub_nc_u32_e32 v9, v9, v16
	v_lshrrev_b32_e32 v3, s39, v3
	v_mul_lo_u32 v16, v9, s28
	v_mul_lo_u32 v9, v9, s29
	v_sub_nc_u32_e32 v6, v6, v14
	v_mul_lo_u32 v17, v3, s37
	v_mul_lo_u32 v14, v6, s26
	v_mul_lo_u32 v6, v6, s27
	v_sub_nc_u32_e32 v12, v12, v17
	v_add3_u32 v2, v13, v2, v14
	v_mul_lo_u32 v17, v12, s30
	v_mul_lo_u32 v12, v12, s31
	v_add3_u32 v6, v15, v8, v6
	v_add3_u32 v2, v16, v2, v17
	;; [unrolled: 1-line block ×3, first 2 shown]
	s_cbranch_scc1 .LBB13_48
; %bb.49:
	s_and_b32 s8, s8, 3
	s_cmp_eq_u32 s8, 0
	s_cbranch_scc0 .LBB13_53
	s_branch .LBB13_55
.LBB13_50:
	s_mov_b32 s6, -1
                                        ; implicit-def: $vgpr2
                                        ; implicit-def: $vgpr8
	s_branch .LBB13_55
.LBB13_51:
	v_mov_b32_e32 v2, 0
	v_mov_b32_e32 v8, 0
	s_branch .LBB13_55
.LBB13_52:
	v_mov_b32_e32 v2, 0
	v_mov_b32_e32 v8, 0
	;; [unrolled: 1-line block ×3, first 2 shown]
	s_mov_b32 s7, 0
	s_and_b32 s8, s8, 3
	s_cmp_eq_u32 s8, 0
	s_cbranch_scc1 .LBB13_55
.LBB13_53:
	s_lshl_b32 s0, s7, 3
	s_mul_i32 s4, s7, 12
	s_add_u32 s0, s2, s0
	s_addc_u32 s1, s3, 0
	s_add_u32 s0, s0, 0xc4
	s_addc_u32 s1, s1, 0
	;; [unrolled: 2-line block ×3, first 2 shown]
	.p2align	6
.LBB13_54:                              ; =>This Inner Loop Header: Depth=1
	s_clause 0x1
	s_load_dwordx2 s[10:11], s[4:5], 0x4
	s_load_dword s7, s[4:5], 0xc
	s_load_dwordx2 s[12:13], s[0:1], 0x0
	s_add_u32 s4, s4, 12
	s_addc_u32 s5, s5, 0
	s_add_u32 s0, s0, 8
	s_addc_u32 s1, s1, 0
	s_add_i32 s8, s8, -1
	s_cmp_lg_u32 s8, 0
	s_waitcnt lgkmcnt(0)
	v_mul_hi_u32 v6, s11, v3
	v_add_nc_u32_e32 v6, v3, v6
	v_lshrrev_b32_e32 v6, s7, v6
	v_mul_lo_u32 v9, v6, s10
	v_sub_nc_u32_e32 v9, v3, v9
	v_mad_u64_u32 v[2:3], null, v9, s12, v[2:3]
	v_mad_u64_u32 v[8:9], null, v9, s13, v[8:9]
	v_mov_b32_e32 v3, v6
	s_cbranch_scc1 .LBB13_54
.LBB13_55:
	s_andn2_b32 vcc_lo, exec_lo, s6
	s_cbranch_vccnz .LBB13_58
; %bb.56:
	s_clause 0x1
	s_load_dwordx4 s[4:7], s[2:3], 0x4
	s_load_dwordx2 s[0:1], s[2:3], 0xc4
	s_cmp_lt_u32 s22, 2
	s_waitcnt lgkmcnt(0)
	v_mul_hi_u32 v2, s5, v5
	v_add_nc_u32_e32 v2, v5, v2
	v_lshrrev_b32_e32 v3, s6, v2
	v_mul_lo_u32 v2, v3, s4
	v_sub_nc_u32_e32 v5, v5, v2
	v_mul_lo_u32 v2, v5, s0
	v_mul_lo_u32 v8, v5, s1
	s_cbranch_scc1 .LBB13_58
; %bb.57:
	s_clause 0x1
	s_load_dwordx4 s[4:7], s[2:3], 0x10
	s_load_dwordx2 s[0:1], s[2:3], 0xcc
	s_waitcnt lgkmcnt(0)
	v_mul_hi_u32 v5, s5, v3
	v_add_nc_u32_e32 v5, v3, v5
	v_lshrrev_b32_e32 v5, s6, v5
	v_mul_lo_u32 v5, v5, s4
	v_sub_nc_u32_e32 v5, v3, v5
	v_mad_u64_u32 v[2:3], null, v5, s0, v[2:3]
	v_mad_u64_u32 v[8:9], null, v5, s1, v[8:9]
.LBB13_58:
	v_cmp_ne_u32_e32 vcc_lo, 1, v10
	s_cbranch_vccnz .LBB13_64
; %bb.59:
	s_cmp_lg_u32 s22, 0
	s_mov_b32 s6, 0
	s_cbranch_scc0 .LBB13_65
; %bb.60:
	s_min_u32 s8, s23, 15
	s_add_i32 s8, s8, 1
	s_cmp_eq_u32 s23, 2
	s_cbranch_scc1 .LBB13_66
; %bb.61:
	v_mov_b32_e32 v9, 0
	v_mov_b32_e32 v5, 0
	;; [unrolled: 1-line block ×3, first 2 shown]
	s_and_b32 s7, s8, 28
	s_add_u32 s0, s2, 0xc4
	s_addc_u32 s1, s3, 0
	s_mov_b32 s9, 0
	s_mov_b64 s[4:5], s[2:3]
.LBB13_62:                              ; =>This Inner Loop Header: Depth=1
	s_clause 0x1
	s_load_dwordx8 s[12:19], s[4:5], 0x4
	s_load_dwordx4 s[36:39], s[4:5], 0x24
	s_load_dwordx8 s[24:31], s[0:1], 0x0
	s_add_u32 s4, s4, 48
	s_addc_u32 s5, s5, 0
	s_add_i32 s9, s9, 4
	s_add_u32 s0, s0, 32
	s_addc_u32 s1, s1, 0
	s_cmp_lg_u32 s7, s9
	s_waitcnt lgkmcnt(0)
	v_mul_hi_u32 v6, s13, v3
	v_add_nc_u32_e32 v6, v3, v6
	v_lshrrev_b32_e32 v6, s14, v6
	v_mul_hi_u32 v10, s16, v6
	v_mul_lo_u32 v13, v6, s12
	v_add_nc_u32_e32 v10, v6, v10
	v_sub_nc_u32_e32 v3, v3, v13
	v_lshrrev_b32_e32 v10, s17, v10
	v_mul_lo_u32 v13, v3, s24
	v_mul_lo_u32 v15, v3, s25
	v_mul_hi_u32 v12, s19, v10
	v_add_nc_u32_e32 v12, v10, v12
	v_lshrrev_b32_e32 v12, s36, v12
	v_mul_hi_u32 v14, s38, v12
	v_mul_lo_u32 v16, v12, s18
	v_add_nc_u32_e32 v3, v12, v14
	v_mul_lo_u32 v14, v10, s15
	v_sub_nc_u32_e32 v10, v10, v16
	v_lshrrev_b32_e32 v3, s39, v3
	v_mul_lo_u32 v16, v10, s28
	v_mul_lo_u32 v10, v10, s29
	v_sub_nc_u32_e32 v6, v6, v14
	v_mul_lo_u32 v17, v3, s37
	v_mul_lo_u32 v14, v6, s26
	;; [unrolled: 1-line block ×3, first 2 shown]
	v_sub_nc_u32_e32 v12, v12, v17
	v_add3_u32 v5, v13, v5, v14
	v_mul_lo_u32 v17, v12, s30
	v_mul_lo_u32 v12, v12, s31
	v_add3_u32 v6, v15, v9, v6
	v_add3_u32 v5, v16, v5, v17
	v_add3_u32 v9, v10, v6, v12
	s_cbranch_scc1 .LBB13_62
; %bb.63:
	s_and_b32 s8, s8, 3
	s_cmp_eq_u32 s8, 0
	s_cbranch_scc0 .LBB13_67
	s_branch .LBB13_69
.LBB13_64:
	s_mov_b32 s6, -1
                                        ; implicit-def: $vgpr5
                                        ; implicit-def: $vgpr9
	s_branch .LBB13_69
.LBB13_65:
	v_mov_b32_e32 v5, 0
	v_mov_b32_e32 v9, 0
	s_branch .LBB13_69
.LBB13_66:
	v_mov_b32_e32 v5, 0
	v_mov_b32_e32 v9, 0
	;; [unrolled: 1-line block ×3, first 2 shown]
	s_mov_b32 s7, 0
	s_and_b32 s8, s8, 3
	s_cmp_eq_u32 s8, 0
	s_cbranch_scc1 .LBB13_69
.LBB13_67:
	s_lshl_b32 s0, s7, 3
	s_mul_i32 s4, s7, 12
	s_add_u32 s0, s2, s0
	s_addc_u32 s1, s3, 0
	s_add_u32 s0, s0, 0xc4
	s_addc_u32 s1, s1, 0
	s_add_u32 s4, s2, s4
	s_addc_u32 s5, s3, 0
	.p2align	6
.LBB13_68:                              ; =>This Inner Loop Header: Depth=1
	s_clause 0x1
	s_load_dwordx2 s[10:11], s[4:5], 0x4
	s_load_dword s7, s[4:5], 0xc
	s_load_dwordx2 s[12:13], s[0:1], 0x0
	s_add_u32 s4, s4, 12
	s_addc_u32 s5, s5, 0
	s_add_u32 s0, s0, 8
	s_addc_u32 s1, s1, 0
	s_add_i32 s8, s8, -1
	s_cmp_lg_u32 s8, 0
	s_waitcnt lgkmcnt(0)
	v_mul_hi_u32 v6, s11, v3
	v_add_nc_u32_e32 v6, v3, v6
	v_lshrrev_b32_e32 v12, s7, v6
	v_mul_lo_u32 v6, v12, s10
	v_sub_nc_u32_e32 v3, v3, v6
	v_mad_u64_u32 v[5:6], null, v3, s12, v[5:6]
	v_mad_u64_u32 v[9:10], null, v3, s13, v[9:10]
	v_mov_b32_e32 v3, v12
	s_cbranch_scc1 .LBB13_68
.LBB13_69:
	s_andn2_b32 vcc_lo, exec_lo, s6
	s_cbranch_vccnz .LBB13_72
; %bb.70:
	s_clause 0x1
	s_load_dwordx4 s[4:7], s[2:3], 0x4
	s_load_dwordx2 s[0:1], s[2:3], 0xc4
	s_cmp_lt_u32 s22, 2
	s_waitcnt lgkmcnt(0)
	v_mul_hi_u32 v3, s5, v11
	v_add_nc_u32_e32 v3, v11, v3
	v_lshrrev_b32_e32 v3, s6, v3
	v_mul_lo_u32 v5, v3, s4
	v_sub_nc_u32_e32 v6, v11, v5
	v_mul_lo_u32 v5, v6, s0
	v_mul_lo_u32 v9, v6, s1
	s_cbranch_scc1 .LBB13_72
; %bb.71:
	s_clause 0x1
	s_load_dwordx4 s[4:7], s[2:3], 0x10
	s_load_dwordx2 s[0:1], s[2:3], 0xcc
	s_waitcnt lgkmcnt(0)
	v_mul_hi_u32 v6, s5, v3
	v_add_nc_u32_e32 v6, v3, v6
	v_lshrrev_b32_e32 v6, s6, v6
	v_mul_lo_u32 v6, v6, s4
	v_sub_nc_u32_e32 v3, v3, v6
	v_mad_u64_u32 v[5:6], null, v3, s0, v[5:6]
	v_mad_u64_u32 v[9:10], null, v3, s1, v[9:10]
.LBB13_72:
	s_load_dwordx4 s[4:7], s[2:3], 0x148
                                        ; implicit-def: $vgpr10
                                        ; implicit-def: $vgpr6
	s_mov_b32 s1, exec_lo
	s_waitcnt lgkmcnt(0)
	global_load_dword v3, v4, s[6:7]
	s_waitcnt vmcnt(0)
	v_and_b32_e32 v4, 0x7fffffff, v3
	v_cmpx_ngt_f32_e64 0x48000000, |v3|
	s_xor_b32 s2, exec_lo, s1
	s_cbranch_execz .LBB13_74
; %bb.73:
	s_mov_b32 s0, 0x7fffff
	v_mov_b32_e32 v12, 0
	v_and_or_b32 v6, v4, s0, 0x800000
	v_lshrrev_b32_e32 v17, 23, v4
	v_mad_u64_u32 v[10:11], null, 0xfe5163ab, v6, 0
	v_add_nc_u32_e32 v18, 0xffffff88, v17
	v_cmp_lt_u32_e32 vcc_lo, 63, v18
	v_mad_u64_u32 v[13:14], null, 0x3c439041, v6, v[11:12]
	v_cndmask_b32_e64 v19, 0, 0xffffffc0, vcc_lo
	v_mov_b32_e32 v11, v14
	v_add_nc_u32_e32 v19, v19, v18
	v_mad_u64_u32 v[14:15], null, 0xdb629599, v6, v[11:12]
	v_cmp_lt_u32_e64 s0, 31, v19
	v_cndmask_b32_e64 v20, 0, 0xffffffe0, s0
	v_mov_b32_e32 v11, v15
	v_cndmask_b32_e32 v10, v14, v10, vcc_lo
	v_mad_u64_u32 v[15:16], null, 0xf534ddc0, v6, v[11:12]
	v_mov_b32_e32 v11, v16
	v_cndmask_b32_e32 v13, v15, v13, vcc_lo
	v_mad_u64_u32 v[16:17], null, 0xfc2757d1, v6, v[11:12]
	v_cndmask_b32_e64 v10, v13, v10, s0
	v_mov_b32_e32 v11, v17
	v_mad_u64_u32 v[17:18], null, 0x4e441529, v6, v[11:12]
	v_mov_b32_e32 v11, v18
	v_add_nc_u32_e32 v18, v20, v19
	v_cndmask_b32_e32 v19, v17, v15, vcc_lo
	v_mad_u64_u32 v[11:12], null, 0xa2f9836e, v6, v[11:12]
	v_cmp_lt_u32_e64 s1, 31, v18
	v_cndmask_b32_e64 v6, 0, 0xffffffe0, s1
	v_cndmask_b32_e32 v11, v11, v16, vcc_lo
	v_cndmask_b32_e32 v12, v12, v17, vcc_lo
	;; [unrolled: 1-line block ×3, first 2 shown]
	v_add_nc_u32_e32 v6, v6, v18
	v_cndmask_b32_e64 v15, v11, v19, s0
	v_cndmask_b32_e64 v11, v12, v11, s0
	;; [unrolled: 1-line block ×4, first 2 shown]
	v_sub_nc_u32_e32 v17, 32, v6
	v_cmp_eq_u32_e32 vcc_lo, 0, v6
	v_cndmask_b32_e64 v11, v11, v15, s1
	v_cndmask_b32_e64 v15, v15, v12, s1
	;; [unrolled: 1-line block ×4, first 2 shown]
	v_alignbit_b32 v18, v11, v15, v17
	v_alignbit_b32 v14, v15, v12, v17
	;; [unrolled: 1-line block ×3, first 2 shown]
	v_cndmask_b32_e32 v6, v18, v11, vcc_lo
	v_cndmask_b32_e32 v11, v14, v15, vcc_lo
	;; [unrolled: 1-line block ×3, first 2 shown]
	v_bfe_u32 v13, v6, 29, 1
	v_alignbit_b32 v14, v6, v11, 30
	v_alignbit_b32 v11, v11, v12, 30
	;; [unrolled: 1-line block ×3, first 2 shown]
	v_sub_nc_u32_e32 v15, 0, v13
	v_xor_b32_e32 v14, v14, v15
	v_xor_b32_e32 v11, v11, v15
	;; [unrolled: 1-line block ×3, first 2 shown]
	v_lshrrev_b32_e32 v15, 29, v6
	v_ffbh_u32_e32 v16, v14
	v_min_u32_e32 v16, 32, v16
	v_sub_nc_u32_e32 v12, 31, v16
	v_lshlrev_b32_e32 v17, 23, v16
	v_alignbit_b32 v14, v14, v11, v12
	v_alignbit_b32 v10, v11, v10, v12
	v_lshlrev_b32_e32 v11, 31, v15
	v_alignbit_b32 v12, v14, v10, 9
	v_or_b32_e32 v15, 0.5, v11
	v_lshrrev_b32_e32 v14, 9, v14
	v_or_b32_e32 v11, 0x33000000, v11
	v_ffbh_u32_e32 v18, v12
	v_sub_nc_u32_e32 v15, v15, v17
	v_min_u32_e32 v17, 32, v18
	v_or_b32_e32 v14, v14, v15
	v_not_b32_e32 v15, v17
	v_mul_f32_e32 v18, 0x3fc90fda, v14
	v_add_lshl_u32 v16, v17, v16, 23
	v_alignbit_b32 v10, v12, v10, v15
	v_fma_f32 v12, 0x3fc90fda, v14, -v18
	v_sub_nc_u32_e32 v11, v11, v16
	v_lshrrev_b32_e32 v10, 9, v10
	v_fmamk_f32 v12, v14, 0x33a22168, v12
	v_or_b32_e32 v10, v11, v10
	v_fmac_f32_e32 v12, 0x3fc90fda, v10
	v_lshrrev_b32_e32 v10, 30, v6
	v_add_f32_e32 v6, v18, v12
	v_add_nc_u32_e32 v10, v13, v10
.LBB13_74:
	s_andn2_saveexec_b32 s0, s2
; %bb.75:
	v_mul_f32_e64 v6, 0x3f22f983, |v3|
	v_rndne_f32_e32 v10, v6
	v_fma_f32 v6, 0xbfc90fda, v10, |v3|
	v_fmamk_f32 v6, v10, 0xb3a22168, v6
	v_fmamk_f32 v6, v10, 0xa7c234c4, v6
	v_cvt_i32_f32_e32 v10, v10
; %bb.76:
	s_or_b32 exec_lo, exec_lo, s0
	global_load_dword v7, v7, s[6:7]
                                        ; implicit-def: $vgpr13
                                        ; implicit-def: $vgpr12
	s_mov_b32 s1, exec_lo
	s_waitcnt vmcnt(0)
	v_and_b32_e32 v11, 0x7fffffff, v7
	v_cmpx_ngt_f32_e64 0x48000000, |v7|
	s_xor_b32 s2, exec_lo, s1
	s_cbranch_execz .LBB13_78
; %bb.77:
	s_mov_b32 s0, 0x7fffff
	v_mov_b32_e32 v14, 0
	v_and_or_b32 v21, v11, s0, 0x800000
	v_lshrrev_b32_e32 v19, 23, v11
	v_mad_u64_u32 v[12:13], null, 0xfe5163ab, v21, 0
	v_add_nc_u32_e32 v20, 0xffffff88, v19
	v_cmp_lt_u32_e32 vcc_lo, 63, v20
	v_mad_u64_u32 v[15:16], null, 0x3c439041, v21, v[13:14]
	v_cndmask_b32_e64 v22, 0, 0xffffffc0, vcc_lo
	v_mov_b32_e32 v13, v16
	v_add_nc_u32_e32 v22, v22, v20
	v_mad_u64_u32 v[16:17], null, 0xdb629599, v21, v[13:14]
	v_cmp_lt_u32_e64 s0, 31, v22
	v_cndmask_b32_e64 v23, 0, 0xffffffe0, s0
	v_mov_b32_e32 v13, v17
	v_cndmask_b32_e32 v12, v16, v12, vcc_lo
	v_mad_u64_u32 v[17:18], null, 0xf534ddc0, v21, v[13:14]
	v_mov_b32_e32 v13, v18
	v_cndmask_b32_e32 v15, v17, v15, vcc_lo
	v_mad_u64_u32 v[18:19], null, 0xfc2757d1, v21, v[13:14]
	v_cndmask_b32_e64 v12, v15, v12, s0
	v_mov_b32_e32 v13, v19
	v_mad_u64_u32 v[19:20], null, 0x4e441529, v21, v[13:14]
	v_mov_b32_e32 v13, v20
	v_add_nc_u32_e32 v20, v23, v22
	v_cndmask_b32_e32 v22, v19, v17, vcc_lo
	v_mad_u64_u32 v[13:14], null, 0xa2f9836e, v21, v[13:14]
	v_cmp_lt_u32_e64 s1, 31, v20
	v_cndmask_b32_e64 v21, 0, 0xffffffe0, s1
	v_cndmask_b32_e32 v13, v13, v18, vcc_lo
	v_cndmask_b32_e32 v14, v14, v19, vcc_lo
	;; [unrolled: 1-line block ×3, first 2 shown]
	v_add_nc_u32_e32 v19, v21, v20
	v_cndmask_b32_e64 v17, v13, v22, s0
	v_cndmask_b32_e64 v13, v14, v13, s0
	;; [unrolled: 1-line block ×4, first 2 shown]
	v_sub_nc_u32_e32 v20, 32, v19
	v_cmp_eq_u32_e32 vcc_lo, 0, v19
	v_cndmask_b32_e64 v13, v13, v17, s1
	v_cndmask_b32_e64 v17, v17, v14, s1
	;; [unrolled: 1-line block ×4, first 2 shown]
	v_alignbit_b32 v21, v13, v17, v20
	v_alignbit_b32 v16, v17, v14, v20
	;; [unrolled: 1-line block ×3, first 2 shown]
	v_cndmask_b32_e32 v13, v21, v13, vcc_lo
	v_cndmask_b32_e32 v15, v16, v17, vcc_lo
	;; [unrolled: 1-line block ×3, first 2 shown]
	v_bfe_u32 v16, v13, 29, 1
	v_alignbit_b32 v17, v13, v15, 30
	v_alignbit_b32 v15, v15, v14, 30
	;; [unrolled: 1-line block ×3, first 2 shown]
	v_sub_nc_u32_e32 v18, 0, v16
	v_xor_b32_e32 v17, v17, v18
	v_xor_b32_e32 v14, v15, v18
	;; [unrolled: 1-line block ×3, first 2 shown]
	v_lshrrev_b32_e32 v18, 29, v13
	v_lshrrev_b32_e32 v13, 30, v13
	v_ffbh_u32_e32 v19, v17
	v_add_nc_u32_e32 v13, v16, v13
	v_min_u32_e32 v19, 32, v19
	v_sub_nc_u32_e32 v15, 31, v19
	v_lshlrev_b32_e32 v20, 23, v19
	v_alignbit_b32 v17, v17, v14, v15
	v_alignbit_b32 v12, v14, v12, v15
	v_lshlrev_b32_e32 v14, 31, v18
	v_alignbit_b32 v15, v17, v12, 9
	v_or_b32_e32 v18, 0.5, v14
	v_lshrrev_b32_e32 v17, 9, v17
	v_or_b32_e32 v14, 0x33000000, v14
	v_ffbh_u32_e32 v21, v15
	v_sub_nc_u32_e32 v18, v18, v20
	v_min_u32_e32 v20, 32, v21
	v_or_b32_e32 v17, v17, v18
	v_not_b32_e32 v18, v20
	v_mul_f32_e32 v21, 0x3fc90fda, v17
	v_add_lshl_u32 v19, v20, v19, 23
	v_alignbit_b32 v12, v15, v12, v18
	v_fma_f32 v15, 0x3fc90fda, v17, -v21
	v_sub_nc_u32_e32 v14, v14, v19
	v_lshrrev_b32_e32 v12, 9, v12
	v_fmamk_f32 v15, v17, 0x33a22168, v15
	v_or_b32_e32 v12, v14, v12
	v_fmac_f32_e32 v15, 0x3fc90fda, v12
	v_add_f32_e32 v12, v21, v15
.LBB13_78:
	s_andn2_saveexec_b32 s0, s2
; %bb.79:
	v_mul_f32_e64 v12, 0x3f22f983, |v7|
	v_rndne_f32_e32 v13, v12
	v_fma_f32 v12, 0xbfc90fda, v13, |v7|
	v_fmamk_f32 v12, v13, 0xb3a22168, v12
	v_fmamk_f32 v12, v13, 0xa7c234c4, v12
	v_cvt_i32_f32_e32 v13, v13
; %bb.80:
	s_or_b32 exec_lo, exec_lo, s0
	global_load_dword v8, v8, s[6:7]
                                        ; implicit-def: $vgpr17
                                        ; implicit-def: $vgpr16
	s_mov_b32 s1, exec_lo
	s_waitcnt vmcnt(0)
	v_and_b32_e32 v14, 0x7fffffff, v8
	v_cmpx_ngt_f32_e64 0x48000000, |v8|
	s_xor_b32 s2, exec_lo, s1
	s_cbranch_execz .LBB13_82
; %bb.81:
	s_mov_b32 s0, 0x7fffff
	v_mov_b32_e32 v17, 0
	v_and_or_b32 v24, v14, s0, 0x800000
	v_lshrrev_b32_e32 v22, 23, v14
	v_mad_u64_u32 v[15:16], null, 0xfe5163ab, v24, 0
	v_add_nc_u32_e32 v23, 0xffffff88, v22
	v_cmp_lt_u32_e32 vcc_lo, 63, v23
	v_mad_u64_u32 v[18:19], null, 0x3c439041, v24, v[16:17]
	v_cndmask_b32_e64 v25, 0, 0xffffffc0, vcc_lo
	v_mov_b32_e32 v16, v19
	v_add_nc_u32_e32 v25, v25, v23
	v_mad_u64_u32 v[19:20], null, 0xdb629599, v24, v[16:17]
	v_cmp_lt_u32_e64 s0, 31, v25
	v_cndmask_b32_e64 v26, 0, 0xffffffe0, s0
	v_mov_b32_e32 v16, v20
	v_cndmask_b32_e32 v15, v19, v15, vcc_lo
	v_mad_u64_u32 v[20:21], null, 0xf534ddc0, v24, v[16:17]
	v_mov_b32_e32 v16, v21
	v_cndmask_b32_e32 v18, v20, v18, vcc_lo
	v_mad_u64_u32 v[21:22], null, 0xfc2757d1, v24, v[16:17]
	v_cndmask_b32_e64 v15, v18, v15, s0
	v_mov_b32_e32 v16, v22
	v_mad_u64_u32 v[22:23], null, 0x4e441529, v24, v[16:17]
	v_mov_b32_e32 v16, v23
	v_add_nc_u32_e32 v23, v26, v25
	v_cndmask_b32_e32 v25, v22, v20, vcc_lo
	v_mad_u64_u32 v[16:17], null, 0xa2f9836e, v24, v[16:17]
	v_cmp_lt_u32_e64 s1, 31, v23
	v_cndmask_b32_e64 v24, 0, 0xffffffe0, s1
	v_cndmask_b32_e32 v16, v16, v21, vcc_lo
	v_cndmask_b32_e32 v17, v17, v22, vcc_lo
	;; [unrolled: 1-line block ×3, first 2 shown]
	v_add_nc_u32_e32 v22, v24, v23
	v_cndmask_b32_e64 v20, v16, v25, s0
	v_cndmask_b32_e64 v16, v17, v16, s0
	v_cndmask_b32_e64 v17, v25, v21, s0
	v_cndmask_b32_e64 v21, v21, v18, s0
	v_sub_nc_u32_e32 v23, 32, v22
	v_cmp_eq_u32_e32 vcc_lo, 0, v22
	v_cndmask_b32_e64 v16, v16, v20, s1
	v_cndmask_b32_e64 v20, v20, v17, s1
	;; [unrolled: 1-line block ×4, first 2 shown]
	v_alignbit_b32 v24, v16, v20, v23
	v_alignbit_b32 v19, v20, v17, v23
	v_alignbit_b32 v22, v17, v15, v23
	v_cndmask_b32_e32 v16, v24, v16, vcc_lo
	v_cndmask_b32_e32 v18, v19, v20, vcc_lo
	;; [unrolled: 1-line block ×3, first 2 shown]
	v_bfe_u32 v19, v16, 29, 1
	v_alignbit_b32 v20, v16, v18, 30
	v_alignbit_b32 v18, v18, v17, 30
	;; [unrolled: 1-line block ×3, first 2 shown]
	v_sub_nc_u32_e32 v21, 0, v19
	v_xor_b32_e32 v20, v20, v21
	v_xor_b32_e32 v17, v18, v21
	v_xor_b32_e32 v15, v15, v21
	v_lshrrev_b32_e32 v21, 29, v16
	v_ffbh_u32_e32 v22, v20
	v_min_u32_e32 v22, 32, v22
	v_sub_nc_u32_e32 v18, 31, v22
	v_lshlrev_b32_e32 v23, 23, v22
	v_alignbit_b32 v20, v20, v17, v18
	v_alignbit_b32 v15, v17, v15, v18
	v_lshlrev_b32_e32 v17, 31, v21
	v_alignbit_b32 v18, v20, v15, 9
	v_or_b32_e32 v21, 0.5, v17
	v_lshrrev_b32_e32 v20, 9, v20
	v_or_b32_e32 v17, 0x33000000, v17
	v_ffbh_u32_e32 v24, v18
	v_sub_nc_u32_e32 v21, v21, v23
	v_min_u32_e32 v23, 32, v24
	v_or_b32_e32 v20, v20, v21
	v_not_b32_e32 v21, v23
	v_mul_f32_e32 v24, 0x3fc90fda, v20
	v_add_lshl_u32 v22, v23, v22, 23
	v_alignbit_b32 v15, v18, v15, v21
	v_fma_f32 v18, 0x3fc90fda, v20, -v24
	v_sub_nc_u32_e32 v17, v17, v22
	v_lshrrev_b32_e32 v15, 9, v15
	v_fmamk_f32 v18, v20, 0x33a22168, v18
	v_or_b32_e32 v15, v17, v15
	v_fmac_f32_e32 v18, 0x3fc90fda, v15
	v_lshrrev_b32_e32 v15, 30, v16
	v_add_f32_e32 v16, v24, v18
	v_add_nc_u32_e32 v17, v19, v15
.LBB13_82:
	s_andn2_saveexec_b32 s0, s2
; %bb.83:
	v_mul_f32_e64 v15, 0x3f22f983, |v8|
	v_rndne_f32_e32 v15, v15
	v_fma_f32 v16, 0xbfc90fda, v15, |v8|
	v_cvt_i32_f32_e32 v17, v15
	v_fmamk_f32 v16, v15, 0xb3a22168, v16
	v_fmamk_f32 v16, v15, 0xa7c234c4, v16
; %bb.84:
	s_or_b32 exec_lo, exec_lo, s0
	global_load_dword v9, v9, s[6:7]
                                        ; implicit-def: $vgpr19
                                        ; implicit-def: $vgpr18
	s_mov_b32 s1, exec_lo
	s_waitcnt vmcnt(0)
	v_and_b32_e32 v15, 0x7fffffff, v9
	v_cmpx_ngt_f32_e64 0x48000000, |v9|
	s_xor_b32 s2, exec_lo, s1
	s_cbranch_execz .LBB13_86
; %bb.85:
	s_mov_b32 s0, 0x7fffff
	v_mov_b32_e32 v20, 0
	v_and_or_b32 v27, v15, s0, 0x800000
	v_lshrrev_b32_e32 v25, 23, v15
	v_mad_u64_u32 v[18:19], null, 0xfe5163ab, v27, 0
	v_add_nc_u32_e32 v26, 0xffffff88, v25
	v_cmp_lt_u32_e32 vcc_lo, 63, v26
	v_mad_u64_u32 v[21:22], null, 0x3c439041, v27, v[19:20]
	v_cndmask_b32_e64 v28, 0, 0xffffffc0, vcc_lo
	v_mov_b32_e32 v19, v22
	v_add_nc_u32_e32 v28, v28, v26
	v_mad_u64_u32 v[22:23], null, 0xdb629599, v27, v[19:20]
	v_cmp_lt_u32_e64 s0, 31, v28
	v_cndmask_b32_e64 v29, 0, 0xffffffe0, s0
	v_mov_b32_e32 v19, v23
	v_cndmask_b32_e32 v18, v22, v18, vcc_lo
	v_mad_u64_u32 v[23:24], null, 0xf534ddc0, v27, v[19:20]
	v_mov_b32_e32 v19, v24
	v_cndmask_b32_e32 v21, v23, v21, vcc_lo
	v_mad_u64_u32 v[24:25], null, 0xfc2757d1, v27, v[19:20]
	v_cndmask_b32_e64 v18, v21, v18, s0
	v_mov_b32_e32 v19, v25
	v_mad_u64_u32 v[25:26], null, 0x4e441529, v27, v[19:20]
	v_mov_b32_e32 v19, v26
	v_add_nc_u32_e32 v26, v29, v28
	v_cndmask_b32_e32 v28, v25, v23, vcc_lo
	v_mad_u64_u32 v[19:20], null, 0xa2f9836e, v27, v[19:20]
	v_cmp_lt_u32_e64 s1, 31, v26
	v_cndmask_b32_e64 v27, 0, 0xffffffe0, s1
	v_cndmask_b32_e32 v19, v19, v24, vcc_lo
	v_cndmask_b32_e32 v20, v20, v25, vcc_lo
	;; [unrolled: 1-line block ×3, first 2 shown]
	v_add_nc_u32_e32 v25, v27, v26
	v_cndmask_b32_e64 v23, v19, v28, s0
	v_cndmask_b32_e64 v19, v20, v19, s0
	;; [unrolled: 1-line block ×4, first 2 shown]
	v_sub_nc_u32_e32 v26, 32, v25
	v_cmp_eq_u32_e32 vcc_lo, 0, v25
	v_cndmask_b32_e64 v19, v19, v23, s1
	v_cndmask_b32_e64 v23, v23, v20, s1
	;; [unrolled: 1-line block ×4, first 2 shown]
	v_alignbit_b32 v27, v19, v23, v26
	v_alignbit_b32 v22, v23, v20, v26
	;; [unrolled: 1-line block ×3, first 2 shown]
	v_cndmask_b32_e32 v19, v27, v19, vcc_lo
	v_cndmask_b32_e32 v21, v22, v23, vcc_lo
	;; [unrolled: 1-line block ×3, first 2 shown]
	v_bfe_u32 v22, v19, 29, 1
	v_alignbit_b32 v23, v19, v21, 30
	v_alignbit_b32 v21, v21, v20, 30
	;; [unrolled: 1-line block ×3, first 2 shown]
	v_sub_nc_u32_e32 v24, 0, v22
	v_xor_b32_e32 v23, v23, v24
	v_xor_b32_e32 v20, v21, v24
	;; [unrolled: 1-line block ×3, first 2 shown]
	v_lshrrev_b32_e32 v24, 29, v19
	v_lshrrev_b32_e32 v19, 30, v19
	v_ffbh_u32_e32 v25, v23
	v_add_nc_u32_e32 v19, v22, v19
	v_min_u32_e32 v25, 32, v25
	v_sub_nc_u32_e32 v21, 31, v25
	v_lshlrev_b32_e32 v26, 23, v25
	v_alignbit_b32 v23, v23, v20, v21
	v_alignbit_b32 v18, v20, v18, v21
	v_lshlrev_b32_e32 v20, 31, v24
	v_alignbit_b32 v21, v23, v18, 9
	v_or_b32_e32 v24, 0.5, v20
	v_lshrrev_b32_e32 v23, 9, v23
	v_or_b32_e32 v20, 0x33000000, v20
	v_ffbh_u32_e32 v27, v21
	v_sub_nc_u32_e32 v24, v24, v26
	v_min_u32_e32 v26, 32, v27
	v_or_b32_e32 v23, v23, v24
	v_not_b32_e32 v24, v26
	v_mul_f32_e32 v27, 0x3fc90fda, v23
	v_add_lshl_u32 v25, v26, v25, 23
	v_alignbit_b32 v18, v21, v18, v24
	v_fma_f32 v21, 0x3fc90fda, v23, -v27
	v_sub_nc_u32_e32 v20, v20, v25
	v_lshrrev_b32_e32 v18, 9, v18
	v_fmamk_f32 v21, v23, 0x33a22168, v21
	v_or_b32_e32 v18, v20, v18
	v_fmac_f32_e32 v21, 0x3fc90fda, v18
	v_add_f32_e32 v18, v27, v21
.LBB13_86:
	s_andn2_saveexec_b32 s0, s2
; %bb.87:
	v_mul_f32_e64 v18, 0x3f22f983, |v9|
	v_rndne_f32_e32 v19, v18
	v_fma_f32 v18, 0xbfc90fda, v19, |v9|
	v_fmamk_f32 v18, v19, 0xb3a22168, v18
	v_fmamk_f32 v18, v19, 0xa7c234c4, v18
	v_cvt_i32_f32_e32 v19, v19
; %bb.88:
	s_or_b32 exec_lo, exec_lo, s0
	v_mul_f32_e32 v20, v16, v16
	s_mov_b32 s0, 0xb94c1982
	s_mov_b32 s1, 0x37d75334
	v_mul_f32_e32 v24, v12, v12
	v_and_b32_e32 v21, 1, v17
	v_fmaak_f32 v22, s0, v20, 0x3c0881c4
	v_fmaak_f32 v23, s1, v20, 0xbab64f3b
	v_lshlrev_b32_e32 v17, 30, v17
	v_fmaak_f32 v26, s0, v24, 0x3c0881c4
	v_fmaak_f32 v27, s1, v24, 0xbab64f3b
	;; [unrolled: 1-line block ×4, first 2 shown]
	v_mul_f32_e32 v25, v6, v6
	v_fmaak_f32 v26, v24, v26, 0xbe2aaa9d
	v_fmaak_f32 v27, v24, v27, 0x3d2aabf7
	v_mul_f32_e32 v22, v20, v22
	v_fmaak_f32 v23, v20, v23, 0xbf000004
	v_cmp_eq_u32_e32 vcc_lo, 0, v21
	v_xor_b32_e32 v14, v14, v8
	v_and_b32_e32 v17, 0x80000000, v17
	v_fmac_f32_e32 v16, v16, v22
	v_fma_f32 v20, v20, v23, 1.0
	v_fmaak_f32 v22, s0, v25, 0x3c0881c4
	v_mul_f32_e32 v23, v24, v26
	v_fmaak_f32 v26, v24, v27, 0xbf000004
	v_xor_b32_e32 v4, v4, v3
	v_cndmask_b32_e32 v16, v20, v16, vcc_lo
	v_and_b32_e32 v20, 1, v13
	v_fmaak_f32 v21, v25, v22, 0xbe2aaa9d
	v_fmac_f32_e32 v12, v12, v23
	v_fma_f32 v22, v24, v26, 1.0
	v_xor3_b32 v14, v14, v17, v16
	v_fmaak_f32 v16, s1, v25, 0xbab64f3b
	v_mul_f32_e32 v17, v18, v18
	v_cmp_eq_u32_e32 vcc_lo, 0, v20
	v_mul_f32_e32 v20, v25, v21
	v_lshlrev_b32_e32 v13, 30, v13
	v_fmaak_f32 v16, v25, v16, 0x3d2aabf7
	v_fmaak_f32 v21, s0, v17, 0x3c0881c4
	v_cndmask_b32_e32 v12, v22, v12, vcc_lo
	v_fmaak_f32 v22, s1, v17, 0xbab64f3b
	v_fmac_f32_e32 v6, v6, v20
	v_fmaak_f32 v16, v25, v16, 0xbf000004
	v_fmaak_f32 v20, v17, v21, 0xbe2aaa9d
	v_and_b32_e32 v13, 0x80000000, v13
	v_fmaak_f32 v21, v17, v22, 0x3d2aabf7
	v_and_b32_e32 v22, 1, v10
	v_fma_f32 v16, v25, v16, 1.0
	v_mul_f32_e32 v20, v17, v20
	v_lshlrev_b32_e32 v10, 30, v10
	v_fmaak_f32 v21, v17, v21, 0xbf000004
	v_cmp_eq_u32_e32 vcc_lo, 0, v22
	v_xor_b32_e32 v11, v11, v7
	v_fmac_f32_e32 v18, v18, v20
	v_and_b32_e32 v10, 0x80000000, v10
	v_fma_f32 v17, v17, v21, 1.0
	v_cndmask_b32_e32 v6, v16, v6, vcc_lo
	v_and_b32_e32 v16, 1, v19
	v_lshlrev_b32_e32 v19, 30, v19
	v_xor_b32_e32 v15, v15, v9
	v_xor3_b32 v4, v4, v10, v6
	v_cmp_eq_u32_e32 vcc_lo, 0, v16
	v_cndmask_b32_e32 v16, v17, v18, vcc_lo
	v_cmp_class_f32_e64 vcc_lo, v8, 0x1f8
	v_and_b32_e32 v17, 0x80000000, v19
	v_xor3_b32 v8, v11, v13, v12
	v_cndmask_b32_e32 v6, 0x7fc00000, v14, vcc_lo
	v_cmp_class_f32_e64 vcc_lo, v3, 0x1f8
	v_xor3_b32 v10, v15, v17, v16
	v_cndmask_b32_e32 v3, 0x7fc00000, v4, vcc_lo
	v_cmp_class_f32_e64 vcc_lo, v7, 0x1f8
	v_cndmask_b32_e32 v4, 0x7fc00000, v8, vcc_lo
	v_cmp_class_f32_e64 vcc_lo, v9, 0x1f8
	v_cndmask_b32_e32 v7, 0x7fc00000, v10, vcc_lo
	global_store_dword v0, v3, s[4:5]
	global_store_dword v1, v4, s[4:5]
	;; [unrolled: 1-line block ×4, first 2 shown]
	s_endpgm
.LBB13_89:
	v_mov_b32_e32 v0, 0
	v_mov_b32_e32 v2, 0
	s_branch .LBB13_95
.LBB13_90:
	v_mov_b32_e32 v0, 0
	v_mov_b32_e32 v2, 0
	s_branch .LBB13_115
.LBB13_91:
	v_mov_b32_e32 v0, 0
	v_mov_b32_e32 v2, 0
	;; [unrolled: 1-line block ×3, first 2 shown]
	s_mov_b32 s31, 0
.LBB13_92:
	s_and_b32 s33, s33, 3
	s_cmp_eq_u32 s33, 0
	s_cbranch_scc1 .LBB13_95
; %bb.93:
	s_lshl_b32 s0, s31, 3
	s_mul_i32 s20, s31, 12
	s_add_u32 s0, s2, s0
	s_addc_u32 s1, s3, 0
	s_add_u32 s0, s0, 0xc4
	s_addc_u32 s1, s1, 0
	;; [unrolled: 2-line block ×3, first 2 shown]
	.p2align	6
.LBB13_94:                              ; =>This Inner Loop Header: Depth=1
	s_clause 0x1
	s_load_dwordx2 s[34:35], s[20:21], 0x4
	s_load_dword s31, s[20:21], 0xc
	s_load_dwordx2 s[36:37], s[0:1], 0x0
	s_add_u32 s20, s20, 12
	s_addc_u32 s21, s21, 0
	s_add_u32 s0, s0, 8
	s_addc_u32 s1, s1, 0
	s_add_i32 s33, s33, -1
	s_cmp_lg_u32 s33, 0
	s_waitcnt lgkmcnt(0)
	v_mul_hi_u32 v3, s35, v1
	v_add_nc_u32_e32 v3, v1, v3
	v_lshrrev_b32_e32 v4, s31, v3
	v_mul_lo_u32 v3, v4, s34
	v_sub_nc_u32_e32 v3, v1, v3
	v_mad_u64_u32 v[0:1], null, v3, s36, v[0:1]
	v_mad_u64_u32 v[2:3], null, v3, s37, v[2:3]
	v_mov_b32_e32 v1, v4
	s_cbranch_scc1 .LBB13_94
.LBB13_95:
	s_cbranch_execnz .LBB13_98
.LBB13_96:
	s_waitcnt lgkmcnt(0)
	v_mul_hi_u32 v0, s13, v6
	s_andn2_b32 vcc_lo, exec_lo, s26
	v_add_nc_u32_e32 v0, v6, v0
	v_lshrrev_b32_e32 v1, s14, v0
	v_mul_lo_u32 v0, v1, s12
	v_sub_nc_u32_e32 v2, v6, v0
	v_mul_lo_u32 v0, v2, s8
	v_mul_lo_u32 v2, v2, s9
	s_cbranch_vccnz .LBB13_98
; %bb.97:
	v_mul_hi_u32 v3, s16, v1
	v_add_nc_u32_e32 v3, v1, v3
	v_lshrrev_b32_e32 v3, s17, v3
	v_mul_lo_u32 v3, v3, s15
	v_sub_nc_u32_e32 v3, v1, v3
	v_mad_u64_u32 v[0:1], null, v3, s10, v[0:1]
	v_mad_u64_u32 v[2:3], null, v3, s11, v[2:3]
.LBB13_98:
	s_waitcnt lgkmcnt(0)
	global_load_dword v1, v2, s[6:7]
                                        ; implicit-def: $vgpr4
                                        ; implicit-def: $vgpr3
	s_mov_b32 s1, exec_lo
	s_waitcnt vmcnt(0)
	v_and_b32_e32 v2, 0x7fffffff, v1
	v_cmpx_ngt_f32_e64 0x48000000, |v1|
	s_xor_b32 s20, exec_lo, s1
	s_cbranch_execz .LBB13_100
; %bb.99:
	s_mov_b32 s0, 0x7fffff
	v_mov_b32_e32 v5, 0
	v_and_or_b32 v13, v2, s0, 0x800000
	v_lshrrev_b32_e32 v11, 23, v2
	v_mad_u64_u32 v[3:4], null, 0xfe5163ab, v13, 0
	v_add_nc_u32_e32 v12, 0xffffff88, v11
	v_cmp_lt_u32_e32 vcc_lo, 63, v12
	v_mad_u64_u32 v[7:8], null, 0x3c439041, v13, v[4:5]
	v_cndmask_b32_e64 v14, 0, 0xffffffc0, vcc_lo
	v_mov_b32_e32 v4, v8
	v_add_nc_u32_e32 v14, v14, v12
	v_mad_u64_u32 v[8:9], null, 0xdb629599, v13, v[4:5]
	v_cmp_lt_u32_e64 s0, 31, v14
	v_cndmask_b32_e64 v15, 0, 0xffffffe0, s0
	v_mov_b32_e32 v4, v9
	v_cndmask_b32_e32 v3, v8, v3, vcc_lo
	v_mad_u64_u32 v[9:10], null, 0xf534ddc0, v13, v[4:5]
	v_mov_b32_e32 v4, v10
	v_cndmask_b32_e32 v7, v9, v7, vcc_lo
	v_mad_u64_u32 v[10:11], null, 0xfc2757d1, v13, v[4:5]
	v_cndmask_b32_e64 v3, v7, v3, s0
	v_mov_b32_e32 v4, v11
	v_mad_u64_u32 v[11:12], null, 0x4e441529, v13, v[4:5]
	v_mov_b32_e32 v4, v12
	v_add_nc_u32_e32 v12, v15, v14
	v_cndmask_b32_e32 v14, v11, v9, vcc_lo
	v_mad_u64_u32 v[4:5], null, 0xa2f9836e, v13, v[4:5]
	v_cmp_lt_u32_e64 s1, 31, v12
	v_cndmask_b32_e64 v13, 0, 0xffffffe0, s1
	v_cndmask_b32_e32 v4, v4, v10, vcc_lo
	v_cndmask_b32_e32 v5, v5, v11, vcc_lo
	;; [unrolled: 1-line block ×3, first 2 shown]
	v_add_nc_u32_e32 v11, v13, v12
	v_cndmask_b32_e64 v9, v4, v14, s0
	v_cndmask_b32_e64 v4, v5, v4, s0
	;; [unrolled: 1-line block ×4, first 2 shown]
	v_sub_nc_u32_e32 v12, 32, v11
	v_cmp_eq_u32_e32 vcc_lo, 0, v11
	v_cndmask_b32_e64 v4, v4, v9, s1
	v_cndmask_b32_e64 v9, v9, v5, s1
	;; [unrolled: 1-line block ×4, first 2 shown]
	v_alignbit_b32 v13, v4, v9, v12
	v_alignbit_b32 v8, v9, v5, v12
	;; [unrolled: 1-line block ×3, first 2 shown]
	v_cndmask_b32_e32 v4, v13, v4, vcc_lo
	v_cndmask_b32_e32 v7, v8, v9, vcc_lo
	;; [unrolled: 1-line block ×3, first 2 shown]
	v_bfe_u32 v8, v4, 29, 1
	v_alignbit_b32 v9, v4, v7, 30
	v_alignbit_b32 v7, v7, v5, 30
	;; [unrolled: 1-line block ×3, first 2 shown]
	v_sub_nc_u32_e32 v10, 0, v8
	v_xor_b32_e32 v9, v9, v10
	v_xor_b32_e32 v5, v7, v10
	v_xor_b32_e32 v3, v3, v10
	v_lshrrev_b32_e32 v10, 29, v4
	v_lshrrev_b32_e32 v4, 30, v4
	v_ffbh_u32_e32 v11, v9
	v_add_nc_u32_e32 v4, v8, v4
	v_min_u32_e32 v11, 32, v11
	v_sub_nc_u32_e32 v7, 31, v11
	v_lshlrev_b32_e32 v12, 23, v11
	v_alignbit_b32 v9, v9, v5, v7
	v_alignbit_b32 v3, v5, v3, v7
	v_lshlrev_b32_e32 v5, 31, v10
	v_alignbit_b32 v7, v9, v3, 9
	v_or_b32_e32 v10, 0.5, v5
	v_lshrrev_b32_e32 v9, 9, v9
	v_or_b32_e32 v5, 0x33000000, v5
	v_ffbh_u32_e32 v13, v7
	v_sub_nc_u32_e32 v10, v10, v12
	v_min_u32_e32 v12, 32, v13
	v_or_b32_e32 v9, v9, v10
	v_not_b32_e32 v10, v12
	v_mul_f32_e32 v13, 0x3fc90fda, v9
	v_add_lshl_u32 v11, v12, v11, 23
	v_alignbit_b32 v3, v7, v3, v10
	v_fma_f32 v7, 0x3fc90fda, v9, -v13
	v_sub_nc_u32_e32 v5, v5, v11
	v_lshrrev_b32_e32 v3, 9, v3
	v_fmamk_f32 v7, v9, 0x33a22168, v7
	v_or_b32_e32 v3, v5, v3
	v_fmac_f32_e32 v7, 0x3fc90fda, v3
	v_add_f32_e32 v3, v13, v7
.LBB13_100:
	s_andn2_saveexec_b32 s0, s20
; %bb.101:
	v_mul_f32_e64 v3, 0x3f22f983, |v1|
	v_rndne_f32_e32 v4, v3
	v_fma_f32 v3, 0xbfc90fda, v4, |v1|
	v_fmamk_f32 v3, v4, 0xb3a22168, v3
	v_fmamk_f32 v3, v4, 0xa7c234c4, v3
	v_cvt_i32_f32_e32 v4, v4
; %bb.102:
	s_or_b32 exec_lo, exec_lo, s0
	v_mul_f32_e32 v5, v3, v3
	s_mov_b32 s0, 0xb94c1982
	s_mov_b32 s1, 0x37d75334
	v_and_b32_e32 v9, 1, v4
	v_lshlrev_b32_e32 v4, 30, v4
	v_fmaak_f32 v7, s0, v5, 0x3c0881c4
	v_fmaak_f32 v8, s1, v5, 0xbab64f3b
	v_xor_b32_e32 v2, v2, v1
	v_cmp_eq_u32_e32 vcc_lo, 0, v9
	v_and_b32_e32 v4, 0x80000000, v4
	v_fmaak_f32 v7, v5, v7, 0xbe2aaa9d
	v_fmaak_f32 v8, v5, v8, 0x3d2aabf7
	v_add_nc_u32_e32 v6, 0x80, v6
	v_mul_f32_e32 v7, v5, v7
	v_fmaak_f32 v8, v5, v8, 0xbf000004
	v_fmac_f32_e32 v3, v3, v7
	v_fma_f32 v5, v5, v8, 1.0
	v_cndmask_b32_e32 v3, v5, v3, vcc_lo
	v_cmp_class_f32_e64 vcc_lo, v1, 0x1f8
	v_xor3_b32 v2, v2, v4, v3
	v_cndmask_b32_e32 v1, 0x7fc00000, v2, vcc_lo
	global_store_dword v0, v1, s[4:5]
	s_or_b32 exec_lo, exec_lo, s30
	s_mov_b32 s30, exec_lo
	v_cmpx_gt_i32_e64 s27, v6
	s_cbranch_execnz .LBB13_15
.LBB13_103:
	s_or_b32 exec_lo, exec_lo, s30
	s_mov_b32 s30, exec_lo
	v_cmpx_gt_i32_e64 s27, v6
	s_cbranch_execz .LBB13_123
.LBB13_104:
	s_andn2_b32 vcc_lo, exec_lo, s24
	s_cbranch_vccnz .LBB13_109
; %bb.105:
	s_andn2_b32 vcc_lo, exec_lo, s29
	s_cbranch_vccnz .LBB13_110
; %bb.106:
	s_add_i32 s33, s28, 1
	s_cmp_eq_u32 s23, 2
	s_cbranch_scc1 .LBB13_126
; %bb.107:
	v_mov_b32_e32 v2, 0
	v_mov_b32_e32 v0, 0
	v_mov_b32_e32 v1, v6
	s_and_b32 s31, s33, 28
	s_mov_b32 s34, 0
	s_mov_b64 s[0:1], s[2:3]
	s_mov_b64 s[20:21], s[18:19]
.LBB13_108:                             ; =>This Inner Loop Header: Depth=1
	s_clause 0x1
	s_load_dwordx8 s[36:43], s[0:1], 0x4
	s_load_dwordx4 s[52:55], s[0:1], 0x24
	s_load_dwordx8 s[44:51], s[20:21], 0x0
	s_add_u32 s0, s0, 48
	s_addc_u32 s1, s1, 0
	s_add_i32 s34, s34, 4
	s_add_u32 s20, s20, 32
	s_addc_u32 s21, s21, 0
	s_cmp_eq_u32 s31, s34
	s_waitcnt lgkmcnt(0)
	v_mul_hi_u32 v3, s37, v1
	v_add_nc_u32_e32 v3, v1, v3
	v_lshrrev_b32_e32 v3, s38, v3
	v_mul_hi_u32 v4, s40, v3
	v_mul_lo_u32 v7, v3, s36
	v_add_nc_u32_e32 v4, v3, v4
	v_sub_nc_u32_e32 v1, v1, v7
	v_lshrrev_b32_e32 v4, s41, v4
	v_mul_lo_u32 v7, v1, s44
	v_mul_lo_u32 v9, v1, s45
	v_mul_hi_u32 v5, s43, v4
	v_add_nc_u32_e32 v5, v4, v5
	v_lshrrev_b32_e32 v5, s52, v5
	v_mul_hi_u32 v8, s54, v5
	v_mul_lo_u32 v10, v5, s42
	v_add_nc_u32_e32 v1, v5, v8
	v_mul_lo_u32 v8, v4, s39
	v_sub_nc_u32_e32 v4, v4, v10
	v_lshrrev_b32_e32 v1, s55, v1
	v_mul_lo_u32 v10, v4, s48
	v_mul_lo_u32 v4, v4, s49
	v_sub_nc_u32_e32 v3, v3, v8
	v_mul_lo_u32 v11, v1, s53
	v_mul_lo_u32 v8, v3, s46
	;; [unrolled: 1-line block ×3, first 2 shown]
	v_sub_nc_u32_e32 v5, v5, v11
	v_add3_u32 v0, v7, v0, v8
	v_mul_lo_u32 v11, v5, s50
	v_mul_lo_u32 v5, v5, s51
	v_add3_u32 v2, v9, v2, v3
	v_add3_u32 v0, v10, v0, v11
	;; [unrolled: 1-line block ×3, first 2 shown]
	s_cbranch_scc0 .LBB13_108
	s_branch .LBB13_127
.LBB13_109:
                                        ; implicit-def: $vgpr0
                                        ; implicit-def: $vgpr2
	s_branch .LBB13_131
.LBB13_110:
	v_mov_b32_e32 v0, 0
	v_mov_b32_e32 v2, 0
	s_branch .LBB13_130
.LBB13_111:
	v_mov_b32_e32 v0, 0
	v_mov_b32_e32 v2, 0
	;; [unrolled: 1-line block ×3, first 2 shown]
	s_mov_b32 s31, 0
.LBB13_112:
	s_and_b32 s33, s33, 3
	s_cmp_eq_u32 s33, 0
	s_cbranch_scc1 .LBB13_115
; %bb.113:
	s_lshl_b32 s0, s31, 3
	s_mul_i32 s20, s31, 12
	s_add_u32 s0, s2, s0
	s_addc_u32 s1, s3, 0
	s_add_u32 s0, s0, 0xc4
	s_addc_u32 s1, s1, 0
	s_add_u32 s20, s2, s20
	s_addc_u32 s21, s3, 0
	.p2align	6
.LBB13_114:                             ; =>This Inner Loop Header: Depth=1
	s_clause 0x1
	s_load_dwordx2 s[34:35], s[20:21], 0x4
	s_load_dword s31, s[20:21], 0xc
	s_load_dwordx2 s[36:37], s[0:1], 0x0
	s_add_u32 s20, s20, 12
	s_addc_u32 s21, s21, 0
	s_add_u32 s0, s0, 8
	s_addc_u32 s1, s1, 0
	s_add_i32 s33, s33, -1
	s_cmp_lg_u32 s33, 0
	s_waitcnt lgkmcnt(0)
	v_mul_hi_u32 v3, s35, v1
	v_add_nc_u32_e32 v3, v1, v3
	v_lshrrev_b32_e32 v4, s31, v3
	v_mul_lo_u32 v3, v4, s34
	v_sub_nc_u32_e32 v3, v1, v3
	v_mad_u64_u32 v[0:1], null, v3, s36, v[0:1]
	v_mad_u64_u32 v[2:3], null, v3, s37, v[2:3]
	v_mov_b32_e32 v1, v4
	s_cbranch_scc1 .LBB13_114
.LBB13_115:
	s_cbranch_execnz .LBB13_118
.LBB13_116:
	s_waitcnt lgkmcnt(0)
	v_mul_hi_u32 v0, s13, v6
	s_andn2_b32 vcc_lo, exec_lo, s26
	v_add_nc_u32_e32 v0, v6, v0
	v_lshrrev_b32_e32 v1, s14, v0
	v_mul_lo_u32 v0, v1, s12
	v_sub_nc_u32_e32 v2, v6, v0
	v_mul_lo_u32 v0, v2, s8
	v_mul_lo_u32 v2, v2, s9
	s_cbranch_vccnz .LBB13_118
; %bb.117:
	v_mul_hi_u32 v3, s16, v1
	v_add_nc_u32_e32 v3, v1, v3
	v_lshrrev_b32_e32 v3, s17, v3
	v_mul_lo_u32 v3, v3, s15
	v_sub_nc_u32_e32 v3, v1, v3
	v_mad_u64_u32 v[0:1], null, v3, s10, v[0:1]
	v_mad_u64_u32 v[2:3], null, v3, s11, v[2:3]
.LBB13_118:
	s_waitcnt lgkmcnt(0)
	global_load_dword v1, v2, s[6:7]
                                        ; implicit-def: $vgpr4
                                        ; implicit-def: $vgpr3
	s_mov_b32 s1, exec_lo
	s_waitcnt vmcnt(0)
	v_and_b32_e32 v2, 0x7fffffff, v1
	v_cmpx_ngt_f32_e64 0x48000000, |v1|
	s_xor_b32 s20, exec_lo, s1
	s_cbranch_execz .LBB13_120
; %bb.119:
	s_mov_b32 s0, 0x7fffff
	v_mov_b32_e32 v5, 0
	v_and_or_b32 v13, v2, s0, 0x800000
	v_lshrrev_b32_e32 v11, 23, v2
	v_mad_u64_u32 v[3:4], null, 0xfe5163ab, v13, 0
	v_add_nc_u32_e32 v12, 0xffffff88, v11
	v_cmp_lt_u32_e32 vcc_lo, 63, v12
	v_mad_u64_u32 v[7:8], null, 0x3c439041, v13, v[4:5]
	v_cndmask_b32_e64 v14, 0, 0xffffffc0, vcc_lo
	v_mov_b32_e32 v4, v8
	v_add_nc_u32_e32 v14, v14, v12
	v_mad_u64_u32 v[8:9], null, 0xdb629599, v13, v[4:5]
	v_cmp_lt_u32_e64 s0, 31, v14
	v_cndmask_b32_e64 v15, 0, 0xffffffe0, s0
	v_mov_b32_e32 v4, v9
	v_cndmask_b32_e32 v3, v8, v3, vcc_lo
	v_mad_u64_u32 v[9:10], null, 0xf534ddc0, v13, v[4:5]
	v_mov_b32_e32 v4, v10
	v_cndmask_b32_e32 v7, v9, v7, vcc_lo
	v_mad_u64_u32 v[10:11], null, 0xfc2757d1, v13, v[4:5]
	v_cndmask_b32_e64 v3, v7, v3, s0
	v_mov_b32_e32 v4, v11
	v_mad_u64_u32 v[11:12], null, 0x4e441529, v13, v[4:5]
	v_mov_b32_e32 v4, v12
	v_add_nc_u32_e32 v12, v15, v14
	v_cndmask_b32_e32 v14, v11, v9, vcc_lo
	v_mad_u64_u32 v[4:5], null, 0xa2f9836e, v13, v[4:5]
	v_cmp_lt_u32_e64 s1, 31, v12
	v_cndmask_b32_e64 v13, 0, 0xffffffe0, s1
	v_cndmask_b32_e32 v4, v4, v10, vcc_lo
	v_cndmask_b32_e32 v5, v5, v11, vcc_lo
	;; [unrolled: 1-line block ×3, first 2 shown]
	v_add_nc_u32_e32 v11, v13, v12
	v_cndmask_b32_e64 v9, v4, v14, s0
	v_cndmask_b32_e64 v4, v5, v4, s0
	;; [unrolled: 1-line block ×4, first 2 shown]
	v_sub_nc_u32_e32 v12, 32, v11
	v_cmp_eq_u32_e32 vcc_lo, 0, v11
	v_cndmask_b32_e64 v4, v4, v9, s1
	v_cndmask_b32_e64 v9, v9, v5, s1
	;; [unrolled: 1-line block ×4, first 2 shown]
	v_alignbit_b32 v13, v4, v9, v12
	v_alignbit_b32 v8, v9, v5, v12
	v_alignbit_b32 v11, v5, v3, v12
	v_cndmask_b32_e32 v4, v13, v4, vcc_lo
	v_cndmask_b32_e32 v7, v8, v9, vcc_lo
	;; [unrolled: 1-line block ×3, first 2 shown]
	v_bfe_u32 v8, v4, 29, 1
	v_alignbit_b32 v9, v4, v7, 30
	v_alignbit_b32 v7, v7, v5, 30
	;; [unrolled: 1-line block ×3, first 2 shown]
	v_sub_nc_u32_e32 v10, 0, v8
	v_xor_b32_e32 v9, v9, v10
	v_xor_b32_e32 v5, v7, v10
	;; [unrolled: 1-line block ×3, first 2 shown]
	v_lshrrev_b32_e32 v10, 29, v4
	v_lshrrev_b32_e32 v4, 30, v4
	v_ffbh_u32_e32 v11, v9
	v_add_nc_u32_e32 v4, v8, v4
	v_min_u32_e32 v11, 32, v11
	v_sub_nc_u32_e32 v7, 31, v11
	v_lshlrev_b32_e32 v12, 23, v11
	v_alignbit_b32 v9, v9, v5, v7
	v_alignbit_b32 v3, v5, v3, v7
	v_lshlrev_b32_e32 v5, 31, v10
	v_alignbit_b32 v7, v9, v3, 9
	v_or_b32_e32 v10, 0.5, v5
	v_lshrrev_b32_e32 v9, 9, v9
	v_or_b32_e32 v5, 0x33000000, v5
	v_ffbh_u32_e32 v13, v7
	v_sub_nc_u32_e32 v10, v10, v12
	v_min_u32_e32 v12, 32, v13
	v_or_b32_e32 v9, v9, v10
	v_not_b32_e32 v10, v12
	v_mul_f32_e32 v13, 0x3fc90fda, v9
	v_add_lshl_u32 v11, v12, v11, 23
	v_alignbit_b32 v3, v7, v3, v10
	v_fma_f32 v7, 0x3fc90fda, v9, -v13
	v_sub_nc_u32_e32 v5, v5, v11
	v_lshrrev_b32_e32 v3, 9, v3
	v_fmamk_f32 v7, v9, 0x33a22168, v7
	v_or_b32_e32 v3, v5, v3
	v_fmac_f32_e32 v7, 0x3fc90fda, v3
	v_add_f32_e32 v3, v13, v7
.LBB13_120:
	s_andn2_saveexec_b32 s0, s20
; %bb.121:
	v_mul_f32_e64 v3, 0x3f22f983, |v1|
	v_rndne_f32_e32 v4, v3
	v_fma_f32 v3, 0xbfc90fda, v4, |v1|
	v_fmamk_f32 v3, v4, 0xb3a22168, v3
	v_fmamk_f32 v3, v4, 0xa7c234c4, v3
	v_cvt_i32_f32_e32 v4, v4
; %bb.122:
	s_or_b32 exec_lo, exec_lo, s0
	v_mul_f32_e32 v5, v3, v3
	s_mov_b32 s0, 0xb94c1982
	s_mov_b32 s1, 0x37d75334
	v_and_b32_e32 v9, 1, v4
	v_lshlrev_b32_e32 v4, 30, v4
	v_fmaak_f32 v7, s0, v5, 0x3c0881c4
	v_fmaak_f32 v8, s1, v5, 0xbab64f3b
	v_xor_b32_e32 v2, v2, v1
	v_cmp_eq_u32_e32 vcc_lo, 0, v9
	v_and_b32_e32 v4, 0x80000000, v4
	v_fmaak_f32 v7, v5, v7, 0xbe2aaa9d
	v_fmaak_f32 v8, v5, v8, 0x3d2aabf7
	v_add_nc_u32_e32 v6, 0x80, v6
	v_mul_f32_e32 v7, v5, v7
	v_fmaak_f32 v8, v5, v8, 0xbf000004
	v_fmac_f32_e32 v3, v3, v7
	v_fma_f32 v5, v5, v8, 1.0
	v_cndmask_b32_e32 v3, v5, v3, vcc_lo
	v_cmp_class_f32_e64 vcc_lo, v1, 0x1f8
	v_xor3_b32 v2, v2, v4, v3
	v_cndmask_b32_e32 v1, 0x7fc00000, v2, vcc_lo
	global_store_dword v0, v1, s[4:5]
	s_or_b32 exec_lo, exec_lo, s30
	s_mov_b32 s30, exec_lo
	v_cmpx_gt_i32_e64 s27, v6
	s_cbranch_execnz .LBB13_104
.LBB13_123:
	s_or_b32 exec_lo, exec_lo, s30
	s_mov_b32 s20, exec_lo
	v_cmpx_gt_i32_e64 s27, v6
	s_cbranch_execnz .LBB13_138
.LBB13_124:
	s_or_b32 exec_lo, exec_lo, s20
                                        ; implicit-def: $vgpr11
                                        ; implicit-def: $vgpr6
	s_andn2_saveexec_b32 s0, s25
	s_cbranch_execnz .LBB13_8
.LBB13_125:
	s_endpgm
.LBB13_126:
	v_mov_b32_e32 v0, 0
	v_mov_b32_e32 v2, 0
	;; [unrolled: 1-line block ×3, first 2 shown]
	s_mov_b32 s31, 0
.LBB13_127:
	s_and_b32 s33, s33, 3
	s_cmp_eq_u32 s33, 0
	s_cbranch_scc1 .LBB13_130
; %bb.128:
	s_lshl_b32 s0, s31, 3
	s_mul_i32 s20, s31, 12
	s_add_u32 s0, s2, s0
	s_addc_u32 s1, s3, 0
	s_add_u32 s0, s0, 0xc4
	s_addc_u32 s1, s1, 0
	;; [unrolled: 2-line block ×3, first 2 shown]
	.p2align	6
.LBB13_129:                             ; =>This Inner Loop Header: Depth=1
	s_clause 0x1
	s_load_dwordx2 s[34:35], s[20:21], 0x4
	s_load_dword s31, s[20:21], 0xc
	s_load_dwordx2 s[36:37], s[0:1], 0x0
	s_add_u32 s20, s20, 12
	s_addc_u32 s21, s21, 0
	s_add_u32 s0, s0, 8
	s_addc_u32 s1, s1, 0
	s_add_i32 s33, s33, -1
	s_cmp_lg_u32 s33, 0
	s_waitcnt lgkmcnt(0)
	v_mul_hi_u32 v3, s35, v1
	v_add_nc_u32_e32 v3, v1, v3
	v_lshrrev_b32_e32 v4, s31, v3
	v_mul_lo_u32 v3, v4, s34
	v_sub_nc_u32_e32 v3, v1, v3
	v_mad_u64_u32 v[0:1], null, v3, s36, v[0:1]
	v_mad_u64_u32 v[2:3], null, v3, s37, v[2:3]
	v_mov_b32_e32 v1, v4
	s_cbranch_scc1 .LBB13_129
.LBB13_130:
	s_cbranch_execnz .LBB13_133
.LBB13_131:
	s_waitcnt lgkmcnt(0)
	v_mul_hi_u32 v0, s13, v6
	s_andn2_b32 vcc_lo, exec_lo, s26
	v_add_nc_u32_e32 v0, v6, v0
	v_lshrrev_b32_e32 v1, s14, v0
	v_mul_lo_u32 v0, v1, s12
	v_sub_nc_u32_e32 v2, v6, v0
	v_mul_lo_u32 v0, v2, s8
	v_mul_lo_u32 v2, v2, s9
	s_cbranch_vccnz .LBB13_133
; %bb.132:
	v_mul_hi_u32 v3, s16, v1
	v_add_nc_u32_e32 v3, v1, v3
	v_lshrrev_b32_e32 v3, s17, v3
	v_mul_lo_u32 v3, v3, s15
	v_sub_nc_u32_e32 v3, v1, v3
	v_mad_u64_u32 v[0:1], null, v3, s10, v[0:1]
	v_mad_u64_u32 v[2:3], null, v3, s11, v[2:3]
.LBB13_133:
	s_waitcnt lgkmcnt(0)
	global_load_dword v1, v2, s[6:7]
                                        ; implicit-def: $vgpr4
                                        ; implicit-def: $vgpr3
	s_mov_b32 s1, exec_lo
	s_waitcnt vmcnt(0)
	v_and_b32_e32 v2, 0x7fffffff, v1
	v_cmpx_ngt_f32_e64 0x48000000, |v1|
	s_xor_b32 s20, exec_lo, s1
	s_cbranch_execz .LBB13_135
; %bb.134:
	s_mov_b32 s0, 0x7fffff
	v_mov_b32_e32 v5, 0
	v_and_or_b32 v13, v2, s0, 0x800000
	v_lshrrev_b32_e32 v11, 23, v2
	v_mad_u64_u32 v[3:4], null, 0xfe5163ab, v13, 0
	v_add_nc_u32_e32 v12, 0xffffff88, v11
	v_cmp_lt_u32_e32 vcc_lo, 63, v12
	v_mad_u64_u32 v[7:8], null, 0x3c439041, v13, v[4:5]
	v_cndmask_b32_e64 v14, 0, 0xffffffc0, vcc_lo
	v_mov_b32_e32 v4, v8
	v_add_nc_u32_e32 v14, v14, v12
	v_mad_u64_u32 v[8:9], null, 0xdb629599, v13, v[4:5]
	v_cmp_lt_u32_e64 s0, 31, v14
	v_cndmask_b32_e64 v15, 0, 0xffffffe0, s0
	v_mov_b32_e32 v4, v9
	v_cndmask_b32_e32 v3, v8, v3, vcc_lo
	v_mad_u64_u32 v[9:10], null, 0xf534ddc0, v13, v[4:5]
	v_mov_b32_e32 v4, v10
	v_cndmask_b32_e32 v7, v9, v7, vcc_lo
	v_mad_u64_u32 v[10:11], null, 0xfc2757d1, v13, v[4:5]
	v_cndmask_b32_e64 v3, v7, v3, s0
	v_mov_b32_e32 v4, v11
	v_mad_u64_u32 v[11:12], null, 0x4e441529, v13, v[4:5]
	v_mov_b32_e32 v4, v12
	v_add_nc_u32_e32 v12, v15, v14
	v_cndmask_b32_e32 v14, v11, v9, vcc_lo
	v_mad_u64_u32 v[4:5], null, 0xa2f9836e, v13, v[4:5]
	v_cmp_lt_u32_e64 s1, 31, v12
	v_cndmask_b32_e64 v13, 0, 0xffffffe0, s1
	v_cndmask_b32_e32 v4, v4, v10, vcc_lo
	v_cndmask_b32_e32 v5, v5, v11, vcc_lo
	v_cndmask_b32_e32 v10, v10, v8, vcc_lo
	v_add_nc_u32_e32 v11, v13, v12
	v_cndmask_b32_e64 v9, v4, v14, s0
	v_cndmask_b32_e64 v4, v5, v4, s0
	;; [unrolled: 1-line block ×4, first 2 shown]
	v_sub_nc_u32_e32 v12, 32, v11
	v_cmp_eq_u32_e32 vcc_lo, 0, v11
	v_cndmask_b32_e64 v4, v4, v9, s1
	v_cndmask_b32_e64 v9, v9, v5, s1
	;; [unrolled: 1-line block ×4, first 2 shown]
	v_alignbit_b32 v13, v4, v9, v12
	v_alignbit_b32 v8, v9, v5, v12
	;; [unrolled: 1-line block ×3, first 2 shown]
	v_cndmask_b32_e32 v4, v13, v4, vcc_lo
	v_cndmask_b32_e32 v7, v8, v9, vcc_lo
	;; [unrolled: 1-line block ×3, first 2 shown]
	v_bfe_u32 v8, v4, 29, 1
	v_alignbit_b32 v9, v4, v7, 30
	v_alignbit_b32 v7, v7, v5, 30
	;; [unrolled: 1-line block ×3, first 2 shown]
	v_sub_nc_u32_e32 v10, 0, v8
	v_xor_b32_e32 v9, v9, v10
	v_xor_b32_e32 v5, v7, v10
	;; [unrolled: 1-line block ×3, first 2 shown]
	v_lshrrev_b32_e32 v10, 29, v4
	v_lshrrev_b32_e32 v4, 30, v4
	v_ffbh_u32_e32 v11, v9
	v_add_nc_u32_e32 v4, v8, v4
	v_min_u32_e32 v11, 32, v11
	v_sub_nc_u32_e32 v7, 31, v11
	v_lshlrev_b32_e32 v12, 23, v11
	v_alignbit_b32 v9, v9, v5, v7
	v_alignbit_b32 v3, v5, v3, v7
	v_lshlrev_b32_e32 v5, 31, v10
	v_alignbit_b32 v7, v9, v3, 9
	v_or_b32_e32 v10, 0.5, v5
	v_lshrrev_b32_e32 v9, 9, v9
	v_or_b32_e32 v5, 0x33000000, v5
	v_ffbh_u32_e32 v13, v7
	v_sub_nc_u32_e32 v10, v10, v12
	v_min_u32_e32 v12, 32, v13
	v_or_b32_e32 v9, v9, v10
	v_not_b32_e32 v10, v12
	v_mul_f32_e32 v13, 0x3fc90fda, v9
	v_add_lshl_u32 v11, v12, v11, 23
	v_alignbit_b32 v3, v7, v3, v10
	v_fma_f32 v7, 0x3fc90fda, v9, -v13
	v_sub_nc_u32_e32 v5, v5, v11
	v_lshrrev_b32_e32 v3, 9, v3
	v_fmamk_f32 v7, v9, 0x33a22168, v7
	v_or_b32_e32 v3, v5, v3
	v_fmac_f32_e32 v7, 0x3fc90fda, v3
	v_add_f32_e32 v3, v13, v7
.LBB13_135:
	s_andn2_saveexec_b32 s0, s20
; %bb.136:
	v_mul_f32_e64 v3, 0x3f22f983, |v1|
	v_rndne_f32_e32 v4, v3
	v_fma_f32 v3, 0xbfc90fda, v4, |v1|
	v_fmamk_f32 v3, v4, 0xb3a22168, v3
	v_fmamk_f32 v3, v4, 0xa7c234c4, v3
	v_cvt_i32_f32_e32 v4, v4
; %bb.137:
	s_or_b32 exec_lo, exec_lo, s0
	v_mul_f32_e32 v5, v3, v3
	s_mov_b32 s0, 0xb94c1982
	s_mov_b32 s1, 0x37d75334
	v_and_b32_e32 v9, 1, v4
	v_lshlrev_b32_e32 v4, 30, v4
	v_fmaak_f32 v7, s0, v5, 0x3c0881c4
	v_fmaak_f32 v8, s1, v5, 0xbab64f3b
	v_xor_b32_e32 v2, v2, v1
	v_cmp_eq_u32_e32 vcc_lo, 0, v9
	v_and_b32_e32 v4, 0x80000000, v4
	v_fmaak_f32 v7, v5, v7, 0xbe2aaa9d
	v_fmaak_f32 v8, v5, v8, 0x3d2aabf7
	v_add_nc_u32_e32 v6, 0x80, v6
	v_mul_f32_e32 v7, v5, v7
	v_fmaak_f32 v8, v5, v8, 0xbf000004
	v_fmac_f32_e32 v3, v3, v7
	v_fma_f32 v5, v5, v8, 1.0
	v_cndmask_b32_e32 v3, v5, v3, vcc_lo
	v_cmp_class_f32_e64 vcc_lo, v1, 0x1f8
	v_xor3_b32 v2, v2, v4, v3
	v_cndmask_b32_e32 v1, 0x7fc00000, v2, vcc_lo
	global_store_dword v0, v1, s[4:5]
	s_or_b32 exec_lo, exec_lo, s30
	s_mov_b32 s20, exec_lo
	v_cmpx_gt_i32_e64 s27, v6
	s_cbranch_execz .LBB13_124
.LBB13_138:
	s_andn2_b32 vcc_lo, exec_lo, s24
	s_cbranch_vccnz .LBB13_143
; %bb.139:
	s_andn2_b32 vcc_lo, exec_lo, s29
	s_cbranch_vccnz .LBB13_144
; %bb.140:
	s_add_i32 s28, s28, 1
	s_cmp_eq_u32 s23, 2
	s_cbranch_scc1 .LBB13_145
; %bb.141:
	v_mov_b32_e32 v2, 0
	v_mov_b32_e32 v0, 0
	;; [unrolled: 1-line block ×3, first 2 shown]
	s_and_b32 s21, s28, 28
	s_mov_b32 s27, 0
	s_mov_b64 s[0:1], s[2:3]
.LBB13_142:                             ; =>This Inner Loop Header: Depth=1
	s_clause 0x1
	s_load_dwordx8 s[36:43], s[0:1], 0x4
	s_load_dwordx4 s[52:55], s[0:1], 0x24
	s_load_dwordx8 s[44:51], s[18:19], 0x0
	s_add_u32 s0, s0, 48
	s_addc_u32 s1, s1, 0
	s_add_i32 s27, s27, 4
	s_add_u32 s18, s18, 32
	s_addc_u32 s19, s19, 0
	s_cmp_eq_u32 s21, s27
	s_waitcnt lgkmcnt(0)
	v_mul_hi_u32 v3, s37, v1
	v_add_nc_u32_e32 v3, v1, v3
	v_lshrrev_b32_e32 v3, s38, v3
	v_mul_hi_u32 v4, s40, v3
	v_mul_lo_u32 v7, v3, s36
	v_add_nc_u32_e32 v4, v3, v4
	v_sub_nc_u32_e32 v1, v1, v7
	v_lshrrev_b32_e32 v4, s41, v4
	v_mul_lo_u32 v7, v1, s44
	v_mul_lo_u32 v9, v1, s45
	v_mul_hi_u32 v5, s43, v4
	v_add_nc_u32_e32 v5, v4, v5
	v_lshrrev_b32_e32 v5, s52, v5
	v_mul_hi_u32 v8, s54, v5
	v_mul_lo_u32 v10, v5, s42
	v_add_nc_u32_e32 v1, v5, v8
	v_mul_lo_u32 v8, v4, s39
	v_sub_nc_u32_e32 v4, v4, v10
	v_lshrrev_b32_e32 v1, s55, v1
	v_mul_lo_u32 v10, v4, s48
	v_mul_lo_u32 v4, v4, s49
	v_sub_nc_u32_e32 v3, v3, v8
	v_mul_lo_u32 v11, v1, s53
	v_mul_lo_u32 v8, v3, s46
	;; [unrolled: 1-line block ×3, first 2 shown]
	v_sub_nc_u32_e32 v5, v5, v11
	v_add3_u32 v0, v7, v0, v8
	v_mul_lo_u32 v11, v5, s50
	v_mul_lo_u32 v5, v5, s51
	v_add3_u32 v2, v9, v2, v3
	v_add3_u32 v0, v10, v0, v11
	;; [unrolled: 1-line block ×3, first 2 shown]
	s_cbranch_scc0 .LBB13_142
	s_branch .LBB13_146
.LBB13_143:
                                        ; implicit-def: $vgpr0
                                        ; implicit-def: $vgpr2
	s_branch .LBB13_150
.LBB13_144:
	v_mov_b32_e32 v0, 0
	v_mov_b32_e32 v2, 0
	s_branch .LBB13_149
.LBB13_145:
	v_mov_b32_e32 v0, 0
	v_mov_b32_e32 v2, 0
	;; [unrolled: 1-line block ×3, first 2 shown]
	s_mov_b32 s21, 0
.LBB13_146:
	s_and_b32 s27, s28, 3
	s_cmp_eq_u32 s27, 0
	s_cbranch_scc1 .LBB13_149
; %bb.147:
	s_lshl_b32 s0, s21, 3
	s_mul_i32 s18, s21, 12
	s_add_u32 s0, s2, s0
	s_addc_u32 s1, s3, 0
	s_add_u32 s0, s0, 0xc4
	s_addc_u32 s1, s1, 0
	;; [unrolled: 2-line block ×3, first 2 shown]
	.p2align	6
.LBB13_148:                             ; =>This Inner Loop Header: Depth=1
	s_clause 0x1
	s_load_dwordx2 s[28:29], s[18:19], 0x4
	s_load_dword s21, s[18:19], 0xc
	s_load_dwordx2 s[30:31], s[0:1], 0x0
	s_add_u32 s18, s18, 12
	s_addc_u32 s19, s19, 0
	s_add_u32 s0, s0, 8
	s_addc_u32 s1, s1, 0
	s_add_i32 s27, s27, -1
	s_cmp_lg_u32 s27, 0
	s_waitcnt lgkmcnt(0)
	v_mul_hi_u32 v3, s29, v1
	v_add_nc_u32_e32 v3, v1, v3
	v_lshrrev_b32_e32 v4, s21, v3
	v_mul_lo_u32 v3, v4, s28
	v_sub_nc_u32_e32 v3, v1, v3
	v_mad_u64_u32 v[0:1], null, v3, s30, v[0:1]
	v_mad_u64_u32 v[2:3], null, v3, s31, v[2:3]
	v_mov_b32_e32 v1, v4
	s_cbranch_scc1 .LBB13_148
.LBB13_149:
	s_cbranch_execnz .LBB13_152
.LBB13_150:
	s_waitcnt lgkmcnt(0)
	v_mul_hi_u32 v0, s13, v6
	s_andn2_b32 vcc_lo, exec_lo, s26
	v_add_nc_u32_e32 v0, v6, v0
	v_lshrrev_b32_e32 v1, s14, v0
	v_mul_lo_u32 v0, v1, s12
	v_sub_nc_u32_e32 v2, v6, v0
	v_mul_lo_u32 v0, v2, s8
	v_mul_lo_u32 v2, v2, s9
	s_cbranch_vccnz .LBB13_152
; %bb.151:
	v_mul_hi_u32 v3, s16, v1
	v_add_nc_u32_e32 v3, v1, v3
	v_lshrrev_b32_e32 v3, s17, v3
	v_mul_lo_u32 v3, v3, s15
	v_sub_nc_u32_e32 v3, v1, v3
	v_mad_u64_u32 v[0:1], null, v3, s10, v[0:1]
	v_mad_u64_u32 v[2:3], null, v3, s11, v[2:3]
.LBB13_152:
	s_waitcnt lgkmcnt(0)
	global_load_dword v1, v2, s[6:7]
                                        ; implicit-def: $vgpr4
                                        ; implicit-def: $vgpr3
	s_mov_b32 s1, exec_lo
	s_waitcnt vmcnt(0)
	v_and_b32_e32 v2, 0x7fffffff, v1
	v_cmpx_ngt_f32_e64 0x48000000, |v1|
	s_xor_b32 s6, exec_lo, s1
	s_cbranch_execz .LBB13_154
; %bb.153:
	s_mov_b32 s0, 0x7fffff
	v_mov_b32_e32 v5, 0
	v_and_or_b32 v12, v2, s0, 0x800000
	v_lshrrev_b32_e32 v10, 23, v2
	v_mad_u64_u32 v[3:4], null, 0xfe5163ab, v12, 0
	v_add_nc_u32_e32 v11, 0xffffff88, v10
	v_cmp_lt_u32_e32 vcc_lo, 63, v11
	v_mad_u64_u32 v[6:7], null, 0x3c439041, v12, v[4:5]
	v_cndmask_b32_e64 v13, 0, 0xffffffc0, vcc_lo
	v_mov_b32_e32 v4, v7
	v_add_nc_u32_e32 v13, v13, v11
	v_mad_u64_u32 v[7:8], null, 0xdb629599, v12, v[4:5]
	v_cmp_lt_u32_e64 s0, 31, v13
	v_cndmask_b32_e64 v14, 0, 0xffffffe0, s0
	v_mov_b32_e32 v4, v8
	v_cndmask_b32_e32 v3, v7, v3, vcc_lo
	v_mad_u64_u32 v[8:9], null, 0xf534ddc0, v12, v[4:5]
	v_mov_b32_e32 v4, v9
	v_cndmask_b32_e32 v6, v8, v6, vcc_lo
	v_mad_u64_u32 v[9:10], null, 0xfc2757d1, v12, v[4:5]
	v_cndmask_b32_e64 v3, v6, v3, s0
	v_mov_b32_e32 v4, v10
	v_mad_u64_u32 v[10:11], null, 0x4e441529, v12, v[4:5]
	v_mov_b32_e32 v4, v11
	v_add_nc_u32_e32 v11, v14, v13
	v_cndmask_b32_e32 v13, v10, v8, vcc_lo
	v_mad_u64_u32 v[4:5], null, 0xa2f9836e, v12, v[4:5]
	v_cmp_lt_u32_e64 s1, 31, v11
	v_cndmask_b32_e64 v12, 0, 0xffffffe0, s1
	v_cndmask_b32_e32 v4, v4, v9, vcc_lo
	v_cndmask_b32_e32 v5, v5, v10, vcc_lo
	;; [unrolled: 1-line block ×3, first 2 shown]
	v_add_nc_u32_e32 v10, v12, v11
	v_cndmask_b32_e64 v8, v4, v13, s0
	v_cndmask_b32_e64 v4, v5, v4, s0
	v_cndmask_b32_e64 v5, v13, v9, s0
	v_cndmask_b32_e64 v9, v9, v6, s0
	v_sub_nc_u32_e32 v11, 32, v10
	v_cmp_eq_u32_e32 vcc_lo, 0, v10
	v_cndmask_b32_e64 v4, v4, v8, s1
	v_cndmask_b32_e64 v8, v8, v5, s1
	v_cndmask_b32_e64 v5, v5, v9, s1
	v_cndmask_b32_e64 v3, v9, v3, s1
	v_alignbit_b32 v12, v4, v8, v11
	v_alignbit_b32 v7, v8, v5, v11
	;; [unrolled: 1-line block ×3, first 2 shown]
	v_cndmask_b32_e32 v4, v12, v4, vcc_lo
	v_cndmask_b32_e32 v6, v7, v8, vcc_lo
	;; [unrolled: 1-line block ×3, first 2 shown]
	v_bfe_u32 v7, v4, 29, 1
	v_alignbit_b32 v8, v4, v6, 30
	v_alignbit_b32 v6, v6, v5, 30
	;; [unrolled: 1-line block ×3, first 2 shown]
	v_sub_nc_u32_e32 v9, 0, v7
	v_xor_b32_e32 v8, v8, v9
	v_xor_b32_e32 v5, v6, v9
	;; [unrolled: 1-line block ×3, first 2 shown]
	v_lshrrev_b32_e32 v9, 29, v4
	v_lshrrev_b32_e32 v4, 30, v4
	v_ffbh_u32_e32 v10, v8
	v_add_nc_u32_e32 v4, v7, v4
	v_min_u32_e32 v10, 32, v10
	v_sub_nc_u32_e32 v6, 31, v10
	v_lshlrev_b32_e32 v11, 23, v10
	v_alignbit_b32 v8, v8, v5, v6
	v_alignbit_b32 v3, v5, v3, v6
	v_lshlrev_b32_e32 v5, 31, v9
	v_alignbit_b32 v6, v8, v3, 9
	v_or_b32_e32 v9, 0.5, v5
	v_lshrrev_b32_e32 v8, 9, v8
	v_or_b32_e32 v5, 0x33000000, v5
	v_ffbh_u32_e32 v12, v6
	v_sub_nc_u32_e32 v9, v9, v11
	v_min_u32_e32 v11, 32, v12
	v_or_b32_e32 v8, v8, v9
	v_not_b32_e32 v9, v11
	v_mul_f32_e32 v12, 0x3fc90fda, v8
	v_add_lshl_u32 v10, v11, v10, 23
	v_alignbit_b32 v3, v6, v3, v9
	v_fma_f32 v6, 0x3fc90fda, v8, -v12
	v_sub_nc_u32_e32 v5, v5, v10
	v_lshrrev_b32_e32 v3, 9, v3
	v_fmamk_f32 v6, v8, 0x33a22168, v6
	v_or_b32_e32 v3, v5, v3
	v_fmac_f32_e32 v6, 0x3fc90fda, v3
	v_add_f32_e32 v3, v12, v6
.LBB13_154:
	s_andn2_saveexec_b32 s0, s6
; %bb.155:
	v_mul_f32_e64 v3, 0x3f22f983, |v1|
	v_rndne_f32_e32 v4, v3
	v_fma_f32 v3, 0xbfc90fda, v4, |v1|
	v_fmamk_f32 v3, v4, 0xb3a22168, v3
	v_fmamk_f32 v3, v4, 0xa7c234c4, v3
	v_cvt_i32_f32_e32 v4, v4
; %bb.156:
	s_or_b32 exec_lo, exec_lo, s0
	v_mul_f32_e32 v5, v3, v3
	s_mov_b32 s0, 0xb94c1982
	s_mov_b32 s1, 0x37d75334
	v_and_b32_e32 v8, 1, v4
	v_lshlrev_b32_e32 v4, 30, v4
	v_fmaak_f32 v6, s0, v5, 0x3c0881c4
	v_fmaak_f32 v7, s1, v5, 0xbab64f3b
	v_xor_b32_e32 v2, v2, v1
	v_cmp_eq_u32_e32 vcc_lo, 0, v8
	v_and_b32_e32 v4, 0x80000000, v4
	v_fmaak_f32 v6, v5, v6, 0xbe2aaa9d
	v_fmaak_f32 v7, v5, v7, 0x3d2aabf7
	v_mul_f32_e32 v6, v5, v6
	v_fmaak_f32 v7, v5, v7, 0xbf000004
	v_fmac_f32_e32 v3, v3, v6
	v_fma_f32 v5, v5, v7, 1.0
	v_cndmask_b32_e32 v3, v5, v3, vcc_lo
	v_cmp_class_f32_e64 vcc_lo, v1, 0x1f8
	v_xor3_b32 v2, v2, v4, v3
	v_cndmask_b32_e32 v1, 0x7fc00000, v2, vcc_lo
	global_store_dword v0, v1, s[4:5]
	s_or_b32 exec_lo, exec_lo, s20
                                        ; implicit-def: $vgpr11
                                        ; implicit-def: $vgpr6
	s_andn2_saveexec_b32 s0, s25
	s_cbranch_execz .LBB13_125
	s_branch .LBB13_8
	.section	.rodata,"a",@progbits
	.p2align	6, 0x0
	.amdhsa_kernel _ZN2at6native32elementwise_kernel_manual_unrollILi128ELi4EZNS0_22gpu_kernel_impl_nocastIZZZNS0_15sin_kernel_cudaERNS_18TensorIteratorBaseEENKUlvE0_clEvENKUlvE0_clEvEUlfE_EEvS4_RKT_EUlibE_EEviT1_
		.amdhsa_group_segment_fixed_size 0
		.amdhsa_private_segment_fixed_size 0
		.amdhsa_kernarg_size 360
		.amdhsa_user_sgpr_count 6
		.amdhsa_user_sgpr_private_segment_buffer 1
		.amdhsa_user_sgpr_dispatch_ptr 0
		.amdhsa_user_sgpr_queue_ptr 0
		.amdhsa_user_sgpr_kernarg_segment_ptr 1
		.amdhsa_user_sgpr_dispatch_id 0
		.amdhsa_user_sgpr_flat_scratch_init 0
		.amdhsa_user_sgpr_private_segment_size 0
		.amdhsa_wavefront_size32 1
		.amdhsa_uses_dynamic_stack 0
		.amdhsa_system_sgpr_private_segment_wavefront_offset 0
		.amdhsa_system_sgpr_workgroup_id_x 1
		.amdhsa_system_sgpr_workgroup_id_y 0
		.amdhsa_system_sgpr_workgroup_id_z 0
		.amdhsa_system_sgpr_workgroup_info 0
		.amdhsa_system_vgpr_workitem_id 0
		.amdhsa_next_free_vgpr 30
		.amdhsa_next_free_sgpr 56
		.amdhsa_reserve_vcc 1
		.amdhsa_reserve_flat_scratch 0
		.amdhsa_float_round_mode_32 0
		.amdhsa_float_round_mode_16_64 0
		.amdhsa_float_denorm_mode_32 3
		.amdhsa_float_denorm_mode_16_64 3
		.amdhsa_dx10_clamp 1
		.amdhsa_ieee_mode 1
		.amdhsa_fp16_overflow 0
		.amdhsa_workgroup_processor_mode 1
		.amdhsa_memory_ordered 1
		.amdhsa_forward_progress 1
		.amdhsa_shared_vgpr_count 0
		.amdhsa_exception_fp_ieee_invalid_op 0
		.amdhsa_exception_fp_denorm_src 0
		.amdhsa_exception_fp_ieee_div_zero 0
		.amdhsa_exception_fp_ieee_overflow 0
		.amdhsa_exception_fp_ieee_underflow 0
		.amdhsa_exception_fp_ieee_inexact 0
		.amdhsa_exception_int_div_zero 0
	.end_amdhsa_kernel
	.section	.text._ZN2at6native32elementwise_kernel_manual_unrollILi128ELi4EZNS0_22gpu_kernel_impl_nocastIZZZNS0_15sin_kernel_cudaERNS_18TensorIteratorBaseEENKUlvE0_clEvENKUlvE0_clEvEUlfE_EEvS4_RKT_EUlibE_EEviT1_,"axG",@progbits,_ZN2at6native32elementwise_kernel_manual_unrollILi128ELi4EZNS0_22gpu_kernel_impl_nocastIZZZNS0_15sin_kernel_cudaERNS_18TensorIteratorBaseEENKUlvE0_clEvENKUlvE0_clEvEUlfE_EEvS4_RKT_EUlibE_EEviT1_,comdat
.Lfunc_end13:
	.size	_ZN2at6native32elementwise_kernel_manual_unrollILi128ELi4EZNS0_22gpu_kernel_impl_nocastIZZZNS0_15sin_kernel_cudaERNS_18TensorIteratorBaseEENKUlvE0_clEvENKUlvE0_clEvEUlfE_EEvS4_RKT_EUlibE_EEviT1_, .Lfunc_end13-_ZN2at6native32elementwise_kernel_manual_unrollILi128ELi4EZNS0_22gpu_kernel_impl_nocastIZZZNS0_15sin_kernel_cudaERNS_18TensorIteratorBaseEENKUlvE0_clEvENKUlvE0_clEvEUlfE_EEvS4_RKT_EUlibE_EEviT1_
                                        ; -- End function
	.set _ZN2at6native32elementwise_kernel_manual_unrollILi128ELi4EZNS0_22gpu_kernel_impl_nocastIZZZNS0_15sin_kernel_cudaERNS_18TensorIteratorBaseEENKUlvE0_clEvENKUlvE0_clEvEUlfE_EEvS4_RKT_EUlibE_EEviT1_.num_vgpr, 30
	.set _ZN2at6native32elementwise_kernel_manual_unrollILi128ELi4EZNS0_22gpu_kernel_impl_nocastIZZZNS0_15sin_kernel_cudaERNS_18TensorIteratorBaseEENKUlvE0_clEvENKUlvE0_clEvEUlfE_EEvS4_RKT_EUlibE_EEviT1_.num_agpr, 0
	.set _ZN2at6native32elementwise_kernel_manual_unrollILi128ELi4EZNS0_22gpu_kernel_impl_nocastIZZZNS0_15sin_kernel_cudaERNS_18TensorIteratorBaseEENKUlvE0_clEvENKUlvE0_clEvEUlfE_EEvS4_RKT_EUlibE_EEviT1_.numbered_sgpr, 56
	.set _ZN2at6native32elementwise_kernel_manual_unrollILi128ELi4EZNS0_22gpu_kernel_impl_nocastIZZZNS0_15sin_kernel_cudaERNS_18TensorIteratorBaseEENKUlvE0_clEvENKUlvE0_clEvEUlfE_EEvS4_RKT_EUlibE_EEviT1_.num_named_barrier, 0
	.set _ZN2at6native32elementwise_kernel_manual_unrollILi128ELi4EZNS0_22gpu_kernel_impl_nocastIZZZNS0_15sin_kernel_cudaERNS_18TensorIteratorBaseEENKUlvE0_clEvENKUlvE0_clEvEUlfE_EEvS4_RKT_EUlibE_EEviT1_.private_seg_size, 0
	.set _ZN2at6native32elementwise_kernel_manual_unrollILi128ELi4EZNS0_22gpu_kernel_impl_nocastIZZZNS0_15sin_kernel_cudaERNS_18TensorIteratorBaseEENKUlvE0_clEvENKUlvE0_clEvEUlfE_EEvS4_RKT_EUlibE_EEviT1_.uses_vcc, 1
	.set _ZN2at6native32elementwise_kernel_manual_unrollILi128ELi4EZNS0_22gpu_kernel_impl_nocastIZZZNS0_15sin_kernel_cudaERNS_18TensorIteratorBaseEENKUlvE0_clEvENKUlvE0_clEvEUlfE_EEvS4_RKT_EUlibE_EEviT1_.uses_flat_scratch, 0
	.set _ZN2at6native32elementwise_kernel_manual_unrollILi128ELi4EZNS0_22gpu_kernel_impl_nocastIZZZNS0_15sin_kernel_cudaERNS_18TensorIteratorBaseEENKUlvE0_clEvENKUlvE0_clEvEUlfE_EEvS4_RKT_EUlibE_EEviT1_.has_dyn_sized_stack, 0
	.set _ZN2at6native32elementwise_kernel_manual_unrollILi128ELi4EZNS0_22gpu_kernel_impl_nocastIZZZNS0_15sin_kernel_cudaERNS_18TensorIteratorBaseEENKUlvE0_clEvENKUlvE0_clEvEUlfE_EEvS4_RKT_EUlibE_EEviT1_.has_recursion, 0
	.set _ZN2at6native32elementwise_kernel_manual_unrollILi128ELi4EZNS0_22gpu_kernel_impl_nocastIZZZNS0_15sin_kernel_cudaERNS_18TensorIteratorBaseEENKUlvE0_clEvENKUlvE0_clEvEUlfE_EEvS4_RKT_EUlibE_EEviT1_.has_indirect_call, 0
	.section	.AMDGPU.csdata,"",@progbits
; Kernel info:
; codeLenInByte = 12228
; TotalNumSgprs: 58
; NumVgprs: 30
; ScratchSize: 0
; MemoryBound: 0
; FloatMode: 240
; IeeeMode: 1
; LDSByteSize: 0 bytes/workgroup (compile time only)
; SGPRBlocks: 0
; VGPRBlocks: 3
; NumSGPRsForWavesPerEU: 58
; NumVGPRsForWavesPerEU: 30
; Occupancy: 16
; WaveLimiterHint : 1
; COMPUTE_PGM_RSRC2:SCRATCH_EN: 0
; COMPUTE_PGM_RSRC2:USER_SGPR: 6
; COMPUTE_PGM_RSRC2:TRAP_HANDLER: 0
; COMPUTE_PGM_RSRC2:TGID_X_EN: 1
; COMPUTE_PGM_RSRC2:TGID_Y_EN: 0
; COMPUTE_PGM_RSRC2:TGID_Z_EN: 0
; COMPUTE_PGM_RSRC2:TIDIG_COMP_CNT: 0
	.section	.text._ZN2at6native32elementwise_kernel_manual_unrollILi128ELi4EZNS0_15gpu_kernel_implIZZZNS0_15sin_kernel_cudaERNS_18TensorIteratorBaseEENKUlvE0_clEvENKUlvE0_clEvEUlfE_EEvS4_RKT_EUlibE_EEviT1_,"axG",@progbits,_ZN2at6native32elementwise_kernel_manual_unrollILi128ELi4EZNS0_15gpu_kernel_implIZZZNS0_15sin_kernel_cudaERNS_18TensorIteratorBaseEENKUlvE0_clEvENKUlvE0_clEvEUlfE_EEvS4_RKT_EUlibE_EEviT1_,comdat
	.globl	_ZN2at6native32elementwise_kernel_manual_unrollILi128ELi4EZNS0_15gpu_kernel_implIZZZNS0_15sin_kernel_cudaERNS_18TensorIteratorBaseEENKUlvE0_clEvENKUlvE0_clEvEUlfE_EEvS4_RKT_EUlibE_EEviT1_ ; -- Begin function _ZN2at6native32elementwise_kernel_manual_unrollILi128ELi4EZNS0_15gpu_kernel_implIZZZNS0_15sin_kernel_cudaERNS_18TensorIteratorBaseEENKUlvE0_clEvENKUlvE0_clEvEUlfE_EEvS4_RKT_EUlibE_EEviT1_
	.p2align	8
	.type	_ZN2at6native32elementwise_kernel_manual_unrollILi128ELi4EZNS0_15gpu_kernel_implIZZZNS0_15sin_kernel_cudaERNS_18TensorIteratorBaseEENKUlvE0_clEvENKUlvE0_clEvEUlfE_EEvS4_RKT_EUlibE_EEviT1_,@function
_ZN2at6native32elementwise_kernel_manual_unrollILi128ELi4EZNS0_15gpu_kernel_implIZZZNS0_15sin_kernel_cudaERNS_18TensorIteratorBaseEENKUlvE0_clEvENKUlvE0_clEvEUlfE_EEvS4_RKT_EUlibE_EEviT1_: ; @_ZN2at6native32elementwise_kernel_manual_unrollILi128ELi4EZNS0_15gpu_kernel_implIZZZNS0_15sin_kernel_cudaERNS_18TensorIteratorBaseEENKUlvE0_clEvENKUlvE0_clEvEUlfE_EEvS4_RKT_EUlibE_EEviT1_
; %bb.0:
	v_mov_b32_e32 v1, 0
	s_clause 0x2
	s_load_dword s13, s[4:5], 0x0
	s_load_dwordx2 s[2:3], s[4:5], 0x18
	s_load_dwordx4 s[8:11], s[4:5], 0x8
	v_lshl_or_b32 v4, s6, 9, v0
	s_mov_b32 s12, 0
	global_load_ushort v1, v1, s[4:5] offset:33
	s_mov_b32 s5, 0
	v_or_b32_e32 v0, 0x180, v4
	s_waitcnt vmcnt(0)
	v_readfirstlane_b32 s4, v1
	s_and_b32 s0, 0xffff, s4
	s_lshr_b32 s6, s0, 8
	s_mov_b32 s0, exec_lo
	s_waitcnt lgkmcnt(0)
	v_cmpx_le_i32_e64 s13, v0
	s_xor_b32 s7, exec_lo, s0
	s_cbranch_execz .LBB14_1044
; %bb.1:
	s_mov_b32 s1, -1
	s_mov_b32 s16, 0
	s_mov_b32 s14, 0
	s_mov_b32 s15, exec_lo
	v_cmpx_gt_i32_e64 s13, v4
	s_cbranch_execz .LBB14_256
; %bb.2:
	v_mul_lo_u32 v0, v4, s3
	s_and_b32 s0, 0xffff, s6
	s_cmp_lt_i32 s0, 11
	v_ashrrev_i32_e32 v1, 31, v0
	v_add_co_u32 v0, vcc_lo, s10, v0
	v_add_co_ci_u32_e64 v1, null, s11, v1, vcc_lo
	s_cbranch_scc1 .LBB14_9
; %bb.3:
	s_cmp_gt_i32 s0, 25
	s_cbranch_scc0 .LBB14_61
; %bb.4:
	s_cmp_gt_i32 s0, 28
	s_cbranch_scc0 .LBB14_62
	;; [unrolled: 3-line block ×4, first 2 shown]
; %bb.7:
	s_cmp_eq_u32 s0, 46
	s_cbranch_scc0 .LBB14_68
; %bb.8:
	global_load_dword v2, v[0:1], off
	s_waitcnt vmcnt(0)
	v_lshlrev_b32_e32 v2, 16, v2
	s_branch .LBB14_70
.LBB14_9:
	s_mov_b32 s1, 0
                                        ; implicit-def: $vgpr2
	s_cbranch_execnz .LBB14_206
.LBB14_10:
	s_andn2_b32 vcc_lo, exec_lo, s1
	s_cbranch_vccnz .LBB14_253
.LBB14_11:
	s_waitcnt vmcnt(0)
	v_and_b32_e32 v0, 0x7fffffff, v2
                                        ; implicit-def: $vgpr3
                                        ; implicit-def: $vgpr1
	s_mov_b32 s1, exec_lo
	v_cmpx_ngt_f32_e64 0x48000000, |v2|
	s_xor_b32 s12, exec_lo, s1
	s_cbranch_execz .LBB14_13
; %bb.12:
	s_mov_b32 s0, 0x7fffff
	v_mov_b32_e32 v7, 0
	v_and_or_b32 v1, v0, s0, 0x800000
	v_lshrrev_b32_e32 v3, 23, v0
	v_mad_u64_u32 v[5:6], null, 0xfe5163ab, v1, 0
	v_add_nc_u32_e32 v3, 0xffffff88, v3
	v_cmp_lt_u32_e32 vcc_lo, 63, v3
	v_mad_u64_u32 v[8:9], null, 0x3c439041, v1, v[6:7]
	v_cndmask_b32_e64 v13, 0, 0xffffffc0, vcc_lo
	v_mov_b32_e32 v6, v9
	v_add_nc_u32_e32 v3, v13, v3
	v_mad_u64_u32 v[9:10], null, 0xdb629599, v1, v[6:7]
	v_cmp_lt_u32_e64 s0, 31, v3
	v_cndmask_b32_e64 v14, 0, 0xffffffe0, s0
	v_mov_b32_e32 v6, v10
	v_cndmask_b32_e32 v5, v9, v5, vcc_lo
	v_add_nc_u32_e32 v3, v14, v3
	v_mad_u64_u32 v[10:11], null, 0xf534ddc0, v1, v[6:7]
	v_cmp_lt_u32_e64 s1, 31, v3
	v_mov_b32_e32 v6, v11
	v_mad_u64_u32 v[11:12], null, 0xfc2757d1, v1, v[6:7]
	v_mov_b32_e32 v6, v12
	v_mad_u64_u32 v[12:13], null, 0x4e441529, v1, v[6:7]
	v_mov_b32_e32 v6, v13
	v_cndmask_b32_e32 v13, v12, v10, vcc_lo
	v_mad_u64_u32 v[6:7], null, 0xa2f9836e, v1, v[6:7]
	v_cndmask_b32_e64 v1, 0, 0xffffffe0, s1
	v_add_nc_u32_e32 v1, v1, v3
	v_cndmask_b32_e32 v6, v6, v11, vcc_lo
	v_cndmask_b32_e32 v7, v7, v12, vcc_lo
	;; [unrolled: 1-line block ×4, first 2 shown]
	v_sub_nc_u32_e32 v10, 32, v1
	v_cndmask_b32_e64 v8, v6, v13, s0
	v_cndmask_b32_e64 v6, v7, v6, s0
	;; [unrolled: 1-line block ×4, first 2 shown]
	v_cmp_eq_u32_e32 vcc_lo, 0, v1
	v_cndmask_b32_e64 v3, v3, v5, s0
	v_cndmask_b32_e64 v6, v6, v8, s1
	;; [unrolled: 1-line block ×5, first 2 shown]
	v_alignbit_b32 v12, v6, v8, v10
	v_alignbit_b32 v9, v8, v7, v10
	v_alignbit_b32 v10, v7, v3, v10
	v_cndmask_b32_e32 v1, v12, v6, vcc_lo
	v_cndmask_b32_e32 v5, v9, v8, vcc_lo
	;; [unrolled: 1-line block ×3, first 2 shown]
	v_bfe_u32 v6, v1, 29, 1
	v_alignbit_b32 v8, v1, v5, 30
	v_alignbit_b32 v5, v5, v7, 30
	;; [unrolled: 1-line block ×3, first 2 shown]
	v_sub_nc_u32_e32 v9, 0, v6
	v_xor_b32_e32 v8, v8, v9
	v_xor_b32_e32 v5, v5, v9
	;; [unrolled: 1-line block ×3, first 2 shown]
	v_lshrrev_b32_e32 v9, 29, v1
	v_ffbh_u32_e32 v10, v8
	v_min_u32_e32 v10, 32, v10
	v_sub_nc_u32_e32 v7, 31, v10
	v_lshlrev_b32_e32 v11, 23, v10
	v_alignbit_b32 v8, v8, v5, v7
	v_alignbit_b32 v3, v5, v3, v7
	v_lshlrev_b32_e32 v5, 31, v9
	v_alignbit_b32 v7, v8, v3, 9
	v_or_b32_e32 v9, 0.5, v5
	v_lshrrev_b32_e32 v8, 9, v8
	v_or_b32_e32 v5, 0x33000000, v5
	v_ffbh_u32_e32 v12, v7
	v_sub_nc_u32_e32 v9, v9, v11
	v_min_u32_e32 v11, 32, v12
	v_or_b32_e32 v8, v8, v9
	v_not_b32_e32 v9, v11
	v_mul_f32_e32 v12, 0x3fc90fda, v8
	v_add_lshl_u32 v10, v11, v10, 23
	v_alignbit_b32 v3, v7, v3, v9
	v_fma_f32 v7, 0x3fc90fda, v8, -v12
	v_sub_nc_u32_e32 v5, v5, v10
	v_lshrrev_b32_e32 v3, 9, v3
	v_fmamk_f32 v7, v8, 0x33a22168, v7
	v_or_b32_e32 v3, v5, v3
	v_fmac_f32_e32 v7, 0x3fc90fda, v3
	v_lshrrev_b32_e32 v3, 30, v1
	v_add_f32_e32 v1, v12, v7
	v_add_nc_u32_e32 v3, v6, v3
.LBB14_13:
	s_andn2_saveexec_b32 s0, s12
; %bb.14:
	v_mul_f32_e64 v1, 0x3f22f983, |v2|
	v_rndne_f32_e32 v3, v1
	v_fma_f32 v1, 0xbfc90fda, v3, |v2|
	v_fmamk_f32 v1, v3, 0xb3a22168, v1
	v_fmamk_f32 v1, v3, 0xa7c234c4, v1
	v_cvt_i32_f32_e32 v3, v3
; %bb.15:
	s_or_b32 exec_lo, exec_lo, s0
	v_mul_f32_e32 v5, v1, v1
	s_mov_b32 s0, 0xb94c1982
	s_mov_b32 s1, 0x37d75334
	v_and_b32_e32 v8, 1, v3
	v_lshlrev_b32_e32 v3, 30, v3
	v_fmaak_f32 v6, s0, v5, 0x3c0881c4
	v_fmaak_f32 v7, s1, v5, 0xbab64f3b
	v_xor_b32_e32 v0, v0, v2
	v_cmp_eq_u32_e32 vcc_lo, 0, v8
	v_and_b32_e32 v3, 0x80000000, v3
	v_fmaak_f32 v6, v5, v6, 0xbe2aaa9d
	v_fmaak_f32 v7, v5, v7, 0x3d2aabf7
	s_and_b32 s1, s4, 0xff
	s_mov_b32 s0, 0
	s_mov_b32 s12, -1
	v_mul_f32_e32 v6, v5, v6
	v_fmaak_f32 v7, v5, v7, 0xbf000004
	s_cmp_lt_i32 s1, 11
	s_mov_b32 s17, 0
	v_fmac_f32_e32 v1, v1, v6
	v_mul_lo_u32 v6, v4, s2
	v_fma_f32 v5, v5, v7, 1.0
	v_cndmask_b32_e32 v1, v5, v1, vcc_lo
	v_ashrrev_i32_e32 v5, 31, v6
	v_xor3_b32 v3, v0, v3, v1
	v_add_co_u32 v0, vcc_lo, s8, v6
	v_add_co_ci_u32_e64 v1, null, s9, v5, vcc_lo
	v_cmp_class_f32_e64 vcc_lo, v2, 0x1f8
	v_cndmask_b32_e32 v2, 0x7fc00000, v3, vcc_lo
	s_cbranch_scc1 .LBB14_22
; %bb.16:
	s_and_b32 s12, 0xffff, s1
	s_cmp_gt_i32 s12, 25
	s_cbranch_scc0 .LBB14_63
; %bb.17:
	s_cmp_gt_i32 s12, 28
	s_cbranch_scc0 .LBB14_65
; %bb.18:
	;; [unrolled: 3-line block ×4, first 2 shown]
	s_mov_b32 s18, 0
	s_mov_b32 s0, -1
	s_cmp_eq_u32 s12, 46
	s_cbranch_scc0 .LBB14_74
; %bb.21:
	v_bfe_u32 v3, v2, 16, 1
	v_cmp_o_f32_e32 vcc_lo, v2, v2
	v_mov_b32_e32 v5, 0x7fc0
	s_mov_b32 s17, -1
	s_mov_b32 s0, 0
	v_add3_u32 v3, v2, v3, 0x7fff
	v_cndmask_b32_sdwa v3, v5, v3, vcc_lo dst_sel:DWORD dst_unused:UNUSED_PAD src0_sel:DWORD src1_sel:WORD_1
	global_store_dword v[0:1], v3, off
	s_branch .LBB14_74
.LBB14_22:
	s_and_b32 vcc_lo, exec_lo, s12
	s_cbranch_vccz .LBB14_143
; %bb.23:
	s_and_b32 s1, 0xffff, s1
	s_mov_b32 s12, -1
	s_cmp_lt_i32 s1, 5
	s_cbranch_scc1 .LBB14_44
; %bb.24:
	s_cmp_lt_i32 s1, 8
	s_cbranch_scc1 .LBB14_34
; %bb.25:
	;; [unrolled: 3-line block ×3, first 2 shown]
	s_cmp_gt_i32 s1, 9
	s_cbranch_scc0 .LBB14_28
; %bb.27:
	v_cvt_f64_f32_e32 v[5:6], v2
	v_mov_b32_e32 v7, 0
	s_mov_b32 s12, 0
	v_mov_b32_e32 v8, v7
	global_store_dwordx4 v[0:1], v[5:8], off
.LBB14_28:
	s_andn2_b32 vcc_lo, exec_lo, s12
	s_cbranch_vccnz .LBB14_30
; %bb.29:
	v_mov_b32_e32 v3, 0
	global_store_dwordx2 v[0:1], v[2:3], off
.LBB14_30:
	s_mov_b32 s12, 0
.LBB14_31:
	s_andn2_b32 vcc_lo, exec_lo, s12
	s_cbranch_vccnz .LBB14_33
; %bb.32:
	v_cvt_f16_f32_e32 v3, v2
	v_and_b32_e32 v3, 0xffff, v3
	global_store_dword v[0:1], v3, off
.LBB14_33:
	s_mov_b32 s12, 0
.LBB14_34:
	s_andn2_b32 vcc_lo, exec_lo, s12
	s_cbranch_vccnz .LBB14_43
; %bb.35:
	s_cmp_lt_i32 s1, 6
	s_mov_b32 s12, -1
	s_cbranch_scc1 .LBB14_41
; %bb.36:
	s_cmp_gt_i32 s1, 6
	s_cbranch_scc0 .LBB14_38
; %bb.37:
	v_cvt_f64_f32_e32 v[5:6], v2
	s_mov_b32 s12, 0
	global_store_dwordx2 v[0:1], v[5:6], off
.LBB14_38:
	s_andn2_b32 vcc_lo, exec_lo, s12
	s_cbranch_vccnz .LBB14_40
; %bb.39:
	global_store_dword v[0:1], v2, off
.LBB14_40:
	s_mov_b32 s12, 0
.LBB14_41:
	s_andn2_b32 vcc_lo, exec_lo, s12
	s_cbranch_vccnz .LBB14_43
; %bb.42:
	v_cvt_f16_f32_e32 v3, v2
	global_store_short v[0:1], v3, off
.LBB14_43:
	s_mov_b32 s12, 0
.LBB14_44:
	s_andn2_b32 vcc_lo, exec_lo, s12
	s_cbranch_vccnz .LBB14_60
; %bb.45:
	s_cmp_lt_i32 s1, 2
	s_mov_b32 s12, -1
	s_cbranch_scc1 .LBB14_55
; %bb.46:
	s_cmp_lt_i32 s1, 3
	s_cbranch_scc1 .LBB14_52
; %bb.47:
	s_cmp_gt_i32 s1, 3
	s_cbranch_scc0 .LBB14_49
; %bb.48:
	v_trunc_f32_e32 v3, v2
	s_mov_b32 s12, 0
	v_mul_f32_e64 v5, 0x2f800000, |v3|
	v_floor_f32_e32 v5, v5
	v_fma_f32 v6, 0xcf800000, v5, |v3|
	v_ashrrev_i32_e32 v3, 31, v3
	v_cvt_u32_f32_e32 v5, v5
	v_cvt_u32_f32_e32 v6, v6
	v_xor_b32_e32 v7, v5, v3
	v_xor_b32_e32 v6, v6, v3
	v_sub_co_u32 v5, vcc_lo, v6, v3
	v_sub_co_ci_u32_e64 v6, null, v7, v3, vcc_lo
	global_store_dwordx2 v[0:1], v[5:6], off
.LBB14_49:
	s_andn2_b32 vcc_lo, exec_lo, s12
	s_cbranch_vccnz .LBB14_51
; %bb.50:
	v_cvt_i32_f32_e32 v3, v2
	global_store_dword v[0:1], v3, off
.LBB14_51:
	s_mov_b32 s12, 0
.LBB14_52:
	s_andn2_b32 vcc_lo, exec_lo, s12
	s_cbranch_vccnz .LBB14_54
; %bb.53:
	v_cvt_i32_f32_e32 v3, v2
	global_store_short v[0:1], v3, off
.LBB14_54:
	s_mov_b32 s12, 0
.LBB14_55:
	s_andn2_b32 vcc_lo, exec_lo, s12
	s_cbranch_vccnz .LBB14_60
; %bb.56:
	s_cmp_gt_i32 s1, 0
	s_mov_b32 s1, -1
	s_cbranch_scc0 .LBB14_58
; %bb.57:
	v_cvt_i32_f32_e32 v3, v2
	s_mov_b32 s1, 0
	global_store_byte v[0:1], v3, off
.LBB14_58:
	s_andn2_b32 vcc_lo, exec_lo, s1
	s_cbranch_vccnz .LBB14_60
; %bb.59:
	v_trunc_f32_e32 v2, v2
	v_mul_f32_e64 v3, 0x2f800000, |v2|
	v_floor_f32_e32 v3, v3
	v_fma_f32 v3, 0xcf800000, v3, |v2|
	v_ashrrev_i32_e32 v2, 31, v2
	v_cvt_u32_f32_e32 v3, v3
	v_xor_b32_e32 v3, v3, v2
	v_sub_nc_u32_e32 v2, v3, v2
	global_store_byte v[0:1], v2, off
.LBB14_60:
	s_branch .LBB14_144
.LBB14_61:
	s_mov_b32 s1, 0
                                        ; implicit-def: $vgpr2
	s_cbranch_execnz .LBB14_171
	s_branch .LBB14_205
.LBB14_62:
	s_mov_b32 s12, -1
	s_mov_b32 s1, 0
                                        ; implicit-def: $vgpr2
	s_branch .LBB14_152
.LBB14_63:
	s_mov_b32 s18, -1
	s_branch .LBB14_101
.LBB14_64:
	s_mov_b32 s12, -1
	s_mov_b32 s1, 0
                                        ; implicit-def: $vgpr2
	s_branch .LBB14_147
.LBB14_65:
	s_mov_b32 s18, -1
	s_branch .LBB14_84
.LBB14_66:
	s_mov_b32 s12, -1
	s_branch .LBB14_69
.LBB14_67:
	s_mov_b32 s18, -1
	s_branch .LBB14_80
.LBB14_68:
	s_mov_b32 s14, -1
.LBB14_69:
	s_mov_b32 s1, 0
                                        ; implicit-def: $vgpr2
.LBB14_70:
	s_and_b32 vcc_lo, exec_lo, s12
	s_cbranch_vccz .LBB14_146
; %bb.71:
	s_cmp_eq_u32 s0, 44
	s_cbranch_scc0 .LBB14_145
; %bb.72:
	global_load_ubyte v2, v[0:1], off
	s_mov_b32 s14, 0
	s_mov_b32 s1, -1
	s_waitcnt vmcnt(0)
	v_lshlrev_b32_e32 v3, 23, v2
	v_cmp_ne_u32_e32 vcc_lo, 0xff, v2
	v_cndmask_b32_e32 v3, 0x7f800001, v3, vcc_lo
	v_cmp_ne_u32_e32 vcc_lo, 0, v2
	v_cndmask_b32_e32 v2, 0x400000, v3, vcc_lo
	s_branch .LBB14_146
.LBB14_73:
	s_mov_b32 s18, -1
.LBB14_74:
	s_and_b32 vcc_lo, exec_lo, s18
	s_cbranch_vccz .LBB14_79
; %bb.75:
	s_cmp_eq_u32 s12, 44
	s_mov_b32 s0, -1
	s_cbranch_scc0 .LBB14_79
; %bb.76:
	v_bfe_u32 v5, v2, 23, 8
	v_mov_b32_e32 v3, 0xff
	s_mov_b32 s17, exec_lo
	v_cmpx_ne_u32_e32 0xff, v5
	s_cbranch_execz .LBB14_78
; %bb.77:
	v_and_b32_e32 v3, 0x400000, v2
	v_and_or_b32 v5, 0x3fffff, v2, v5
	v_cmp_ne_u32_e32 vcc_lo, 0, v3
	v_cmp_ne_u32_e64 s0, 0, v5
	v_lshrrev_b32_e32 v3, 23, v2
	s_and_b32 s0, vcc_lo, s0
	v_cndmask_b32_e64 v5, 0, 1, s0
	v_add_nc_u32_e32 v3, v3, v5
.LBB14_78:
	s_or_b32 exec_lo, exec_lo, s17
	s_mov_b32 s17, -1
	s_mov_b32 s0, 0
	global_store_byte v[0:1], v3, off
.LBB14_79:
	s_mov_b32 s18, 0
.LBB14_80:
	s_and_b32 vcc_lo, exec_lo, s18
	s_cbranch_vccz .LBB14_83
; %bb.81:
	s_cmp_eq_u32 s12, 29
	s_mov_b32 s0, -1
	s_cbranch_scc0 .LBB14_83
; %bb.82:
	v_trunc_f32_e32 v3, v2
	s_mov_b32 s17, -1
	s_mov_b32 s0, 0
	s_mov_b32 s18, 0
	v_mul_f32_e32 v5, 0x2f800000, v3
	v_floor_f32_e32 v5, v5
	v_fmamk_f32 v3, v5, 0xcf800000, v3
	v_cvt_u32_f32_e32 v6, v5
	v_cvt_u32_f32_e32 v5, v3
	global_store_dwordx2 v[0:1], v[5:6], off
	s_branch .LBB14_84
.LBB14_83:
	s_mov_b32 s18, 0
.LBB14_84:
	s_and_b32 vcc_lo, exec_lo, s18
	s_cbranch_vccz .LBB14_100
; %bb.85:
	s_cmp_lt_i32 s12, 27
	s_mov_b32 s17, -1
	s_cbranch_scc1 .LBB14_91
; %bb.86:
	v_cvt_u32_f32_e32 v3, v2
	s_cmp_gt_i32 s12, 27
	s_cbranch_scc0 .LBB14_88
; %bb.87:
	s_mov_b32 s17, 0
	global_store_dword v[0:1], v3, off
.LBB14_88:
	s_andn2_b32 vcc_lo, exec_lo, s17
	s_cbranch_vccnz .LBB14_90
; %bb.89:
	global_store_short v[0:1], v3, off
.LBB14_90:
	s_mov_b32 s17, 0
.LBB14_91:
	s_andn2_b32 vcc_lo, exec_lo, s17
	s_cbranch_vccnz .LBB14_99
; %bb.92:
	v_and_b32_e32 v3, 0x7fffffff, v2
	v_mov_b32_e32 v5, 0x80
	s_mov_b32 s17, exec_lo
	v_cmpx_gt_u32_e32 0x43800000, v3
	s_cbranch_execz .LBB14_98
; %bb.93:
	v_cmp_lt_u32_e32 vcc_lo, 0x3bffffff, v3
	s_mov_b32 s18, 0
                                        ; implicit-def: $vgpr3
	s_and_saveexec_b32 s19, vcc_lo
	s_xor_b32 s19, exec_lo, s19
	s_cbranch_execz .LBB14_326
; %bb.94:
	v_bfe_u32 v3, v2, 20, 1
	s_mov_b32 s18, exec_lo
	v_add3_u32 v3, v2, v3, 0x487ffff
	v_lshrrev_b32_e32 v3, 20, v3
	s_andn2_saveexec_b32 s19, s19
	s_cbranch_execnz .LBB14_327
.LBB14_95:
	s_or_b32 exec_lo, exec_lo, s19
	v_mov_b32_e32 v5, 0
	s_and_saveexec_b32 s19, s18
.LBB14_96:
	v_lshrrev_b32_e32 v5, 24, v2
	v_and_or_b32 v5, 0x80, v5, v3
.LBB14_97:
	s_or_b32 exec_lo, exec_lo, s19
.LBB14_98:
	s_or_b32 exec_lo, exec_lo, s17
	global_store_byte v[0:1], v5, off
.LBB14_99:
	s_mov_b32 s17, -1
.LBB14_100:
	s_mov_b32 s18, 0
.LBB14_101:
	s_and_b32 vcc_lo, exec_lo, s18
	s_cbranch_vccz .LBB14_142
; %bb.102:
	s_cmp_gt_i32 s12, 22
	s_mov_b32 s18, -1
	s_cbranch_scc0 .LBB14_134
; %bb.103:
	s_cmp_lt_i32 s12, 24
	s_mov_b32 s17, -1
	s_cbranch_scc1 .LBB14_123
; %bb.104:
	s_cmp_gt_i32 s12, 24
	s_cbranch_scc0 .LBB14_112
; %bb.105:
	v_and_b32_e32 v3, 0x7fffffff, v2
	v_mov_b32_e32 v5, 0x80
	s_mov_b32 s17, exec_lo
	v_cmpx_gt_u32_e32 0x47800000, v3
	s_cbranch_execz .LBB14_111
; %bb.106:
	v_cmp_lt_u32_e32 vcc_lo, 0x37ffffff, v3
	s_mov_b32 s18, 0
                                        ; implicit-def: $vgpr3
	s_and_saveexec_b32 s19, vcc_lo
	s_xor_b32 s19, exec_lo, s19
	s_cbranch_execz .LBB14_330
; %bb.107:
	v_bfe_u32 v3, v2, 21, 1
	s_mov_b32 s18, exec_lo
	v_add3_u32 v3, v2, v3, 0x88fffff
	v_lshrrev_b32_e32 v3, 21, v3
	s_andn2_saveexec_b32 s19, s19
	s_cbranch_execnz .LBB14_331
.LBB14_108:
	s_or_b32 exec_lo, exec_lo, s19
	v_mov_b32_e32 v5, 0
	s_and_saveexec_b32 s19, s18
.LBB14_109:
	v_lshrrev_b32_e32 v5, 24, v2
	v_and_or_b32 v5, 0x80, v5, v3
.LBB14_110:
	s_or_b32 exec_lo, exec_lo, s19
.LBB14_111:
	s_or_b32 exec_lo, exec_lo, s17
	s_mov_b32 s17, 0
	global_store_byte v[0:1], v5, off
.LBB14_112:
	s_and_b32 vcc_lo, exec_lo, s17
	s_cbranch_vccz .LBB14_122
; %bb.113:
	v_and_b32_e32 v5, 0x7fffffff, v2
	s_mov_b32 s17, exec_lo
                                        ; implicit-def: $vgpr3
	v_cmpx_gt_u32_e32 0x43f00000, v5
	s_xor_b32 s17, exec_lo, s17
	s_cbranch_execz .LBB14_119
; %bb.114:
	s_mov_b32 s18, exec_lo
                                        ; implicit-def: $vgpr3
	v_cmpx_lt_u32_e32 0x3c7fffff, v5
	s_xor_b32 s18, exec_lo, s18
; %bb.115:
	v_bfe_u32 v3, v2, 20, 1
	v_add3_u32 v3, v2, v3, 0x407ffff
	v_and_b32_e32 v5, 0xff00000, v3
	v_lshrrev_b32_e32 v3, 20, v3
	v_cmp_ne_u32_e32 vcc_lo, 0x7f00000, v5
	v_cndmask_b32_e32 v3, 0x7e, v3, vcc_lo
; %bb.116:
	s_andn2_saveexec_b32 s18, s18
; %bb.117:
	v_add_f32_e64 v3, 0x46800000, |v2|
; %bb.118:
	s_or_b32 exec_lo, exec_lo, s18
                                        ; implicit-def: $vgpr5
.LBB14_119:
	s_andn2_saveexec_b32 s17, s17
; %bb.120:
	v_mov_b32_e32 v3, 0x7f
	v_cmp_lt_u32_e32 vcc_lo, 0x7f800000, v5
	v_cndmask_b32_e32 v3, 0x7e, v3, vcc_lo
; %bb.121:
	s_or_b32 exec_lo, exec_lo, s17
	v_lshrrev_b32_e32 v5, 24, v2
	v_and_or_b32 v3, 0x80, v5, v3
	global_store_byte v[0:1], v3, off
.LBB14_122:
	s_mov_b32 s17, 0
.LBB14_123:
	s_andn2_b32 vcc_lo, exec_lo, s17
	s_cbranch_vccnz .LBB14_133
; %bb.124:
	v_and_b32_e32 v5, 0x7fffffff, v2
	s_mov_b32 s17, exec_lo
                                        ; implicit-def: $vgpr3
	v_cmpx_gt_u32_e32 0x47800000, v5
	s_xor_b32 s17, exec_lo, s17
	s_cbranch_execz .LBB14_130
; %bb.125:
	s_mov_b32 s18, exec_lo
                                        ; implicit-def: $vgpr3
	v_cmpx_lt_u32_e32 0x387fffff, v5
	s_xor_b32 s18, exec_lo, s18
; %bb.126:
	v_bfe_u32 v3, v2, 21, 1
	v_add3_u32 v3, v2, v3, 0x80fffff
	v_lshrrev_b32_e32 v3, 21, v3
; %bb.127:
	s_andn2_saveexec_b32 s18, s18
; %bb.128:
	v_add_f32_e64 v3, 0x43000000, |v2|
; %bb.129:
	s_or_b32 exec_lo, exec_lo, s18
                                        ; implicit-def: $vgpr5
.LBB14_130:
	s_andn2_saveexec_b32 s17, s17
; %bb.131:
	v_mov_b32_e32 v3, 0x7f
	v_cmp_lt_u32_e32 vcc_lo, 0x7f800000, v5
	v_cndmask_b32_e32 v3, 0x7c, v3, vcc_lo
; %bb.132:
	s_or_b32 exec_lo, exec_lo, s17
	v_lshrrev_b32_e32 v5, 24, v2
	v_and_or_b32 v3, 0x80, v5, v3
	global_store_byte v[0:1], v3, off
.LBB14_133:
	s_mov_b32 s18, 0
	s_mov_b32 s17, -1
.LBB14_134:
	s_andn2_b32 vcc_lo, exec_lo, s18
	s_cbranch_vccnz .LBB14_142
; %bb.135:
	s_cmp_gt_i32 s12, 14
	s_mov_b32 s18, -1
	s_cbranch_scc0 .LBB14_139
; %bb.136:
	s_cmp_eq_u32 s12, 15
	s_mov_b32 s0, -1
	s_cbranch_scc0 .LBB14_138
; %bb.137:
	v_bfe_u32 v3, v2, 16, 1
	v_cmp_o_f32_e32 vcc_lo, v2, v2
	v_mov_b32_e32 v5, 0x7fc0
	s_mov_b32 s17, -1
	s_mov_b32 s0, 0
	v_add3_u32 v3, v2, v3, 0x7fff
	v_cndmask_b32_sdwa v3, v5, v3, vcc_lo dst_sel:DWORD dst_unused:UNUSED_PAD src0_sel:DWORD src1_sel:WORD_1
	global_store_short v[0:1], v3, off
.LBB14_138:
	s_mov_b32 s18, 0
.LBB14_139:
	s_and_b32 vcc_lo, exec_lo, s18
	s_cbranch_vccz .LBB14_142
; %bb.140:
	s_cmp_eq_u32 s12, 11
	s_mov_b32 s0, -1
	s_cbranch_scc0 .LBB14_142
; %bb.141:
	v_cmp_neq_f32_e32 vcc_lo, 0, v2
	s_mov_b32 s0, 0
	s_mov_b32 s17, -1
	v_cndmask_b32_e64 v3, 0, 1, vcc_lo
	global_store_byte v[0:1], v3, off
.LBB14_142:
.LBB14_143:
	s_andn2_b32 vcc_lo, exec_lo, s17
	s_cbranch_vccnz .LBB14_254
.LBB14_144:
	v_add_nc_u32_e32 v4, 0x80, v4
	s_mov_b32 s1, -1
	s_branch .LBB14_255
.LBB14_145:
	s_mov_b32 s14, -1
                                        ; implicit-def: $vgpr2
.LBB14_146:
	s_mov_b32 s12, 0
.LBB14_147:
	s_and_b32 vcc_lo, exec_lo, s12
	s_cbranch_vccz .LBB14_151
; %bb.148:
	s_cmp_eq_u32 s0, 29
	s_cbranch_scc0 .LBB14_150
; %bb.149:
	global_load_dwordx2 v[2:3], v[0:1], off
	s_mov_b32 s1, -1
	s_mov_b32 s14, 0
	s_mov_b32 s12, 0
	s_waitcnt vmcnt(0)
	v_ffbh_u32_e32 v5, v3
	v_min_u32_e32 v5, 32, v5
	v_lshlrev_b64 v[2:3], v5, v[2:3]
	v_min_u32_e32 v2, 1, v2
	v_or_b32_e32 v2, v3, v2
	v_sub_nc_u32_e32 v3, 32, v5
	v_cvt_f32_u32_e32 v2, v2
	v_ldexp_f32 v2, v2, v3
	s_branch .LBB14_152
.LBB14_150:
	s_mov_b32 s14, -1
                                        ; implicit-def: $vgpr2
.LBB14_151:
	s_mov_b32 s12, 0
.LBB14_152:
	s_and_b32 vcc_lo, exec_lo, s12
	s_cbranch_vccz .LBB14_170
; %bb.153:
	s_cmp_lt_i32 s0, 27
	s_cbranch_scc1 .LBB14_156
; %bb.154:
	s_cmp_gt_i32 s0, 27
	s_cbranch_scc0 .LBB14_157
; %bb.155:
	global_load_dword v2, v[0:1], off
	s_mov_b32 s1, 0
	s_waitcnt vmcnt(0)
	v_cvt_f32_u32_e32 v2, v2
	s_branch .LBB14_158
.LBB14_156:
	s_mov_b32 s1, -1
                                        ; implicit-def: $vgpr2
	s_branch .LBB14_161
.LBB14_157:
	s_mov_b32 s1, -1
                                        ; implicit-def: $vgpr2
.LBB14_158:
	s_andn2_b32 vcc_lo, exec_lo, s1
	s_cbranch_vccnz .LBB14_160
; %bb.159:
	global_load_ushort v2, v[0:1], off
	s_waitcnt vmcnt(0)
	v_cvt_f32_u32_e32 v2, v2
.LBB14_160:
	s_mov_b32 s1, 0
.LBB14_161:
	s_andn2_b32 vcc_lo, exec_lo, s1
	s_cbranch_vccnz .LBB14_169
; %bb.162:
	global_load_ubyte v3, v[0:1], off
	s_mov_b32 s1, 0
	s_mov_b32 s12, exec_lo
	s_waitcnt vmcnt(0)
	v_cmpx_lt_i16_e32 0x7f, v3
	s_xor_b32 s12, exec_lo, s12
	s_cbranch_execz .LBB14_182
; %bb.163:
	s_mov_b32 s1, -1
	s_mov_b32 s17, exec_lo
	v_cmpx_eq_u16_e32 0x80, v3
; %bb.164:
	s_xor_b32 s1, exec_lo, -1
; %bb.165:
	s_or_b32 exec_lo, exec_lo, s17
	s_and_b32 s1, s1, exec_lo
	s_or_saveexec_b32 s12, s12
	v_mov_b32_e32 v2, 0x7f800001
	s_xor_b32 exec_lo, exec_lo, s12
	s_cbranch_execnz .LBB14_183
.LBB14_166:
	s_or_b32 exec_lo, exec_lo, s12
	s_and_saveexec_b32 s12, s1
	s_cbranch_execz .LBB14_168
.LBB14_167:
	v_and_b32_e32 v2, 0xffff, v3
	v_lshlrev_b32_e32 v3, 24, v3
	v_and_b32_e32 v5, 7, v2
	v_bfe_u32 v8, v2, 3, 4
	v_and_b32_e32 v3, 0x80000000, v3
	v_ffbh_u32_e32 v6, v5
	v_cmp_eq_u32_e32 vcc_lo, 0, v8
	v_min_u32_e32 v6, 32, v6
	v_subrev_nc_u32_e32 v7, 28, v6
	v_sub_nc_u32_e32 v6, 29, v6
	v_lshlrev_b32_e32 v2, v7, v2
	v_cndmask_b32_e32 v6, v8, v6, vcc_lo
	v_and_b32_e32 v2, 7, v2
	v_cndmask_b32_e32 v2, v5, v2, vcc_lo
	v_lshl_add_u32 v5, v6, 23, 0x3b800000
	v_lshlrev_b32_e32 v2, 20, v2
	v_or3_b32 v2, v3, v5, v2
.LBB14_168:
	s_or_b32 exec_lo, exec_lo, s12
.LBB14_169:
	s_mov_b32 s1, -1
.LBB14_170:
	s_branch .LBB14_205
.LBB14_171:
	s_cmp_gt_i32 s0, 22
	s_cbranch_scc0 .LBB14_181
; %bb.172:
	s_cmp_lt_i32 s0, 24
	s_cbranch_scc1 .LBB14_184
; %bb.173:
	s_cmp_gt_i32 s0, 24
	s_cbranch_scc0 .LBB14_185
; %bb.174:
	global_load_ubyte v3, v[0:1], off
	s_mov_b32 s1, 0
	s_mov_b32 s12, exec_lo
	s_waitcnt vmcnt(0)
	v_cmpx_lt_i16_e32 0x7f, v3
	s_xor_b32 s12, exec_lo, s12
	s_cbranch_execz .LBB14_197
; %bb.175:
	s_mov_b32 s1, -1
	s_mov_b32 s17, exec_lo
	v_cmpx_eq_u16_e32 0x80, v3
; %bb.176:
	s_xor_b32 s1, exec_lo, -1
; %bb.177:
	s_or_b32 exec_lo, exec_lo, s17
	s_and_b32 s1, s1, exec_lo
	s_or_saveexec_b32 s12, s12
	v_mov_b32_e32 v2, 0x7f800001
	s_xor_b32 exec_lo, exec_lo, s12
	s_cbranch_execnz .LBB14_198
.LBB14_178:
	s_or_b32 exec_lo, exec_lo, s12
	s_and_saveexec_b32 s12, s1
	s_cbranch_execz .LBB14_180
.LBB14_179:
	v_and_b32_e32 v2, 0xffff, v3
	v_lshlrev_b32_e32 v3, 24, v3
	v_and_b32_e32 v5, 3, v2
	v_bfe_u32 v8, v2, 2, 5
	v_and_b32_e32 v3, 0x80000000, v3
	v_ffbh_u32_e32 v6, v5
	v_cmp_eq_u32_e32 vcc_lo, 0, v8
	v_min_u32_e32 v6, 32, v6
	v_subrev_nc_u32_e32 v7, 29, v6
	v_sub_nc_u32_e32 v6, 30, v6
	v_lshlrev_b32_e32 v2, v7, v2
	v_cndmask_b32_e32 v6, v8, v6, vcc_lo
	v_and_b32_e32 v2, 3, v2
	v_cndmask_b32_e32 v2, v5, v2, vcc_lo
	v_lshl_add_u32 v5, v6, 23, 0x37800000
	v_lshlrev_b32_e32 v2, 21, v2
	v_or3_b32 v2, v3, v5, v2
.LBB14_180:
	s_or_b32 exec_lo, exec_lo, s12
	s_mov_b32 s1, 0
	s_branch .LBB14_186
.LBB14_181:
	s_mov_b32 s12, -1
                                        ; implicit-def: $vgpr2
	s_branch .LBB14_192
.LBB14_182:
	s_or_saveexec_b32 s12, s12
	v_mov_b32_e32 v2, 0x7f800001
	s_xor_b32 exec_lo, exec_lo, s12
	s_cbranch_execz .LBB14_166
.LBB14_183:
	v_cmp_ne_u16_e32 vcc_lo, 0, v3
	v_mov_b32_e32 v2, 0
	s_andn2_b32 s1, s1, exec_lo
	s_and_b32 s17, vcc_lo, exec_lo
	s_or_b32 s1, s1, s17
	s_or_b32 exec_lo, exec_lo, s12
	s_and_saveexec_b32 s12, s1
	s_cbranch_execnz .LBB14_167
	s_branch .LBB14_168
.LBB14_184:
	s_mov_b32 s1, -1
                                        ; implicit-def: $vgpr2
	s_branch .LBB14_189
.LBB14_185:
	s_mov_b32 s1, -1
                                        ; implicit-def: $vgpr2
.LBB14_186:
	s_and_b32 vcc_lo, exec_lo, s1
	s_cbranch_vccz .LBB14_188
; %bb.187:
	global_load_ubyte v2, v[0:1], off
	s_waitcnt vmcnt(0)
	v_lshlrev_b32_e32 v2, 24, v2
	v_and_b32_e32 v3, 0x7f000000, v2
	v_ffbh_u32_e32 v5, v3
	v_add_nc_u32_e32 v7, 0x1000000, v3
	v_cmp_ne_u32_e32 vcc_lo, 0, v3
	v_min_u32_e32 v5, 32, v5
	v_sub_nc_u32_e64 v5, v5, 4 clamp
	v_lshlrev_b32_e32 v6, v5, v3
	v_lshlrev_b32_e32 v5, 23, v5
	v_lshrrev_b32_e32 v6, 4, v6
	v_sub_nc_u32_e32 v5, v6, v5
	v_ashrrev_i32_e32 v6, 8, v7
	v_add_nc_u32_e32 v5, 0x3c000000, v5
	v_and_or_b32 v5, 0x7f800000, v6, v5
	v_cndmask_b32_e32 v3, 0, v5, vcc_lo
	v_and_or_b32 v2, 0x80000000, v2, v3
.LBB14_188:
	s_mov_b32 s1, 0
.LBB14_189:
	s_andn2_b32 vcc_lo, exec_lo, s1
	s_cbranch_vccnz .LBB14_191
; %bb.190:
	global_load_ubyte v2, v[0:1], off
	s_waitcnt vmcnt(0)
	v_lshlrev_b32_e32 v3, 25, v2
	v_lshlrev_b16 v2, 8, v2
	v_lshrrev_b32_e32 v5, 4, v3
	v_and_or_b32 v6, 0x7f00, v2, 0.5
	v_cmp_gt_u32_e32 vcc_lo, 0x8000000, v3
	v_bfe_i32 v2, v2, 0, 16
	v_or_b32_e32 v5, 0x70000000, v5
	v_add_f32_e32 v6, -0.5, v6
	v_mul_f32_e32 v5, 0x7800000, v5
	v_cndmask_b32_e32 v3, v5, v6, vcc_lo
	v_and_or_b32 v2, 0x80000000, v2, v3
.LBB14_191:
	s_mov_b32 s12, 0
	s_mov_b32 s1, -1
.LBB14_192:
	s_andn2_b32 vcc_lo, exec_lo, s12
	s_cbranch_vccnz .LBB14_205
; %bb.193:
	s_cmp_gt_i32 s0, 14
	s_cbranch_scc0 .LBB14_196
; %bb.194:
	s_cmp_eq_u32 s0, 15
	s_cbranch_scc0 .LBB14_199
; %bb.195:
	global_load_ushort v2, v[0:1], off
	s_mov_b32 s1, -1
	s_mov_b32 s14, 0
	s_waitcnt vmcnt(0)
	v_lshlrev_b32_e32 v2, 16, v2
	s_branch .LBB14_200
.LBB14_196:
	s_mov_b32 s12, -1
                                        ; implicit-def: $vgpr2
	s_branch .LBB14_201
.LBB14_197:
	s_or_saveexec_b32 s12, s12
	v_mov_b32_e32 v2, 0x7f800001
	s_xor_b32 exec_lo, exec_lo, s12
	s_cbranch_execz .LBB14_178
.LBB14_198:
	v_cmp_ne_u16_e32 vcc_lo, 0, v3
	v_mov_b32_e32 v2, 0
	s_andn2_b32 s1, s1, exec_lo
	s_and_b32 s17, vcc_lo, exec_lo
	s_or_b32 s1, s1, s17
	s_or_b32 exec_lo, exec_lo, s12
	s_and_saveexec_b32 s12, s1
	s_cbranch_execnz .LBB14_179
	s_branch .LBB14_180
.LBB14_199:
	s_mov_b32 s14, -1
                                        ; implicit-def: $vgpr2
.LBB14_200:
	s_mov_b32 s12, 0
.LBB14_201:
	s_and_b32 vcc_lo, exec_lo, s12
	s_cbranch_vccz .LBB14_205
; %bb.202:
	s_cmp_eq_u32 s0, 11
	s_cbranch_scc0 .LBB14_204
; %bb.203:
	global_load_ubyte v2, v[0:1], off
	s_mov_b32 s14, 0
	s_mov_b32 s1, -1
	s_waitcnt vmcnt(0)
	v_cmp_ne_u16_e32 vcc_lo, 0, v2
	v_cndmask_b32_e64 v2, 0, 1.0, vcc_lo
	s_branch .LBB14_205
.LBB14_204:
	s_mov_b32 s14, -1
                                        ; implicit-def: $vgpr2
.LBB14_205:
	s_branch .LBB14_10
.LBB14_206:
	s_cmp_lt_i32 s0, 5
	s_cbranch_scc1 .LBB14_211
; %bb.207:
	s_cmp_lt_i32 s0, 8
	s_cbranch_scc1 .LBB14_212
; %bb.208:
	;; [unrolled: 3-line block ×3, first 2 shown]
	s_cmp_gt_i32 s0, 9
	s_cbranch_scc0 .LBB14_214
; %bb.210:
	global_load_dwordx2 v[2:3], v[0:1], off
	s_mov_b32 s1, 0
	s_waitcnt vmcnt(0)
	v_cvt_f32_f64_e32 v2, v[2:3]
	s_branch .LBB14_215
.LBB14_211:
                                        ; implicit-def: $vgpr2
	s_branch .LBB14_233
.LBB14_212:
	s_mov_b32 s1, -1
                                        ; implicit-def: $vgpr2
	s_branch .LBB14_221
.LBB14_213:
	s_mov_b32 s1, -1
                                        ; implicit-def: $vgpr2
	s_branch .LBB14_218
.LBB14_214:
	s_mov_b32 s1, -1
                                        ; implicit-def: $vgpr2
.LBB14_215:
	s_andn2_b32 vcc_lo, exec_lo, s1
	s_cbranch_vccnz .LBB14_217
; %bb.216:
	global_load_dword v2, v[0:1], off
.LBB14_217:
	s_mov_b32 s1, 0
.LBB14_218:
	s_andn2_b32 vcc_lo, exec_lo, s1
	s_cbranch_vccnz .LBB14_220
; %bb.219:
	global_load_dword v2, v[0:1], off
	s_waitcnt vmcnt(0)
	v_cvt_f32_f16_e32 v2, v2
.LBB14_220:
	s_mov_b32 s1, 0
.LBB14_221:
	s_andn2_b32 vcc_lo, exec_lo, s1
	s_cbranch_vccnz .LBB14_232
; %bb.222:
	s_cmp_lt_i32 s0, 6
	s_cbranch_scc1 .LBB14_225
; %bb.223:
	s_cmp_gt_i32 s0, 6
	s_cbranch_scc0 .LBB14_226
; %bb.224:
	global_load_dwordx2 v[2:3], v[0:1], off
	s_mov_b32 s1, 0
	s_waitcnt vmcnt(0)
	v_cvt_f32_f64_e32 v2, v[2:3]
	s_branch .LBB14_227
.LBB14_225:
	s_mov_b32 s1, -1
                                        ; implicit-def: $vgpr2
	s_branch .LBB14_230
.LBB14_226:
	s_mov_b32 s1, -1
                                        ; implicit-def: $vgpr2
.LBB14_227:
	s_andn2_b32 vcc_lo, exec_lo, s1
	s_cbranch_vccnz .LBB14_229
; %bb.228:
	global_load_dword v2, v[0:1], off
.LBB14_229:
	s_mov_b32 s1, 0
.LBB14_230:
	s_andn2_b32 vcc_lo, exec_lo, s1
	s_cbranch_vccnz .LBB14_232
; %bb.231:
	global_load_ushort v2, v[0:1], off
	s_waitcnt vmcnt(0)
	v_cvt_f32_f16_e32 v2, v2
.LBB14_232:
	s_cbranch_execnz .LBB14_252
.LBB14_233:
	s_cmp_lt_i32 s0, 2
	s_cbranch_scc1 .LBB14_237
; %bb.234:
	s_cmp_lt_i32 s0, 3
	s_cbranch_scc1 .LBB14_238
; %bb.235:
	s_cmp_gt_i32 s0, 3
	s_cbranch_scc0 .LBB14_239
; %bb.236:
	global_load_dwordx2 v[2:3], v[0:1], off
	s_mov_b32 s1, 0
	s_waitcnt vmcnt(0)
	v_xor_b32_e32 v5, v2, v3
	v_ffbh_i32_e32 v6, v3
	v_ashrrev_i32_e32 v5, 31, v5
	v_add_nc_u32_e32 v6, -1, v6
	v_add_nc_u32_e32 v5, 32, v5
	v_min_u32_e32 v5, v6, v5
	v_lshlrev_b64 v[2:3], v5, v[2:3]
	v_min_u32_e32 v2, 1, v2
	v_or_b32_e32 v2, v3, v2
	v_sub_nc_u32_e32 v3, 32, v5
	v_cvt_f32_i32_e32 v2, v2
	v_ldexp_f32 v2, v2, v3
	s_branch .LBB14_240
.LBB14_237:
	s_mov_b32 s1, -1
                                        ; implicit-def: $vgpr2
	s_branch .LBB14_246
.LBB14_238:
	s_mov_b32 s1, -1
                                        ; implicit-def: $vgpr2
	s_branch .LBB14_243
.LBB14_239:
	s_mov_b32 s1, -1
                                        ; implicit-def: $vgpr2
.LBB14_240:
	s_andn2_b32 vcc_lo, exec_lo, s1
	s_cbranch_vccnz .LBB14_242
; %bb.241:
	global_load_dword v2, v[0:1], off
	s_waitcnt vmcnt(0)
	v_cvt_f32_i32_e32 v2, v2
.LBB14_242:
	s_mov_b32 s1, 0
.LBB14_243:
	s_andn2_b32 vcc_lo, exec_lo, s1
	s_cbranch_vccnz .LBB14_245
; %bb.244:
	global_load_sshort v2, v[0:1], off
	s_waitcnt vmcnt(0)
	v_cvt_f32_i32_e32 v2, v2
.LBB14_245:
	s_mov_b32 s1, 0
.LBB14_246:
	s_andn2_b32 vcc_lo, exec_lo, s1
	s_cbranch_vccnz .LBB14_252
; %bb.247:
	s_cmp_gt_i32 s0, 0
	s_mov_b32 s0, 0
	s_cbranch_scc0 .LBB14_249
; %bb.248:
	global_load_sbyte v2, v[0:1], off
	s_waitcnt vmcnt(0)
	v_cvt_f32_i32_e32 v2, v2
	s_branch .LBB14_250
.LBB14_249:
	s_mov_b32 s0, -1
                                        ; implicit-def: $vgpr2
.LBB14_250:
	s_andn2_b32 vcc_lo, exec_lo, s0
	s_cbranch_vccnz .LBB14_252
; %bb.251:
	global_load_ubyte v0, v[0:1], off
	s_waitcnt vmcnt(0)
	v_cvt_f32_ubyte0_e32 v2, v0
.LBB14_252:
	s_branch .LBB14_11
.LBB14_253:
	s_mov_b32 s0, 0
.LBB14_254:
	s_mov_b32 s1, 0
                                        ; implicit-def: $vgpr4
.LBB14_255:
	s_and_b32 s12, s0, exec_lo
	s_and_b32 s14, s14, exec_lo
	s_orn2_b32 s1, s1, exec_lo
.LBB14_256:
	s_or_b32 exec_lo, exec_lo, s15
	s_mov_b32 s17, 0
	s_mov_b32 s0, 0
                                        ; implicit-def: $vgpr0_vgpr1
                                        ; implicit-def: $vgpr3
	s_and_saveexec_b32 s15, s1
	s_cbranch_execz .LBB14_265
; %bb.257:
	s_mov_b32 s0, -1
	s_mov_b32 s16, s14
	s_mov_b32 s17, s12
	s_mov_b32 s18, exec_lo
	v_cmpx_gt_i32_e64 s13, v4
	s_cbranch_execz .LBB14_522
; %bb.258:
	v_mul_lo_u32 v0, v4, s3
	s_and_b32 s0, 0xffff, s6
	s_cmp_lt_i32 s0, 11
	v_ashrrev_i32_e32 v1, 31, v0
	v_add_co_u32 v0, vcc_lo, s10, v0
	v_add_co_ci_u32_e64 v1, null, s11, v1, vcc_lo
	s_cbranch_scc1 .LBB14_268
; %bb.259:
	s_cmp_gt_i32 s0, 25
	s_cbranch_scc0 .LBB14_321
; %bb.260:
	s_cmp_gt_i32 s0, 28
	s_cbranch_scc0 .LBB14_322
	;; [unrolled: 3-line block ×4, first 2 shown]
; %bb.263:
	s_cmp_eq_u32 s0, 46
	s_mov_b32 s17, 0
	s_cbranch_scc0 .LBB14_332
; %bb.264:
	global_load_dword v2, v[0:1], off
	s_mov_b32 s1, -1
	s_mov_b32 s16, 0
	s_waitcnt vmcnt(0)
	v_lshlrev_b32_e32 v2, 16, v2
	s_branch .LBB14_334
.LBB14_265:
	s_or_b32 exec_lo, exec_lo, s15
	s_mov_b32 s13, 0
	s_and_saveexec_b32 s1, s14
	s_cbranch_execnz .LBB14_873
.LBB14_266:
	s_or_b32 exec_lo, exec_lo, s1
	s_and_saveexec_b32 s1, s16
	s_xor_b32 s1, exec_lo, s1
	s_cbranch_execz .LBB14_874
.LBB14_267:
	global_load_ubyte v2, v[0:1], off
	s_or_b32 s0, s0, exec_lo
	s_waitcnt vmcnt(0)
	v_cmp_ne_u16_e32 vcc_lo, 0, v2
	v_cndmask_b32_e64 v3, 0, 1.0, vcc_lo
	s_or_b32 exec_lo, exec_lo, s1
	s_and_saveexec_b32 s1, s17
	s_cbranch_execz .LBB14_920
	s_branch .LBB14_875
.LBB14_268:
	s_mov_b32 s1, 0
	s_mov_b32 s16, s14
                                        ; implicit-def: $vgpr2
	s_cbranch_execnz .LBB14_471
.LBB14_269:
	s_andn2_b32 vcc_lo, exec_lo, s1
	s_cbranch_vccnz .LBB14_519
.LBB14_270:
	s_waitcnt vmcnt(0)
	v_and_b32_e32 v0, 0x7fffffff, v2
                                        ; implicit-def: $vgpr3
                                        ; implicit-def: $vgpr1
	s_mov_b32 s1, exec_lo
	v_cmpx_ngt_f32_e64 0x48000000, |v2|
	s_xor_b32 s17, exec_lo, s1
	s_cbranch_execz .LBB14_272
; %bb.271:
	s_mov_b32 s0, 0x7fffff
	v_mov_b32_e32 v7, 0
	v_and_or_b32 v1, v0, s0, 0x800000
	v_lshrrev_b32_e32 v3, 23, v0
	v_mad_u64_u32 v[5:6], null, 0xfe5163ab, v1, 0
	v_add_nc_u32_e32 v3, 0xffffff88, v3
	v_cmp_lt_u32_e32 vcc_lo, 63, v3
	v_mad_u64_u32 v[8:9], null, 0x3c439041, v1, v[6:7]
	v_cndmask_b32_e64 v13, 0, 0xffffffc0, vcc_lo
	v_mov_b32_e32 v6, v9
	v_add_nc_u32_e32 v3, v13, v3
	v_mad_u64_u32 v[9:10], null, 0xdb629599, v1, v[6:7]
	v_cmp_lt_u32_e64 s0, 31, v3
	v_cndmask_b32_e64 v14, 0, 0xffffffe0, s0
	v_mov_b32_e32 v6, v10
	v_cndmask_b32_e32 v5, v9, v5, vcc_lo
	v_add_nc_u32_e32 v3, v14, v3
	v_mad_u64_u32 v[10:11], null, 0xf534ddc0, v1, v[6:7]
	v_cmp_lt_u32_e64 s1, 31, v3
	v_mov_b32_e32 v6, v11
	v_mad_u64_u32 v[11:12], null, 0xfc2757d1, v1, v[6:7]
	v_mov_b32_e32 v6, v12
	v_mad_u64_u32 v[12:13], null, 0x4e441529, v1, v[6:7]
	v_mov_b32_e32 v6, v13
	v_cndmask_b32_e32 v13, v12, v10, vcc_lo
	v_mad_u64_u32 v[6:7], null, 0xa2f9836e, v1, v[6:7]
	v_cndmask_b32_e64 v1, 0, 0xffffffe0, s1
	v_add_nc_u32_e32 v1, v1, v3
	v_cndmask_b32_e32 v6, v6, v11, vcc_lo
	v_cndmask_b32_e32 v7, v7, v12, vcc_lo
	;; [unrolled: 1-line block ×4, first 2 shown]
	v_sub_nc_u32_e32 v10, 32, v1
	v_cndmask_b32_e64 v8, v6, v13, s0
	v_cndmask_b32_e64 v6, v7, v6, s0
	;; [unrolled: 1-line block ×4, first 2 shown]
	v_cmp_eq_u32_e32 vcc_lo, 0, v1
	v_cndmask_b32_e64 v3, v3, v5, s0
	v_cndmask_b32_e64 v6, v6, v8, s1
	;; [unrolled: 1-line block ×5, first 2 shown]
	v_alignbit_b32 v12, v6, v8, v10
	v_alignbit_b32 v9, v8, v7, v10
	;; [unrolled: 1-line block ×3, first 2 shown]
	v_cndmask_b32_e32 v1, v12, v6, vcc_lo
	v_cndmask_b32_e32 v5, v9, v8, vcc_lo
	;; [unrolled: 1-line block ×3, first 2 shown]
	v_bfe_u32 v6, v1, 29, 1
	v_alignbit_b32 v8, v1, v5, 30
	v_alignbit_b32 v5, v5, v7, 30
	v_alignbit_b32 v3, v7, v3, 30
	v_sub_nc_u32_e32 v9, 0, v6
	v_xor_b32_e32 v8, v8, v9
	v_xor_b32_e32 v5, v5, v9
	;; [unrolled: 1-line block ×3, first 2 shown]
	v_lshrrev_b32_e32 v9, 29, v1
	v_ffbh_u32_e32 v10, v8
	v_min_u32_e32 v10, 32, v10
	v_sub_nc_u32_e32 v7, 31, v10
	v_lshlrev_b32_e32 v11, 23, v10
	v_alignbit_b32 v8, v8, v5, v7
	v_alignbit_b32 v3, v5, v3, v7
	v_lshlrev_b32_e32 v5, 31, v9
	v_alignbit_b32 v7, v8, v3, 9
	v_or_b32_e32 v9, 0.5, v5
	v_lshrrev_b32_e32 v8, 9, v8
	v_or_b32_e32 v5, 0x33000000, v5
	v_ffbh_u32_e32 v12, v7
	v_sub_nc_u32_e32 v9, v9, v11
	v_min_u32_e32 v11, 32, v12
	v_or_b32_e32 v8, v8, v9
	v_not_b32_e32 v9, v11
	v_mul_f32_e32 v12, 0x3fc90fda, v8
	v_add_lshl_u32 v10, v11, v10, 23
	v_alignbit_b32 v3, v7, v3, v9
	v_fma_f32 v7, 0x3fc90fda, v8, -v12
	v_sub_nc_u32_e32 v5, v5, v10
	v_lshrrev_b32_e32 v3, 9, v3
	v_fmamk_f32 v7, v8, 0x33a22168, v7
	v_or_b32_e32 v3, v5, v3
	v_fmac_f32_e32 v7, 0x3fc90fda, v3
	v_lshrrev_b32_e32 v3, 30, v1
	v_add_f32_e32 v1, v12, v7
	v_add_nc_u32_e32 v3, v6, v3
.LBB14_272:
	s_andn2_saveexec_b32 s0, s17
; %bb.273:
	v_mul_f32_e64 v1, 0x3f22f983, |v2|
	v_rndne_f32_e32 v3, v1
	v_fma_f32 v1, 0xbfc90fda, v3, |v2|
	v_fmamk_f32 v1, v3, 0xb3a22168, v1
	v_fmamk_f32 v1, v3, 0xa7c234c4, v1
	v_cvt_i32_f32_e32 v3, v3
; %bb.274:
	s_or_b32 exec_lo, exec_lo, s0
	v_mul_f32_e32 v5, v1, v1
	s_mov_b32 s0, 0xb94c1982
	s_mov_b32 s1, 0x37d75334
	v_and_b32_e32 v8, 1, v3
	v_lshlrev_b32_e32 v3, 30, v3
	v_fmaak_f32 v6, s0, v5, 0x3c0881c4
	v_fmaak_f32 v7, s1, v5, 0xbab64f3b
	v_xor_b32_e32 v0, v0, v2
	v_cmp_eq_u32_e32 vcc_lo, 0, v8
	v_and_b32_e32 v3, 0x80000000, v3
	v_fmaak_f32 v6, v5, v6, 0xbe2aaa9d
	v_fmaak_f32 v7, v5, v7, 0x3d2aabf7
	s_and_b32 s1, s4, 0xff
	s_mov_b32 s19, 0
	s_mov_b32 s17, -1
	v_mul_f32_e32 v6, v5, v6
	v_fmaak_f32 v7, v5, v7, 0xbf000004
	s_cmp_lt_i32 s1, 11
	s_mov_b32 s0, s12
	v_fmac_f32_e32 v1, v1, v6
	v_mul_lo_u32 v6, v4, s2
	v_fma_f32 v5, v5, v7, 1.0
	v_cndmask_b32_e32 v1, v5, v1, vcc_lo
	v_ashrrev_i32_e32 v5, 31, v6
	v_xor3_b32 v3, v0, v3, v1
	v_add_co_u32 v0, vcc_lo, s8, v6
	v_add_co_ci_u32_e64 v1, null, s9, v5, vcc_lo
	v_cmp_class_f32_e64 vcc_lo, v2, 0x1f8
	v_cndmask_b32_e32 v2, 0x7fc00000, v3, vcc_lo
	s_cbranch_scc1 .LBB14_281
; %bb.275:
	s_and_b32 s17, 0xffff, s1
	s_cmp_gt_i32 s17, 25
	s_cbranch_scc0 .LBB14_323
; %bb.276:
	s_cmp_gt_i32 s17, 28
	s_cbranch_scc0 .LBB14_325
; %bb.277:
	s_cmp_gt_i32 s17, 43
	s_cbranch_scc0 .LBB14_329
; %bb.278:
	s_cmp_gt_i32 s17, 45
	s_cbranch_scc0 .LBB14_337
; %bb.279:
	s_mov_b32 s20, 0
	s_mov_b32 s0, -1
	s_cmp_eq_u32 s17, 46
	s_cbranch_scc0 .LBB14_338
; %bb.280:
	v_bfe_u32 v3, v2, 16, 1
	v_cmp_o_f32_e32 vcc_lo, v2, v2
	v_mov_b32_e32 v5, 0x7fc0
	s_mov_b32 s19, -1
	s_mov_b32 s0, 0
	v_add3_u32 v3, v2, v3, 0x7fff
	v_cndmask_b32_sdwa v3, v5, v3, vcc_lo dst_sel:DWORD dst_unused:UNUSED_PAD src0_sel:DWORD src1_sel:WORD_1
	global_store_dword v[0:1], v3, off
	s_branch .LBB14_338
.LBB14_281:
	s_and_b32 vcc_lo, exec_lo, s17
	s_cbranch_vccz .LBB14_407
; %bb.282:
	s_and_b32 s1, 0xffff, s1
	s_mov_b32 s17, -1
	s_cmp_lt_i32 s1, 5
	s_cbranch_scc1 .LBB14_303
; %bb.283:
	s_cmp_lt_i32 s1, 8
	s_cbranch_scc1 .LBB14_293
; %bb.284:
	;; [unrolled: 3-line block ×3, first 2 shown]
	s_cmp_gt_i32 s1, 9
	s_cbranch_scc0 .LBB14_287
; %bb.286:
	v_cvt_f64_f32_e32 v[5:6], v2
	v_mov_b32_e32 v7, 0
	s_mov_b32 s17, 0
	v_mov_b32_e32 v8, v7
	global_store_dwordx4 v[0:1], v[5:8], off
.LBB14_287:
	s_andn2_b32 vcc_lo, exec_lo, s17
	s_cbranch_vccnz .LBB14_289
; %bb.288:
	v_mov_b32_e32 v3, 0
	global_store_dwordx2 v[0:1], v[2:3], off
.LBB14_289:
	s_mov_b32 s17, 0
.LBB14_290:
	s_andn2_b32 vcc_lo, exec_lo, s17
	s_cbranch_vccnz .LBB14_292
; %bb.291:
	v_cvt_f16_f32_e32 v3, v2
	v_and_b32_e32 v3, 0xffff, v3
	global_store_dword v[0:1], v3, off
.LBB14_292:
	s_mov_b32 s17, 0
.LBB14_293:
	s_andn2_b32 vcc_lo, exec_lo, s17
	s_cbranch_vccnz .LBB14_302
; %bb.294:
	s_cmp_lt_i32 s1, 6
	s_mov_b32 s17, -1
	s_cbranch_scc1 .LBB14_300
; %bb.295:
	s_cmp_gt_i32 s1, 6
	s_cbranch_scc0 .LBB14_297
; %bb.296:
	v_cvt_f64_f32_e32 v[5:6], v2
	s_mov_b32 s17, 0
	global_store_dwordx2 v[0:1], v[5:6], off
.LBB14_297:
	s_andn2_b32 vcc_lo, exec_lo, s17
	s_cbranch_vccnz .LBB14_299
; %bb.298:
	global_store_dword v[0:1], v2, off
.LBB14_299:
	s_mov_b32 s17, 0
.LBB14_300:
	s_andn2_b32 vcc_lo, exec_lo, s17
	s_cbranch_vccnz .LBB14_302
; %bb.301:
	v_cvt_f16_f32_e32 v3, v2
	global_store_short v[0:1], v3, off
.LBB14_302:
	s_mov_b32 s17, 0
.LBB14_303:
	s_andn2_b32 vcc_lo, exec_lo, s17
	s_cbranch_vccnz .LBB14_319
; %bb.304:
	s_cmp_lt_i32 s1, 2
	s_mov_b32 s17, -1
	s_cbranch_scc1 .LBB14_314
; %bb.305:
	s_cmp_lt_i32 s1, 3
	s_cbranch_scc1 .LBB14_311
; %bb.306:
	s_cmp_gt_i32 s1, 3
	s_cbranch_scc0 .LBB14_308
; %bb.307:
	v_trunc_f32_e32 v3, v2
	s_mov_b32 s17, 0
	v_mul_f32_e64 v5, 0x2f800000, |v3|
	v_floor_f32_e32 v5, v5
	v_fma_f32 v6, 0xcf800000, v5, |v3|
	v_ashrrev_i32_e32 v3, 31, v3
	v_cvt_u32_f32_e32 v5, v5
	v_cvt_u32_f32_e32 v6, v6
	v_xor_b32_e32 v7, v5, v3
	v_xor_b32_e32 v6, v6, v3
	v_sub_co_u32 v5, vcc_lo, v6, v3
	v_sub_co_ci_u32_e64 v6, null, v7, v3, vcc_lo
	global_store_dwordx2 v[0:1], v[5:6], off
.LBB14_308:
	s_andn2_b32 vcc_lo, exec_lo, s17
	s_cbranch_vccnz .LBB14_310
; %bb.309:
	v_cvt_i32_f32_e32 v3, v2
	global_store_dword v[0:1], v3, off
.LBB14_310:
	s_mov_b32 s17, 0
.LBB14_311:
	s_andn2_b32 vcc_lo, exec_lo, s17
	s_cbranch_vccnz .LBB14_313
; %bb.312:
	v_cvt_i32_f32_e32 v3, v2
	global_store_short v[0:1], v3, off
.LBB14_313:
	s_mov_b32 s17, 0
.LBB14_314:
	s_andn2_b32 vcc_lo, exec_lo, s17
	s_cbranch_vccnz .LBB14_319
; %bb.315:
	s_cmp_gt_i32 s1, 0
	s_mov_b32 s1, -1
	s_cbranch_scc0 .LBB14_317
; %bb.316:
	v_cvt_i32_f32_e32 v3, v2
	s_mov_b32 s1, 0
	global_store_byte v[0:1], v3, off
.LBB14_317:
	s_andn2_b32 vcc_lo, exec_lo, s1
	s_cbranch_vccnz .LBB14_319
; %bb.318:
	v_trunc_f32_e32 v2, v2
	v_mul_f32_e64 v3, 0x2f800000, |v2|
	v_floor_f32_e32 v3, v3
	v_fma_f32 v3, 0xcf800000, v3, |v2|
	v_ashrrev_i32_e32 v2, 31, v2
	v_cvt_u32_f32_e32 v3, v3
	v_xor_b32_e32 v3, v3, v2
	v_sub_nc_u32_e32 v2, v3, v2
	global_store_byte v[0:1], v2, off
.LBB14_319:
	s_branch .LBB14_408
.LBB14_320:
	s_mov_b32 s1, 0
	s_branch .LBB14_520
.LBB14_321:
	s_mov_b32 s17, -1
	s_mov_b32 s1, 0
	s_mov_b32 s16, s14
                                        ; implicit-def: $vgpr2
	s_branch .LBB14_435
.LBB14_322:
	s_mov_b32 s17, -1
	s_mov_b32 s1, 0
	s_mov_b32 s16, s14
                                        ; implicit-def: $vgpr2
	s_branch .LBB14_416
.LBB14_323:
	s_mov_b32 s20, -1
	s_mov_b32 s0, s12
	s_branch .LBB14_365
.LBB14_324:
	s_mov_b32 s17, -1
	s_mov_b32 s1, 0
	s_mov_b32 s16, s14
                                        ; implicit-def: $vgpr2
	s_branch .LBB14_411
.LBB14_325:
	s_mov_b32 s20, -1
	s_mov_b32 s0, s12
	s_branch .LBB14_348
.LBB14_326:
	s_andn2_saveexec_b32 s19, s19
	s_cbranch_execz .LBB14_95
.LBB14_327:
	v_add_f32_e64 v3, 0x46000000, |v2|
	s_andn2_b32 s18, s18, exec_lo
	v_and_b32_e32 v3, 0xff, v3
	v_cmp_ne_u32_e32 vcc_lo, 0, v3
	s_and_b32 s20, vcc_lo, exec_lo
	s_or_b32 s18, s18, s20
	s_or_b32 exec_lo, exec_lo, s19
	v_mov_b32_e32 v5, 0
	s_and_saveexec_b32 s19, s18
	s_cbranch_execnz .LBB14_96
	s_branch .LBB14_97
.LBB14_328:
	s_mov_b32 s17, -1
	s_mov_b32 s1, 0
	s_mov_b32 s16, s14
	s_branch .LBB14_333
.LBB14_329:
	s_mov_b32 s20, -1
	s_mov_b32 s0, s12
	s_branch .LBB14_344
.LBB14_330:
	s_andn2_saveexec_b32 s19, s19
	s_cbranch_execz .LBB14_108
.LBB14_331:
	v_add_f32_e64 v3, 0x42800000, |v2|
	s_andn2_b32 s18, s18, exec_lo
	v_and_b32_e32 v3, 0xff, v3
	v_cmp_ne_u32_e32 vcc_lo, 0, v3
	s_and_b32 s20, vcc_lo, exec_lo
	s_or_b32 s18, s18, s20
	s_or_b32 exec_lo, exec_lo, s19
	v_mov_b32_e32 v5, 0
	s_and_saveexec_b32 s19, s18
	s_cbranch_execnz .LBB14_109
	s_branch .LBB14_110
.LBB14_332:
	s_mov_b32 s16, -1
	s_mov_b32 s1, 0
.LBB14_333:
                                        ; implicit-def: $vgpr2
.LBB14_334:
	s_and_b32 vcc_lo, exec_lo, s17
	s_cbranch_vccz .LBB14_410
; %bb.335:
	s_cmp_eq_u32 s0, 44
	s_cbranch_scc0 .LBB14_409
; %bb.336:
	global_load_ubyte v2, v[0:1], off
	s_mov_b32 s16, 0
	s_mov_b32 s1, -1
	s_waitcnt vmcnt(0)
	v_lshlrev_b32_e32 v3, 23, v2
	v_cmp_ne_u32_e32 vcc_lo, 0xff, v2
	v_cndmask_b32_e32 v3, 0x7f800001, v3, vcc_lo
	v_cmp_ne_u32_e32 vcc_lo, 0, v2
	v_cndmask_b32_e32 v2, 0x400000, v3, vcc_lo
	s_branch .LBB14_410
.LBB14_337:
	s_mov_b32 s20, -1
	s_mov_b32 s0, s12
.LBB14_338:
	s_and_b32 vcc_lo, exec_lo, s20
	s_cbranch_vccz .LBB14_343
; %bb.339:
	s_cmp_eq_u32 s17, 44
	s_mov_b32 s0, -1
	s_cbranch_scc0 .LBB14_343
; %bb.340:
	v_bfe_u32 v5, v2, 23, 8
	v_mov_b32_e32 v3, 0xff
	s_mov_b32 s19, exec_lo
	v_cmpx_ne_u32_e32 0xff, v5
	s_cbranch_execz .LBB14_342
; %bb.341:
	v_and_b32_e32 v3, 0x400000, v2
	v_and_or_b32 v5, 0x3fffff, v2, v5
	v_cmp_ne_u32_e32 vcc_lo, 0, v3
	v_cmp_ne_u32_e64 s0, 0, v5
	v_lshrrev_b32_e32 v3, 23, v2
	s_and_b32 s0, vcc_lo, s0
	v_cndmask_b32_e64 v5, 0, 1, s0
	v_add_nc_u32_e32 v3, v3, v5
.LBB14_342:
	s_or_b32 exec_lo, exec_lo, s19
	s_mov_b32 s19, -1
	s_mov_b32 s0, 0
	global_store_byte v[0:1], v3, off
.LBB14_343:
	s_mov_b32 s20, 0
.LBB14_344:
	s_and_b32 vcc_lo, exec_lo, s20
	s_cbranch_vccz .LBB14_347
; %bb.345:
	s_cmp_eq_u32 s17, 29
	s_mov_b32 s0, -1
	s_cbranch_scc0 .LBB14_347
; %bb.346:
	v_trunc_f32_e32 v3, v2
	s_mov_b32 s19, -1
	s_mov_b32 s0, 0
	s_mov_b32 s20, 0
	v_mul_f32_e32 v5, 0x2f800000, v3
	v_floor_f32_e32 v5, v5
	v_fmamk_f32 v3, v5, 0xcf800000, v3
	v_cvt_u32_f32_e32 v6, v5
	v_cvt_u32_f32_e32 v5, v3
	global_store_dwordx2 v[0:1], v[5:6], off
	s_branch .LBB14_348
.LBB14_347:
	s_mov_b32 s20, 0
.LBB14_348:
	s_and_b32 vcc_lo, exec_lo, s20
	s_cbranch_vccz .LBB14_364
; %bb.349:
	s_cmp_lt_i32 s17, 27
	s_mov_b32 s19, -1
	s_cbranch_scc1 .LBB14_355
; %bb.350:
	v_cvt_u32_f32_e32 v3, v2
	s_cmp_gt_i32 s17, 27
	s_cbranch_scc0 .LBB14_352
; %bb.351:
	s_mov_b32 s19, 0
	global_store_dword v[0:1], v3, off
.LBB14_352:
	s_andn2_b32 vcc_lo, exec_lo, s19
	s_cbranch_vccnz .LBB14_354
; %bb.353:
	global_store_short v[0:1], v3, off
.LBB14_354:
	s_mov_b32 s19, 0
.LBB14_355:
	s_andn2_b32 vcc_lo, exec_lo, s19
	s_cbranch_vccnz .LBB14_363
; %bb.356:
	v_and_b32_e32 v3, 0x7fffffff, v2
	v_mov_b32_e32 v5, 0x80
	s_mov_b32 s19, exec_lo
	v_cmpx_gt_u32_e32 0x43800000, v3
	s_cbranch_execz .LBB14_362
; %bb.357:
	v_cmp_lt_u32_e32 vcc_lo, 0x3bffffff, v3
	s_mov_b32 s20, 0
                                        ; implicit-def: $vgpr3
	s_and_saveexec_b32 s21, vcc_lo
	s_xor_b32 s21, exec_lo, s21
	s_cbranch_execz .LBB14_535
; %bb.358:
	v_bfe_u32 v3, v2, 20, 1
	s_mov_b32 s20, exec_lo
	v_add3_u32 v3, v2, v3, 0x487ffff
	v_lshrrev_b32_e32 v3, 20, v3
	s_andn2_saveexec_b32 s21, s21
	s_cbranch_execnz .LBB14_536
.LBB14_359:
	s_or_b32 exec_lo, exec_lo, s21
	v_mov_b32_e32 v5, 0
	s_and_saveexec_b32 s21, s20
.LBB14_360:
	v_lshrrev_b32_e32 v5, 24, v2
	v_and_or_b32 v5, 0x80, v5, v3
.LBB14_361:
	s_or_b32 exec_lo, exec_lo, s21
.LBB14_362:
	s_or_b32 exec_lo, exec_lo, s19
	global_store_byte v[0:1], v5, off
.LBB14_363:
	s_mov_b32 s19, -1
.LBB14_364:
	s_mov_b32 s20, 0
.LBB14_365:
	s_and_b32 vcc_lo, exec_lo, s20
	s_cbranch_vccz .LBB14_406
; %bb.366:
	s_cmp_gt_i32 s17, 22
	s_mov_b32 s20, -1
	s_cbranch_scc0 .LBB14_398
; %bb.367:
	s_cmp_lt_i32 s17, 24
	s_mov_b32 s19, -1
	s_cbranch_scc1 .LBB14_387
; %bb.368:
	s_cmp_gt_i32 s17, 24
	s_cbranch_scc0 .LBB14_376
; %bb.369:
	v_and_b32_e32 v3, 0x7fffffff, v2
	v_mov_b32_e32 v5, 0x80
	s_mov_b32 s19, exec_lo
	v_cmpx_gt_u32_e32 0x47800000, v3
	s_cbranch_execz .LBB14_375
; %bb.370:
	v_cmp_lt_u32_e32 vcc_lo, 0x37ffffff, v3
	s_mov_b32 s20, 0
                                        ; implicit-def: $vgpr3
	s_and_saveexec_b32 s21, vcc_lo
	s_xor_b32 s21, exec_lo, s21
	s_cbranch_execz .LBB14_538
; %bb.371:
	v_bfe_u32 v3, v2, 21, 1
	s_mov_b32 s20, exec_lo
	v_add3_u32 v3, v2, v3, 0x88fffff
	v_lshrrev_b32_e32 v3, 21, v3
	s_andn2_saveexec_b32 s21, s21
	s_cbranch_execnz .LBB14_539
.LBB14_372:
	s_or_b32 exec_lo, exec_lo, s21
	v_mov_b32_e32 v5, 0
	s_and_saveexec_b32 s21, s20
.LBB14_373:
	v_lshrrev_b32_e32 v5, 24, v2
	v_and_or_b32 v5, 0x80, v5, v3
.LBB14_374:
	s_or_b32 exec_lo, exec_lo, s21
.LBB14_375:
	s_or_b32 exec_lo, exec_lo, s19
	s_mov_b32 s19, 0
	global_store_byte v[0:1], v5, off
.LBB14_376:
	s_and_b32 vcc_lo, exec_lo, s19
	s_cbranch_vccz .LBB14_386
; %bb.377:
	v_and_b32_e32 v5, 0x7fffffff, v2
	s_mov_b32 s19, exec_lo
                                        ; implicit-def: $vgpr3
	v_cmpx_gt_u32_e32 0x43f00000, v5
	s_xor_b32 s19, exec_lo, s19
	s_cbranch_execz .LBB14_383
; %bb.378:
	s_mov_b32 s20, exec_lo
                                        ; implicit-def: $vgpr3
	v_cmpx_lt_u32_e32 0x3c7fffff, v5
	s_xor_b32 s20, exec_lo, s20
; %bb.379:
	v_bfe_u32 v3, v2, 20, 1
	v_add3_u32 v3, v2, v3, 0x407ffff
	v_and_b32_e32 v5, 0xff00000, v3
	v_lshrrev_b32_e32 v3, 20, v3
	v_cmp_ne_u32_e32 vcc_lo, 0x7f00000, v5
	v_cndmask_b32_e32 v3, 0x7e, v3, vcc_lo
; %bb.380:
	s_andn2_saveexec_b32 s20, s20
; %bb.381:
	v_add_f32_e64 v3, 0x46800000, |v2|
; %bb.382:
	s_or_b32 exec_lo, exec_lo, s20
                                        ; implicit-def: $vgpr5
.LBB14_383:
	s_andn2_saveexec_b32 s19, s19
; %bb.384:
	v_mov_b32_e32 v3, 0x7f
	v_cmp_lt_u32_e32 vcc_lo, 0x7f800000, v5
	v_cndmask_b32_e32 v3, 0x7e, v3, vcc_lo
; %bb.385:
	s_or_b32 exec_lo, exec_lo, s19
	v_lshrrev_b32_e32 v5, 24, v2
	v_and_or_b32 v3, 0x80, v5, v3
	global_store_byte v[0:1], v3, off
.LBB14_386:
	s_mov_b32 s19, 0
.LBB14_387:
	s_andn2_b32 vcc_lo, exec_lo, s19
	s_cbranch_vccnz .LBB14_397
; %bb.388:
	v_and_b32_e32 v5, 0x7fffffff, v2
	s_mov_b32 s19, exec_lo
                                        ; implicit-def: $vgpr3
	v_cmpx_gt_u32_e32 0x47800000, v5
	s_xor_b32 s19, exec_lo, s19
	s_cbranch_execz .LBB14_394
; %bb.389:
	s_mov_b32 s20, exec_lo
                                        ; implicit-def: $vgpr3
	v_cmpx_lt_u32_e32 0x387fffff, v5
	s_xor_b32 s20, exec_lo, s20
; %bb.390:
	v_bfe_u32 v3, v2, 21, 1
	v_add3_u32 v3, v2, v3, 0x80fffff
	v_lshrrev_b32_e32 v3, 21, v3
; %bb.391:
	s_andn2_saveexec_b32 s20, s20
; %bb.392:
	v_add_f32_e64 v3, 0x43000000, |v2|
; %bb.393:
	s_or_b32 exec_lo, exec_lo, s20
                                        ; implicit-def: $vgpr5
.LBB14_394:
	s_andn2_saveexec_b32 s19, s19
; %bb.395:
	v_mov_b32_e32 v3, 0x7f
	v_cmp_lt_u32_e32 vcc_lo, 0x7f800000, v5
	v_cndmask_b32_e32 v3, 0x7c, v3, vcc_lo
; %bb.396:
	s_or_b32 exec_lo, exec_lo, s19
	v_lshrrev_b32_e32 v5, 24, v2
	v_and_or_b32 v3, 0x80, v5, v3
	global_store_byte v[0:1], v3, off
.LBB14_397:
	s_mov_b32 s20, 0
	s_mov_b32 s19, -1
.LBB14_398:
	s_andn2_b32 vcc_lo, exec_lo, s20
	s_cbranch_vccnz .LBB14_406
; %bb.399:
	s_cmp_gt_i32 s17, 14
	s_mov_b32 s20, -1
	s_cbranch_scc0 .LBB14_403
; %bb.400:
	s_cmp_eq_u32 s17, 15
	s_mov_b32 s0, -1
	s_cbranch_scc0 .LBB14_402
; %bb.401:
	v_bfe_u32 v3, v2, 16, 1
	v_cmp_o_f32_e32 vcc_lo, v2, v2
	v_mov_b32_e32 v5, 0x7fc0
	s_mov_b32 s19, -1
	s_mov_b32 s0, 0
	v_add3_u32 v3, v2, v3, 0x7fff
	v_cndmask_b32_sdwa v3, v5, v3, vcc_lo dst_sel:DWORD dst_unused:UNUSED_PAD src0_sel:DWORD src1_sel:WORD_1
	global_store_short v[0:1], v3, off
.LBB14_402:
	s_mov_b32 s20, 0
.LBB14_403:
	s_and_b32 vcc_lo, exec_lo, s20
	s_cbranch_vccz .LBB14_406
; %bb.404:
	s_cmp_eq_u32 s17, 11
	s_mov_b32 s0, -1
	s_cbranch_scc0 .LBB14_406
; %bb.405:
	v_cmp_neq_f32_e32 vcc_lo, 0, v2
	s_mov_b32 s0, 0
	s_mov_b32 s19, -1
	v_cndmask_b32_e64 v3, 0, 1, vcc_lo
	global_store_byte v[0:1], v3, off
.LBB14_406:
.LBB14_407:
	s_andn2_b32 vcc_lo, exec_lo, s19
	s_cbranch_vccnz .LBB14_320
.LBB14_408:
	v_add_nc_u32_e32 v4, 0x80, v4
	s_mov_b32 s1, -1
	s_branch .LBB14_521
.LBB14_409:
	s_mov_b32 s16, -1
                                        ; implicit-def: $vgpr2
.LBB14_410:
	s_mov_b32 s17, 0
.LBB14_411:
	s_and_b32 vcc_lo, exec_lo, s17
	s_cbranch_vccz .LBB14_415
; %bb.412:
	s_cmp_eq_u32 s0, 29
	s_cbranch_scc0 .LBB14_414
; %bb.413:
	global_load_dwordx2 v[2:3], v[0:1], off
	s_mov_b32 s1, -1
	s_mov_b32 s16, 0
	s_mov_b32 s17, 0
	s_waitcnt vmcnt(0)
	v_ffbh_u32_e32 v5, v3
	v_min_u32_e32 v5, 32, v5
	v_lshlrev_b64 v[2:3], v5, v[2:3]
	v_min_u32_e32 v2, 1, v2
	v_or_b32_e32 v2, v3, v2
	v_sub_nc_u32_e32 v3, 32, v5
	v_cvt_f32_u32_e32 v2, v2
	v_ldexp_f32 v2, v2, v3
	s_branch .LBB14_416
.LBB14_414:
	s_mov_b32 s16, -1
                                        ; implicit-def: $vgpr2
.LBB14_415:
	s_mov_b32 s17, 0
.LBB14_416:
	s_and_b32 vcc_lo, exec_lo, s17
	s_cbranch_vccz .LBB14_434
; %bb.417:
	s_cmp_lt_i32 s0, 27
	s_cbranch_scc1 .LBB14_420
; %bb.418:
	s_cmp_gt_i32 s0, 27
	s_cbranch_scc0 .LBB14_421
; %bb.419:
	global_load_dword v2, v[0:1], off
	s_mov_b32 s1, 0
	s_waitcnt vmcnt(0)
	v_cvt_f32_u32_e32 v2, v2
	s_branch .LBB14_422
.LBB14_420:
	s_mov_b32 s1, -1
                                        ; implicit-def: $vgpr2
	s_branch .LBB14_425
.LBB14_421:
	s_mov_b32 s1, -1
                                        ; implicit-def: $vgpr2
.LBB14_422:
	s_andn2_b32 vcc_lo, exec_lo, s1
	s_cbranch_vccnz .LBB14_424
; %bb.423:
	global_load_ushort v2, v[0:1], off
	s_waitcnt vmcnt(0)
	v_cvt_f32_u32_e32 v2, v2
.LBB14_424:
	s_mov_b32 s1, 0
.LBB14_425:
	s_andn2_b32 vcc_lo, exec_lo, s1
	s_cbranch_vccnz .LBB14_433
; %bb.426:
	global_load_ubyte v3, v[0:1], off
	s_mov_b32 s1, 0
	s_mov_b32 s17, exec_lo
	s_waitcnt vmcnt(0)
	v_cmpx_lt_i16_e32 0x7f, v3
	s_xor_b32 s17, exec_lo, s17
	s_cbranch_execz .LBB14_447
; %bb.427:
	s_mov_b32 s1, -1
	s_mov_b32 s19, exec_lo
	v_cmpx_eq_u16_e32 0x80, v3
; %bb.428:
	s_xor_b32 s1, exec_lo, -1
; %bb.429:
	s_or_b32 exec_lo, exec_lo, s19
	s_and_b32 s1, s1, exec_lo
	s_or_saveexec_b32 s17, s17
	v_mov_b32_e32 v2, 0x7f800001
	s_xor_b32 exec_lo, exec_lo, s17
	s_cbranch_execnz .LBB14_448
.LBB14_430:
	s_or_b32 exec_lo, exec_lo, s17
	s_and_saveexec_b32 s17, s1
	s_cbranch_execz .LBB14_432
.LBB14_431:
	v_and_b32_e32 v2, 0xffff, v3
	v_lshlrev_b32_e32 v3, 24, v3
	v_and_b32_e32 v5, 7, v2
	v_bfe_u32 v8, v2, 3, 4
	v_and_b32_e32 v3, 0x80000000, v3
	v_ffbh_u32_e32 v6, v5
	v_cmp_eq_u32_e32 vcc_lo, 0, v8
	v_min_u32_e32 v6, 32, v6
	v_subrev_nc_u32_e32 v7, 28, v6
	v_sub_nc_u32_e32 v6, 29, v6
	v_lshlrev_b32_e32 v2, v7, v2
	v_cndmask_b32_e32 v6, v8, v6, vcc_lo
	v_and_b32_e32 v2, 7, v2
	v_cndmask_b32_e32 v2, v5, v2, vcc_lo
	v_lshl_add_u32 v5, v6, 23, 0x3b800000
	v_lshlrev_b32_e32 v2, 20, v2
	v_or3_b32 v2, v3, v5, v2
.LBB14_432:
	s_or_b32 exec_lo, exec_lo, s17
.LBB14_433:
	s_mov_b32 s1, -1
.LBB14_434:
	s_mov_b32 s17, 0
.LBB14_435:
	s_and_b32 vcc_lo, exec_lo, s17
	s_cbranch_vccz .LBB14_470
; %bb.436:
	s_cmp_gt_i32 s0, 22
	s_cbranch_scc0 .LBB14_446
; %bb.437:
	s_cmp_lt_i32 s0, 24
	s_cbranch_scc1 .LBB14_449
; %bb.438:
	s_cmp_gt_i32 s0, 24
	s_cbranch_scc0 .LBB14_450
; %bb.439:
	global_load_ubyte v3, v[0:1], off
	s_mov_b32 s1, 0
	s_mov_b32 s17, exec_lo
	s_waitcnt vmcnt(0)
	v_cmpx_lt_i16_e32 0x7f, v3
	s_xor_b32 s17, exec_lo, s17
	s_cbranch_execz .LBB14_462
; %bb.440:
	s_mov_b32 s1, -1
	s_mov_b32 s19, exec_lo
	v_cmpx_eq_u16_e32 0x80, v3
; %bb.441:
	s_xor_b32 s1, exec_lo, -1
; %bb.442:
	s_or_b32 exec_lo, exec_lo, s19
	s_and_b32 s1, s1, exec_lo
	s_or_saveexec_b32 s17, s17
	v_mov_b32_e32 v2, 0x7f800001
	s_xor_b32 exec_lo, exec_lo, s17
	s_cbranch_execnz .LBB14_463
.LBB14_443:
	s_or_b32 exec_lo, exec_lo, s17
	s_and_saveexec_b32 s17, s1
	s_cbranch_execz .LBB14_445
.LBB14_444:
	v_and_b32_e32 v2, 0xffff, v3
	v_lshlrev_b32_e32 v3, 24, v3
	v_and_b32_e32 v5, 3, v2
	v_bfe_u32 v8, v2, 2, 5
	v_and_b32_e32 v3, 0x80000000, v3
	v_ffbh_u32_e32 v6, v5
	v_cmp_eq_u32_e32 vcc_lo, 0, v8
	v_min_u32_e32 v6, 32, v6
	v_subrev_nc_u32_e32 v7, 29, v6
	v_sub_nc_u32_e32 v6, 30, v6
	v_lshlrev_b32_e32 v2, v7, v2
	v_cndmask_b32_e32 v6, v8, v6, vcc_lo
	v_and_b32_e32 v2, 3, v2
	v_cndmask_b32_e32 v2, v5, v2, vcc_lo
	v_lshl_add_u32 v5, v6, 23, 0x37800000
	v_lshlrev_b32_e32 v2, 21, v2
	v_or3_b32 v2, v3, v5, v2
.LBB14_445:
	s_or_b32 exec_lo, exec_lo, s17
	s_mov_b32 s1, 0
	s_branch .LBB14_451
.LBB14_446:
	s_mov_b32 s17, -1
                                        ; implicit-def: $vgpr2
	s_branch .LBB14_457
.LBB14_447:
	s_or_saveexec_b32 s17, s17
	v_mov_b32_e32 v2, 0x7f800001
	s_xor_b32 exec_lo, exec_lo, s17
	s_cbranch_execz .LBB14_430
.LBB14_448:
	v_cmp_ne_u16_e32 vcc_lo, 0, v3
	v_mov_b32_e32 v2, 0
	s_andn2_b32 s1, s1, exec_lo
	s_and_b32 s19, vcc_lo, exec_lo
	s_or_b32 s1, s1, s19
	s_or_b32 exec_lo, exec_lo, s17
	s_and_saveexec_b32 s17, s1
	s_cbranch_execnz .LBB14_431
	s_branch .LBB14_432
.LBB14_449:
	s_mov_b32 s1, -1
                                        ; implicit-def: $vgpr2
	s_branch .LBB14_454
.LBB14_450:
	s_mov_b32 s1, -1
                                        ; implicit-def: $vgpr2
.LBB14_451:
	s_and_b32 vcc_lo, exec_lo, s1
	s_cbranch_vccz .LBB14_453
; %bb.452:
	global_load_ubyte v2, v[0:1], off
	s_waitcnt vmcnt(0)
	v_lshlrev_b32_e32 v2, 24, v2
	v_and_b32_e32 v3, 0x7f000000, v2
	v_ffbh_u32_e32 v5, v3
	v_add_nc_u32_e32 v7, 0x1000000, v3
	v_cmp_ne_u32_e32 vcc_lo, 0, v3
	v_min_u32_e32 v5, 32, v5
	v_sub_nc_u32_e64 v5, v5, 4 clamp
	v_lshlrev_b32_e32 v6, v5, v3
	v_lshlrev_b32_e32 v5, 23, v5
	v_lshrrev_b32_e32 v6, 4, v6
	v_sub_nc_u32_e32 v5, v6, v5
	v_ashrrev_i32_e32 v6, 8, v7
	v_add_nc_u32_e32 v5, 0x3c000000, v5
	v_and_or_b32 v5, 0x7f800000, v6, v5
	v_cndmask_b32_e32 v3, 0, v5, vcc_lo
	v_and_or_b32 v2, 0x80000000, v2, v3
.LBB14_453:
	s_mov_b32 s1, 0
.LBB14_454:
	s_andn2_b32 vcc_lo, exec_lo, s1
	s_cbranch_vccnz .LBB14_456
; %bb.455:
	global_load_ubyte v2, v[0:1], off
	s_waitcnt vmcnt(0)
	v_lshlrev_b32_e32 v3, 25, v2
	v_lshlrev_b16 v2, 8, v2
	v_lshrrev_b32_e32 v5, 4, v3
	v_and_or_b32 v6, 0x7f00, v2, 0.5
	v_cmp_gt_u32_e32 vcc_lo, 0x8000000, v3
	v_bfe_i32 v2, v2, 0, 16
	v_or_b32_e32 v5, 0x70000000, v5
	v_add_f32_e32 v6, -0.5, v6
	v_mul_f32_e32 v5, 0x7800000, v5
	v_cndmask_b32_e32 v3, v5, v6, vcc_lo
	v_and_or_b32 v2, 0x80000000, v2, v3
.LBB14_456:
	s_mov_b32 s17, 0
	s_mov_b32 s1, -1
.LBB14_457:
	s_andn2_b32 vcc_lo, exec_lo, s17
	s_cbranch_vccnz .LBB14_470
; %bb.458:
	s_cmp_gt_i32 s0, 14
	s_cbranch_scc0 .LBB14_461
; %bb.459:
	s_cmp_eq_u32 s0, 15
	s_cbranch_scc0 .LBB14_464
; %bb.460:
	global_load_ushort v2, v[0:1], off
	s_mov_b32 s1, -1
	s_mov_b32 s16, 0
	s_waitcnt vmcnt(0)
	v_lshlrev_b32_e32 v2, 16, v2
	s_branch .LBB14_465
.LBB14_461:
	s_mov_b32 s17, -1
                                        ; implicit-def: $vgpr2
	s_branch .LBB14_466
.LBB14_462:
	s_or_saveexec_b32 s17, s17
	v_mov_b32_e32 v2, 0x7f800001
	s_xor_b32 exec_lo, exec_lo, s17
	s_cbranch_execz .LBB14_443
.LBB14_463:
	v_cmp_ne_u16_e32 vcc_lo, 0, v3
	v_mov_b32_e32 v2, 0
	s_andn2_b32 s1, s1, exec_lo
	s_and_b32 s19, vcc_lo, exec_lo
	s_or_b32 s1, s1, s19
	s_or_b32 exec_lo, exec_lo, s17
	s_and_saveexec_b32 s17, s1
	s_cbranch_execnz .LBB14_444
	s_branch .LBB14_445
.LBB14_464:
	s_mov_b32 s16, -1
                                        ; implicit-def: $vgpr2
.LBB14_465:
	s_mov_b32 s17, 0
.LBB14_466:
	s_and_b32 vcc_lo, exec_lo, s17
	s_cbranch_vccz .LBB14_470
; %bb.467:
	s_cmp_eq_u32 s0, 11
	s_cbranch_scc0 .LBB14_469
; %bb.468:
	global_load_ubyte v2, v[0:1], off
	s_mov_b32 s16, 0
	s_mov_b32 s1, -1
	s_waitcnt vmcnt(0)
	v_cmp_ne_u16_e32 vcc_lo, 0, v2
	v_cndmask_b32_e64 v2, 0, 1.0, vcc_lo
	s_branch .LBB14_470
.LBB14_469:
	s_mov_b32 s16, -1
                                        ; implicit-def: $vgpr2
.LBB14_470:
	s_branch .LBB14_269
.LBB14_471:
	s_cmp_lt_i32 s0, 5
	s_cbranch_scc1 .LBB14_476
; %bb.472:
	s_cmp_lt_i32 s0, 8
	s_cbranch_scc1 .LBB14_477
; %bb.473:
	s_cmp_lt_i32 s0, 9
	s_cbranch_scc1 .LBB14_478
; %bb.474:
	s_cmp_gt_i32 s0, 9
	s_cbranch_scc0 .LBB14_479
; %bb.475:
	global_load_dwordx2 v[2:3], v[0:1], off
	s_mov_b32 s1, 0
	s_waitcnt vmcnt(0)
	v_cvt_f32_f64_e32 v2, v[2:3]
	s_branch .LBB14_480
.LBB14_476:
	s_mov_b32 s1, -1
                                        ; implicit-def: $vgpr2
	s_branch .LBB14_498
.LBB14_477:
	s_mov_b32 s1, -1
                                        ; implicit-def: $vgpr2
	s_branch .LBB14_486
.LBB14_478:
	s_mov_b32 s1, -1
                                        ; implicit-def: $vgpr2
	s_branch .LBB14_483
.LBB14_479:
	s_mov_b32 s1, -1
                                        ; implicit-def: $vgpr2
.LBB14_480:
	s_andn2_b32 vcc_lo, exec_lo, s1
	s_cbranch_vccnz .LBB14_482
; %bb.481:
	global_load_dword v2, v[0:1], off
.LBB14_482:
	s_mov_b32 s1, 0
.LBB14_483:
	s_andn2_b32 vcc_lo, exec_lo, s1
	s_cbranch_vccnz .LBB14_485
; %bb.484:
	global_load_dword v2, v[0:1], off
	s_waitcnt vmcnt(0)
	v_cvt_f32_f16_e32 v2, v2
.LBB14_485:
	s_mov_b32 s1, 0
.LBB14_486:
	s_andn2_b32 vcc_lo, exec_lo, s1
	s_cbranch_vccnz .LBB14_497
; %bb.487:
	s_cmp_lt_i32 s0, 6
	s_cbranch_scc1 .LBB14_490
; %bb.488:
	s_cmp_gt_i32 s0, 6
	s_cbranch_scc0 .LBB14_491
; %bb.489:
	global_load_dwordx2 v[2:3], v[0:1], off
	s_mov_b32 s1, 0
	s_waitcnt vmcnt(0)
	v_cvt_f32_f64_e32 v2, v[2:3]
	s_branch .LBB14_492
.LBB14_490:
	s_mov_b32 s1, -1
                                        ; implicit-def: $vgpr2
	s_branch .LBB14_495
.LBB14_491:
	s_mov_b32 s1, -1
                                        ; implicit-def: $vgpr2
.LBB14_492:
	s_andn2_b32 vcc_lo, exec_lo, s1
	s_cbranch_vccnz .LBB14_494
; %bb.493:
	global_load_dword v2, v[0:1], off
.LBB14_494:
	s_mov_b32 s1, 0
.LBB14_495:
	s_andn2_b32 vcc_lo, exec_lo, s1
	s_cbranch_vccnz .LBB14_497
; %bb.496:
	global_load_ushort v2, v[0:1], off
	s_waitcnt vmcnt(0)
	v_cvt_f32_f16_e32 v2, v2
.LBB14_497:
	s_mov_b32 s1, 0
.LBB14_498:
	s_andn2_b32 vcc_lo, exec_lo, s1
	s_cbranch_vccnz .LBB14_518
; %bb.499:
	s_cmp_lt_i32 s0, 2
	s_cbranch_scc1 .LBB14_503
; %bb.500:
	s_cmp_lt_i32 s0, 3
	s_cbranch_scc1 .LBB14_504
; %bb.501:
	s_cmp_gt_i32 s0, 3
	s_cbranch_scc0 .LBB14_505
; %bb.502:
	global_load_dwordx2 v[2:3], v[0:1], off
	s_mov_b32 s1, 0
	s_waitcnt vmcnt(0)
	v_xor_b32_e32 v5, v2, v3
	v_ffbh_i32_e32 v6, v3
	v_ashrrev_i32_e32 v5, 31, v5
	v_add_nc_u32_e32 v6, -1, v6
	v_add_nc_u32_e32 v5, 32, v5
	v_min_u32_e32 v5, v6, v5
	v_lshlrev_b64 v[2:3], v5, v[2:3]
	v_min_u32_e32 v2, 1, v2
	v_or_b32_e32 v2, v3, v2
	v_sub_nc_u32_e32 v3, 32, v5
	v_cvt_f32_i32_e32 v2, v2
	v_ldexp_f32 v2, v2, v3
	s_branch .LBB14_506
.LBB14_503:
	s_mov_b32 s1, -1
                                        ; implicit-def: $vgpr2
	s_branch .LBB14_512
.LBB14_504:
	s_mov_b32 s1, -1
                                        ; implicit-def: $vgpr2
	s_branch .LBB14_509
.LBB14_505:
	s_mov_b32 s1, -1
                                        ; implicit-def: $vgpr2
.LBB14_506:
	s_andn2_b32 vcc_lo, exec_lo, s1
	s_cbranch_vccnz .LBB14_508
; %bb.507:
	global_load_dword v2, v[0:1], off
	s_waitcnt vmcnt(0)
	v_cvt_f32_i32_e32 v2, v2
.LBB14_508:
	s_mov_b32 s1, 0
.LBB14_509:
	s_andn2_b32 vcc_lo, exec_lo, s1
	s_cbranch_vccnz .LBB14_511
; %bb.510:
	global_load_sshort v2, v[0:1], off
	s_waitcnt vmcnt(0)
	v_cvt_f32_i32_e32 v2, v2
.LBB14_511:
	s_mov_b32 s1, 0
.LBB14_512:
	s_andn2_b32 vcc_lo, exec_lo, s1
	s_cbranch_vccnz .LBB14_518
; %bb.513:
	s_cmp_gt_i32 s0, 0
	s_mov_b32 s0, 0
	s_cbranch_scc0 .LBB14_515
; %bb.514:
	global_load_sbyte v2, v[0:1], off
	s_waitcnt vmcnt(0)
	v_cvt_f32_i32_e32 v2, v2
	s_branch .LBB14_516
.LBB14_515:
	s_mov_b32 s0, -1
                                        ; implicit-def: $vgpr2
.LBB14_516:
	s_andn2_b32 vcc_lo, exec_lo, s0
	s_cbranch_vccnz .LBB14_518
; %bb.517:
	global_load_ubyte v0, v[0:1], off
	s_waitcnt vmcnt(0)
	v_cvt_f32_ubyte0_e32 v2, v0
.LBB14_518:
	s_branch .LBB14_270
.LBB14_519:
	s_mov_b32 s1, 0
	s_mov_b32 s0, s12
.LBB14_520:
                                        ; implicit-def: $vgpr4
.LBB14_521:
	s_andn2_b32 s17, s12, exec_lo
	s_and_b32 s0, s0, exec_lo
	s_andn2_b32 s19, s14, exec_lo
	s_and_b32 s16, s16, exec_lo
	s_or_b32 s17, s17, s0
	s_or_b32 s16, s19, s16
	s_orn2_b32 s0, s1, exec_lo
.LBB14_522:
	s_or_b32 exec_lo, exec_lo, s18
	s_mov_b32 s1, 0
	s_mov_b32 s19, 0
	;; [unrolled: 1-line block ×3, first 2 shown]
                                        ; implicit-def: $vgpr0_vgpr1
                                        ; implicit-def: $vgpr3
	s_and_saveexec_b32 s18, s0
	s_cbranch_execz .LBB14_872
; %bb.523:
	s_mov_b32 s20, -1
	s_mov_b32 s0, s16
	s_mov_b32 s1, s17
	s_mov_b32 s19, exec_lo
	v_cmpx_gt_i32_e64 s13, v4
	s_cbranch_execz .LBB14_786
; %bb.524:
	v_mul_lo_u32 v0, v4, s3
	s_and_b32 s0, 0xffff, s6
	s_cmp_lt_i32 s0, 11
	v_ashrrev_i32_e32 v1, 31, v0
	v_add_co_u32 v0, vcc_lo, s10, v0
	v_add_co_ci_u32_e64 v1, null, s11, v1, vcc_lo
	s_cbranch_scc1 .LBB14_531
; %bb.525:
	s_cmp_gt_i32 s0, 25
	s_cbranch_scc0 .LBB14_532
; %bb.526:
	s_cmp_gt_i32 s0, 28
	s_cbranch_scc0 .LBB14_533
	;; [unrolled: 3-line block ×4, first 2 shown]
; %bb.529:
	s_cmp_eq_u32 s0, 46
	s_mov_b32 s21, 0
	s_cbranch_scc0 .LBB14_540
; %bb.530:
	global_load_dword v2, v[0:1], off
	s_mov_b32 s1, -1
	s_mov_b32 s20, 0
	s_waitcnt vmcnt(0)
	v_lshlrev_b32_e32 v2, 16, v2
	s_branch .LBB14_542
.LBB14_531:
	s_mov_b32 s21, -1
	s_mov_b32 s1, 0
	s_mov_b32 s20, s16
                                        ; implicit-def: $vgpr2
	s_branch .LBB14_607
.LBB14_532:
	s_mov_b32 s21, -1
	s_mov_b32 s1, 0
	s_mov_b32 s20, s16
                                        ; implicit-def: $vgpr2
	s_branch .LBB14_571
.LBB14_533:
	s_mov_b32 s21, -1
	s_mov_b32 s1, 0
	s_mov_b32 s20, s16
                                        ; implicit-def: $vgpr2
	s_branch .LBB14_552
.LBB14_534:
	s_mov_b32 s21, -1
	s_mov_b32 s1, 0
	s_mov_b32 s20, s16
                                        ; implicit-def: $vgpr2
	s_branch .LBB14_547
.LBB14_535:
	s_andn2_saveexec_b32 s21, s21
	s_cbranch_execz .LBB14_359
.LBB14_536:
	v_add_f32_e64 v3, 0x46000000, |v2|
	s_andn2_b32 s20, s20, exec_lo
	v_and_b32_e32 v3, 0xff, v3
	v_cmp_ne_u32_e32 vcc_lo, 0, v3
	s_and_b32 s22, vcc_lo, exec_lo
	s_or_b32 s20, s20, s22
	s_or_b32 exec_lo, exec_lo, s21
	v_mov_b32_e32 v5, 0
	s_and_saveexec_b32 s21, s20
	s_cbranch_execnz .LBB14_360
	s_branch .LBB14_361
.LBB14_537:
	s_mov_b32 s21, -1
	s_mov_b32 s1, 0
	s_mov_b32 s20, s16
	s_branch .LBB14_541
.LBB14_538:
	s_andn2_saveexec_b32 s21, s21
	s_cbranch_execz .LBB14_372
.LBB14_539:
	v_add_f32_e64 v3, 0x42800000, |v2|
	s_andn2_b32 s20, s20, exec_lo
	v_and_b32_e32 v3, 0xff, v3
	v_cmp_ne_u32_e32 vcc_lo, 0, v3
	s_and_b32 s22, vcc_lo, exec_lo
	s_or_b32 s20, s20, s22
	s_or_b32 exec_lo, exec_lo, s21
	v_mov_b32_e32 v5, 0
	s_and_saveexec_b32 s21, s20
	s_cbranch_execnz .LBB14_373
	s_branch .LBB14_374
.LBB14_540:
	s_mov_b32 s1, 0
.LBB14_541:
                                        ; implicit-def: $vgpr2
.LBB14_542:
	s_and_b32 vcc_lo, exec_lo, s21
	s_cbranch_vccz .LBB14_546
; %bb.543:
	s_cmp_eq_u32 s0, 44
	s_cbranch_scc0 .LBB14_545
; %bb.544:
	global_load_ubyte v2, v[0:1], off
	s_mov_b32 s20, 0
	s_mov_b32 s1, -1
	s_waitcnt vmcnt(0)
	v_lshlrev_b32_e32 v3, 23, v2
	v_cmp_ne_u32_e32 vcc_lo, 0xff, v2
	v_cndmask_b32_e32 v3, 0x7f800001, v3, vcc_lo
	v_cmp_ne_u32_e32 vcc_lo, 0, v2
	v_cndmask_b32_e32 v2, 0x400000, v3, vcc_lo
	s_branch .LBB14_546
.LBB14_545:
	s_mov_b32 s20, -1
                                        ; implicit-def: $vgpr2
.LBB14_546:
	s_mov_b32 s21, 0
.LBB14_547:
	s_and_b32 vcc_lo, exec_lo, s21
	s_cbranch_vccz .LBB14_551
; %bb.548:
	s_cmp_eq_u32 s0, 29
	s_cbranch_scc0 .LBB14_550
; %bb.549:
	global_load_dwordx2 v[2:3], v[0:1], off
	s_mov_b32 s1, -1
	s_mov_b32 s20, 0
	s_mov_b32 s21, 0
	s_waitcnt vmcnt(0)
	v_ffbh_u32_e32 v5, v3
	v_min_u32_e32 v5, 32, v5
	v_lshlrev_b64 v[2:3], v5, v[2:3]
	v_min_u32_e32 v2, 1, v2
	v_or_b32_e32 v2, v3, v2
	v_sub_nc_u32_e32 v3, 32, v5
	v_cvt_f32_u32_e32 v2, v2
	v_ldexp_f32 v2, v2, v3
	s_branch .LBB14_552
.LBB14_550:
	s_mov_b32 s20, -1
                                        ; implicit-def: $vgpr2
.LBB14_551:
	s_mov_b32 s21, 0
.LBB14_552:
	s_and_b32 vcc_lo, exec_lo, s21
	s_cbranch_vccz .LBB14_570
; %bb.553:
	s_cmp_lt_i32 s0, 27
	s_cbranch_scc1 .LBB14_556
; %bb.554:
	s_cmp_gt_i32 s0, 27
	s_cbranch_scc0 .LBB14_557
; %bb.555:
	global_load_dword v2, v[0:1], off
	s_mov_b32 s1, 0
	s_waitcnt vmcnt(0)
	v_cvt_f32_u32_e32 v2, v2
	s_branch .LBB14_558
.LBB14_556:
	s_mov_b32 s1, -1
                                        ; implicit-def: $vgpr2
	s_branch .LBB14_561
.LBB14_557:
	s_mov_b32 s1, -1
                                        ; implicit-def: $vgpr2
.LBB14_558:
	s_andn2_b32 vcc_lo, exec_lo, s1
	s_cbranch_vccnz .LBB14_560
; %bb.559:
	global_load_ushort v2, v[0:1], off
	s_waitcnt vmcnt(0)
	v_cvt_f32_u32_e32 v2, v2
.LBB14_560:
	s_mov_b32 s1, 0
.LBB14_561:
	s_andn2_b32 vcc_lo, exec_lo, s1
	s_cbranch_vccnz .LBB14_569
; %bb.562:
	global_load_ubyte v3, v[0:1], off
	s_mov_b32 s1, 0
	s_mov_b32 s21, exec_lo
	s_waitcnt vmcnt(0)
	v_cmpx_lt_i16_e32 0x7f, v3
	s_xor_b32 s21, exec_lo, s21
	s_cbranch_execz .LBB14_583
; %bb.563:
	s_mov_b32 s1, -1
	s_mov_b32 s22, exec_lo
	v_cmpx_eq_u16_e32 0x80, v3
; %bb.564:
	s_xor_b32 s1, exec_lo, -1
; %bb.565:
	s_or_b32 exec_lo, exec_lo, s22
	s_and_b32 s1, s1, exec_lo
	s_or_saveexec_b32 s21, s21
	v_mov_b32_e32 v2, 0x7f800001
	s_xor_b32 exec_lo, exec_lo, s21
	s_cbranch_execnz .LBB14_584
.LBB14_566:
	s_or_b32 exec_lo, exec_lo, s21
	s_and_saveexec_b32 s21, s1
	s_cbranch_execz .LBB14_568
.LBB14_567:
	v_and_b32_e32 v2, 0xffff, v3
	v_lshlrev_b32_e32 v3, 24, v3
	v_and_b32_e32 v5, 7, v2
	v_bfe_u32 v8, v2, 3, 4
	v_and_b32_e32 v3, 0x80000000, v3
	v_ffbh_u32_e32 v6, v5
	v_cmp_eq_u32_e32 vcc_lo, 0, v8
	v_min_u32_e32 v6, 32, v6
	v_subrev_nc_u32_e32 v7, 28, v6
	v_sub_nc_u32_e32 v6, 29, v6
	v_lshlrev_b32_e32 v2, v7, v2
	v_cndmask_b32_e32 v6, v8, v6, vcc_lo
	v_and_b32_e32 v2, 7, v2
	v_cndmask_b32_e32 v2, v5, v2, vcc_lo
	v_lshl_add_u32 v5, v6, 23, 0x3b800000
	v_lshlrev_b32_e32 v2, 20, v2
	v_or3_b32 v2, v3, v5, v2
.LBB14_568:
	s_or_b32 exec_lo, exec_lo, s21
.LBB14_569:
	s_mov_b32 s1, -1
.LBB14_570:
	s_mov_b32 s21, 0
.LBB14_571:
	s_and_b32 vcc_lo, exec_lo, s21
	s_cbranch_vccz .LBB14_606
; %bb.572:
	s_cmp_gt_i32 s0, 22
	s_cbranch_scc0 .LBB14_582
; %bb.573:
	s_cmp_lt_i32 s0, 24
	s_cbranch_scc1 .LBB14_585
; %bb.574:
	s_cmp_gt_i32 s0, 24
	s_cbranch_scc0 .LBB14_586
; %bb.575:
	global_load_ubyte v3, v[0:1], off
	s_mov_b32 s1, 0
	s_mov_b32 s21, exec_lo
	s_waitcnt vmcnt(0)
	v_cmpx_lt_i16_e32 0x7f, v3
	s_xor_b32 s21, exec_lo, s21
	s_cbranch_execz .LBB14_598
; %bb.576:
	s_mov_b32 s1, -1
	s_mov_b32 s22, exec_lo
	v_cmpx_eq_u16_e32 0x80, v3
; %bb.577:
	s_xor_b32 s1, exec_lo, -1
; %bb.578:
	s_or_b32 exec_lo, exec_lo, s22
	s_and_b32 s1, s1, exec_lo
	s_or_saveexec_b32 s21, s21
	v_mov_b32_e32 v2, 0x7f800001
	s_xor_b32 exec_lo, exec_lo, s21
	s_cbranch_execnz .LBB14_599
.LBB14_579:
	s_or_b32 exec_lo, exec_lo, s21
	s_and_saveexec_b32 s21, s1
	s_cbranch_execz .LBB14_581
.LBB14_580:
	v_and_b32_e32 v2, 0xffff, v3
	v_lshlrev_b32_e32 v3, 24, v3
	v_and_b32_e32 v5, 3, v2
	v_bfe_u32 v8, v2, 2, 5
	v_and_b32_e32 v3, 0x80000000, v3
	v_ffbh_u32_e32 v6, v5
	v_cmp_eq_u32_e32 vcc_lo, 0, v8
	v_min_u32_e32 v6, 32, v6
	v_subrev_nc_u32_e32 v7, 29, v6
	v_sub_nc_u32_e32 v6, 30, v6
	v_lshlrev_b32_e32 v2, v7, v2
	v_cndmask_b32_e32 v6, v8, v6, vcc_lo
	v_and_b32_e32 v2, 3, v2
	v_cndmask_b32_e32 v2, v5, v2, vcc_lo
	v_lshl_add_u32 v5, v6, 23, 0x37800000
	v_lshlrev_b32_e32 v2, 21, v2
	v_or3_b32 v2, v3, v5, v2
.LBB14_581:
	s_or_b32 exec_lo, exec_lo, s21
	s_mov_b32 s1, 0
	s_branch .LBB14_587
.LBB14_582:
	s_mov_b32 s21, -1
                                        ; implicit-def: $vgpr2
	s_branch .LBB14_593
.LBB14_583:
	s_or_saveexec_b32 s21, s21
	v_mov_b32_e32 v2, 0x7f800001
	s_xor_b32 exec_lo, exec_lo, s21
	s_cbranch_execz .LBB14_566
.LBB14_584:
	v_cmp_ne_u16_e32 vcc_lo, 0, v3
	v_mov_b32_e32 v2, 0
	s_andn2_b32 s1, s1, exec_lo
	s_and_b32 s22, vcc_lo, exec_lo
	s_or_b32 s1, s1, s22
	s_or_b32 exec_lo, exec_lo, s21
	s_and_saveexec_b32 s21, s1
	s_cbranch_execnz .LBB14_567
	s_branch .LBB14_568
.LBB14_585:
	s_mov_b32 s1, -1
                                        ; implicit-def: $vgpr2
	s_branch .LBB14_590
.LBB14_586:
	s_mov_b32 s1, -1
                                        ; implicit-def: $vgpr2
.LBB14_587:
	s_and_b32 vcc_lo, exec_lo, s1
	s_cbranch_vccz .LBB14_589
; %bb.588:
	global_load_ubyte v2, v[0:1], off
	s_waitcnt vmcnt(0)
	v_lshlrev_b32_e32 v2, 24, v2
	v_and_b32_e32 v3, 0x7f000000, v2
	v_ffbh_u32_e32 v5, v3
	v_add_nc_u32_e32 v7, 0x1000000, v3
	v_cmp_ne_u32_e32 vcc_lo, 0, v3
	v_min_u32_e32 v5, 32, v5
	v_sub_nc_u32_e64 v5, v5, 4 clamp
	v_lshlrev_b32_e32 v6, v5, v3
	v_lshlrev_b32_e32 v5, 23, v5
	v_lshrrev_b32_e32 v6, 4, v6
	v_sub_nc_u32_e32 v5, v6, v5
	v_ashrrev_i32_e32 v6, 8, v7
	v_add_nc_u32_e32 v5, 0x3c000000, v5
	v_and_or_b32 v5, 0x7f800000, v6, v5
	v_cndmask_b32_e32 v3, 0, v5, vcc_lo
	v_and_or_b32 v2, 0x80000000, v2, v3
.LBB14_589:
	s_mov_b32 s1, 0
.LBB14_590:
	s_andn2_b32 vcc_lo, exec_lo, s1
	s_cbranch_vccnz .LBB14_592
; %bb.591:
	global_load_ubyte v2, v[0:1], off
	s_waitcnt vmcnt(0)
	v_lshlrev_b32_e32 v3, 25, v2
	v_lshlrev_b16 v2, 8, v2
	v_lshrrev_b32_e32 v5, 4, v3
	v_and_or_b32 v6, 0x7f00, v2, 0.5
	v_cmp_gt_u32_e32 vcc_lo, 0x8000000, v3
	v_bfe_i32 v2, v2, 0, 16
	v_or_b32_e32 v5, 0x70000000, v5
	v_add_f32_e32 v6, -0.5, v6
	v_mul_f32_e32 v5, 0x7800000, v5
	v_cndmask_b32_e32 v3, v5, v6, vcc_lo
	v_and_or_b32 v2, 0x80000000, v2, v3
.LBB14_592:
	s_mov_b32 s21, 0
	s_mov_b32 s1, -1
.LBB14_593:
	s_andn2_b32 vcc_lo, exec_lo, s21
	s_cbranch_vccnz .LBB14_606
; %bb.594:
	s_cmp_gt_i32 s0, 14
	s_cbranch_scc0 .LBB14_597
; %bb.595:
	s_cmp_eq_u32 s0, 15
	s_cbranch_scc0 .LBB14_600
; %bb.596:
	global_load_ushort v2, v[0:1], off
	s_mov_b32 s1, -1
	s_mov_b32 s20, 0
	s_waitcnt vmcnt(0)
	v_lshlrev_b32_e32 v2, 16, v2
	s_branch .LBB14_601
.LBB14_597:
	s_mov_b32 s21, -1
                                        ; implicit-def: $vgpr2
	s_branch .LBB14_602
.LBB14_598:
	s_or_saveexec_b32 s21, s21
	v_mov_b32_e32 v2, 0x7f800001
	s_xor_b32 exec_lo, exec_lo, s21
	s_cbranch_execz .LBB14_579
.LBB14_599:
	v_cmp_ne_u16_e32 vcc_lo, 0, v3
	v_mov_b32_e32 v2, 0
	s_andn2_b32 s1, s1, exec_lo
	s_and_b32 s22, vcc_lo, exec_lo
	s_or_b32 s1, s1, s22
	s_or_b32 exec_lo, exec_lo, s21
	s_and_saveexec_b32 s21, s1
	s_cbranch_execnz .LBB14_580
	s_branch .LBB14_581
.LBB14_600:
	s_mov_b32 s20, -1
                                        ; implicit-def: $vgpr2
.LBB14_601:
	s_mov_b32 s21, 0
.LBB14_602:
	s_and_b32 vcc_lo, exec_lo, s21
	s_cbranch_vccz .LBB14_606
; %bb.603:
	s_cmp_eq_u32 s0, 11
	s_cbranch_scc0 .LBB14_605
; %bb.604:
	global_load_ubyte v2, v[0:1], off
	s_mov_b32 s20, 0
	s_mov_b32 s1, -1
	s_waitcnt vmcnt(0)
	v_cmp_ne_u16_e32 vcc_lo, 0, v2
	v_cndmask_b32_e64 v2, 0, 1.0, vcc_lo
	s_branch .LBB14_606
.LBB14_605:
	s_mov_b32 s20, -1
                                        ; implicit-def: $vgpr2
.LBB14_606:
	s_mov_b32 s21, 0
.LBB14_607:
	s_and_b32 vcc_lo, exec_lo, s21
	s_cbranch_vccz .LBB14_656
; %bb.608:
	s_cmp_lt_i32 s0, 5
	s_cbranch_scc1 .LBB14_613
; %bb.609:
	s_cmp_lt_i32 s0, 8
	s_cbranch_scc1 .LBB14_614
	;; [unrolled: 3-line block ×3, first 2 shown]
; %bb.611:
	s_cmp_gt_i32 s0, 9
	s_cbranch_scc0 .LBB14_616
; %bb.612:
	global_load_dwordx2 v[2:3], v[0:1], off
	s_mov_b32 s1, 0
	s_waitcnt vmcnt(0)
	v_cvt_f32_f64_e32 v2, v[2:3]
	s_branch .LBB14_617
.LBB14_613:
	s_mov_b32 s1, -1
                                        ; implicit-def: $vgpr2
	s_branch .LBB14_635
.LBB14_614:
	s_mov_b32 s1, -1
                                        ; implicit-def: $vgpr2
	s_branch .LBB14_623
.LBB14_615:
	s_mov_b32 s1, -1
                                        ; implicit-def: $vgpr2
	s_branch .LBB14_620
.LBB14_616:
	s_mov_b32 s1, -1
                                        ; implicit-def: $vgpr2
.LBB14_617:
	s_andn2_b32 vcc_lo, exec_lo, s1
	s_cbranch_vccnz .LBB14_619
; %bb.618:
	global_load_dword v2, v[0:1], off
.LBB14_619:
	s_mov_b32 s1, 0
.LBB14_620:
	s_andn2_b32 vcc_lo, exec_lo, s1
	s_cbranch_vccnz .LBB14_622
; %bb.621:
	global_load_dword v2, v[0:1], off
	s_waitcnt vmcnt(0)
	v_cvt_f32_f16_e32 v2, v2
.LBB14_622:
	s_mov_b32 s1, 0
.LBB14_623:
	s_andn2_b32 vcc_lo, exec_lo, s1
	s_cbranch_vccnz .LBB14_634
; %bb.624:
	s_cmp_lt_i32 s0, 6
	s_cbranch_scc1 .LBB14_627
; %bb.625:
	s_cmp_gt_i32 s0, 6
	s_cbranch_scc0 .LBB14_628
; %bb.626:
	global_load_dwordx2 v[2:3], v[0:1], off
	s_mov_b32 s1, 0
	s_waitcnt vmcnt(0)
	v_cvt_f32_f64_e32 v2, v[2:3]
	s_branch .LBB14_629
.LBB14_627:
	s_mov_b32 s1, -1
                                        ; implicit-def: $vgpr2
	s_branch .LBB14_632
.LBB14_628:
	s_mov_b32 s1, -1
                                        ; implicit-def: $vgpr2
.LBB14_629:
	s_andn2_b32 vcc_lo, exec_lo, s1
	s_cbranch_vccnz .LBB14_631
; %bb.630:
	global_load_dword v2, v[0:1], off
.LBB14_631:
	s_mov_b32 s1, 0
.LBB14_632:
	s_andn2_b32 vcc_lo, exec_lo, s1
	s_cbranch_vccnz .LBB14_634
; %bb.633:
	global_load_ushort v2, v[0:1], off
	s_waitcnt vmcnt(0)
	v_cvt_f32_f16_e32 v2, v2
.LBB14_634:
	s_mov_b32 s1, 0
.LBB14_635:
	s_andn2_b32 vcc_lo, exec_lo, s1
	s_cbranch_vccnz .LBB14_655
; %bb.636:
	s_cmp_lt_i32 s0, 2
	s_cbranch_scc1 .LBB14_640
; %bb.637:
	s_cmp_lt_i32 s0, 3
	s_cbranch_scc1 .LBB14_641
; %bb.638:
	s_cmp_gt_i32 s0, 3
	s_cbranch_scc0 .LBB14_642
; %bb.639:
	global_load_dwordx2 v[2:3], v[0:1], off
	s_mov_b32 s1, 0
	s_waitcnt vmcnt(0)
	v_xor_b32_e32 v5, v2, v3
	v_ffbh_i32_e32 v6, v3
	v_ashrrev_i32_e32 v5, 31, v5
	v_add_nc_u32_e32 v6, -1, v6
	v_add_nc_u32_e32 v5, 32, v5
	v_min_u32_e32 v5, v6, v5
	v_lshlrev_b64 v[2:3], v5, v[2:3]
	v_min_u32_e32 v2, 1, v2
	v_or_b32_e32 v2, v3, v2
	v_sub_nc_u32_e32 v3, 32, v5
	v_cvt_f32_i32_e32 v2, v2
	v_ldexp_f32 v2, v2, v3
	s_branch .LBB14_643
.LBB14_640:
	s_mov_b32 s1, -1
                                        ; implicit-def: $vgpr2
	s_branch .LBB14_649
.LBB14_641:
	s_mov_b32 s1, -1
                                        ; implicit-def: $vgpr2
	s_branch .LBB14_646
.LBB14_642:
	s_mov_b32 s1, -1
                                        ; implicit-def: $vgpr2
.LBB14_643:
	s_andn2_b32 vcc_lo, exec_lo, s1
	s_cbranch_vccnz .LBB14_645
; %bb.644:
	global_load_dword v2, v[0:1], off
	s_waitcnt vmcnt(0)
	v_cvt_f32_i32_e32 v2, v2
.LBB14_645:
	s_mov_b32 s1, 0
.LBB14_646:
	s_andn2_b32 vcc_lo, exec_lo, s1
	s_cbranch_vccnz .LBB14_648
; %bb.647:
	global_load_sshort v2, v[0:1], off
	s_waitcnt vmcnt(0)
	v_cvt_f32_i32_e32 v2, v2
.LBB14_648:
	s_mov_b32 s1, 0
.LBB14_649:
	s_andn2_b32 vcc_lo, exec_lo, s1
	s_cbranch_vccnz .LBB14_655
; %bb.650:
	s_cmp_gt_i32 s0, 0
	s_mov_b32 s0, 0
	s_cbranch_scc0 .LBB14_652
; %bb.651:
	global_load_sbyte v2, v[0:1], off
	s_waitcnt vmcnt(0)
	v_cvt_f32_i32_e32 v2, v2
	s_branch .LBB14_653
.LBB14_652:
	s_mov_b32 s0, -1
                                        ; implicit-def: $vgpr2
.LBB14_653:
	s_andn2_b32 vcc_lo, exec_lo, s0
	s_cbranch_vccnz .LBB14_655
; %bb.654:
	global_load_ubyte v0, v[0:1], off
	s_waitcnt vmcnt(0)
	v_cvt_f32_ubyte0_e32 v2, v0
.LBB14_655:
	s_mov_b32 s1, -1
.LBB14_656:
	s_andn2_b32 vcc_lo, exec_lo, s1
	s_cbranch_vccnz .LBB14_668
; %bb.657:
	s_waitcnt vmcnt(0)
	v_and_b32_e32 v0, 0x7fffffff, v2
                                        ; implicit-def: $vgpr3
                                        ; implicit-def: $vgpr1
	s_mov_b32 s1, exec_lo
	v_cmpx_ngt_f32_e64 0x48000000, |v2|
	s_xor_b32 s21, exec_lo, s1
	s_cbranch_execz .LBB14_659
; %bb.658:
	s_mov_b32 s0, 0x7fffff
	v_mov_b32_e32 v7, 0
	v_and_or_b32 v1, v0, s0, 0x800000
	v_lshrrev_b32_e32 v3, 23, v0
	v_mad_u64_u32 v[5:6], null, 0xfe5163ab, v1, 0
	v_add_nc_u32_e32 v3, 0xffffff88, v3
	v_cmp_lt_u32_e32 vcc_lo, 63, v3
	v_mad_u64_u32 v[8:9], null, 0x3c439041, v1, v[6:7]
	v_cndmask_b32_e64 v13, 0, 0xffffffc0, vcc_lo
	v_mov_b32_e32 v6, v9
	v_add_nc_u32_e32 v3, v13, v3
	v_mad_u64_u32 v[9:10], null, 0xdb629599, v1, v[6:7]
	v_cmp_lt_u32_e64 s0, 31, v3
	v_cndmask_b32_e64 v14, 0, 0xffffffe0, s0
	v_mov_b32_e32 v6, v10
	v_cndmask_b32_e32 v5, v9, v5, vcc_lo
	v_add_nc_u32_e32 v3, v14, v3
	v_mad_u64_u32 v[10:11], null, 0xf534ddc0, v1, v[6:7]
	v_cmp_lt_u32_e64 s1, 31, v3
	v_mov_b32_e32 v6, v11
	v_mad_u64_u32 v[11:12], null, 0xfc2757d1, v1, v[6:7]
	v_mov_b32_e32 v6, v12
	v_mad_u64_u32 v[12:13], null, 0x4e441529, v1, v[6:7]
	v_mov_b32_e32 v6, v13
	v_cndmask_b32_e32 v13, v12, v10, vcc_lo
	v_mad_u64_u32 v[6:7], null, 0xa2f9836e, v1, v[6:7]
	v_cndmask_b32_e64 v1, 0, 0xffffffe0, s1
	v_add_nc_u32_e32 v1, v1, v3
	v_cndmask_b32_e32 v6, v6, v11, vcc_lo
	v_cndmask_b32_e32 v7, v7, v12, vcc_lo
	;; [unrolled: 1-line block ×4, first 2 shown]
	v_sub_nc_u32_e32 v10, 32, v1
	v_cndmask_b32_e64 v8, v6, v13, s0
	v_cndmask_b32_e64 v6, v7, v6, s0
	;; [unrolled: 1-line block ×4, first 2 shown]
	v_cmp_eq_u32_e32 vcc_lo, 0, v1
	v_cndmask_b32_e64 v3, v3, v5, s0
	v_cndmask_b32_e64 v6, v6, v8, s1
	;; [unrolled: 1-line block ×5, first 2 shown]
	v_alignbit_b32 v12, v6, v8, v10
	v_alignbit_b32 v9, v8, v7, v10
	;; [unrolled: 1-line block ×3, first 2 shown]
	v_cndmask_b32_e32 v1, v12, v6, vcc_lo
	v_cndmask_b32_e32 v5, v9, v8, vcc_lo
	;; [unrolled: 1-line block ×3, first 2 shown]
	v_bfe_u32 v6, v1, 29, 1
	v_alignbit_b32 v8, v1, v5, 30
	v_alignbit_b32 v5, v5, v7, 30
	;; [unrolled: 1-line block ×3, first 2 shown]
	v_sub_nc_u32_e32 v9, 0, v6
	v_xor_b32_e32 v8, v8, v9
	v_xor_b32_e32 v5, v5, v9
	;; [unrolled: 1-line block ×3, first 2 shown]
	v_lshrrev_b32_e32 v9, 29, v1
	v_ffbh_u32_e32 v10, v8
	v_min_u32_e32 v10, 32, v10
	v_sub_nc_u32_e32 v7, 31, v10
	v_lshlrev_b32_e32 v11, 23, v10
	v_alignbit_b32 v8, v8, v5, v7
	v_alignbit_b32 v3, v5, v3, v7
	v_lshlrev_b32_e32 v5, 31, v9
	v_alignbit_b32 v7, v8, v3, 9
	v_or_b32_e32 v9, 0.5, v5
	v_lshrrev_b32_e32 v8, 9, v8
	v_or_b32_e32 v5, 0x33000000, v5
	v_ffbh_u32_e32 v12, v7
	v_sub_nc_u32_e32 v9, v9, v11
	v_min_u32_e32 v11, 32, v12
	v_or_b32_e32 v8, v8, v9
	v_not_b32_e32 v9, v11
	v_mul_f32_e32 v12, 0x3fc90fda, v8
	v_add_lshl_u32 v10, v11, v10, 23
	v_alignbit_b32 v3, v7, v3, v9
	v_fma_f32 v7, 0x3fc90fda, v8, -v12
	v_sub_nc_u32_e32 v5, v5, v10
	v_lshrrev_b32_e32 v3, 9, v3
	v_fmamk_f32 v7, v8, 0x33a22168, v7
	v_or_b32_e32 v3, v5, v3
	v_fmac_f32_e32 v7, 0x3fc90fda, v3
	v_lshrrev_b32_e32 v3, 30, v1
	v_add_f32_e32 v1, v12, v7
	v_add_nc_u32_e32 v3, v6, v3
.LBB14_659:
	s_andn2_saveexec_b32 s0, s21
; %bb.660:
	v_mul_f32_e64 v1, 0x3f22f983, |v2|
	v_rndne_f32_e32 v3, v1
	v_fma_f32 v1, 0xbfc90fda, v3, |v2|
	v_fmamk_f32 v1, v3, 0xb3a22168, v1
	v_fmamk_f32 v1, v3, 0xa7c234c4, v1
	v_cvt_i32_f32_e32 v3, v3
; %bb.661:
	s_or_b32 exec_lo, exec_lo, s0
	v_mul_f32_e32 v5, v1, v1
	s_mov_b32 s0, 0xb94c1982
	s_mov_b32 s1, 0x37d75334
	v_and_b32_e32 v8, 1, v3
	v_lshlrev_b32_e32 v3, 30, v3
	v_fmaak_f32 v6, s0, v5, 0x3c0881c4
	v_fmaak_f32 v7, s1, v5, 0xbab64f3b
	v_xor_b32_e32 v0, v0, v2
	v_cmp_eq_u32_e32 vcc_lo, 0, v8
	v_and_b32_e32 v3, 0x80000000, v3
	v_fmaak_f32 v6, v5, v6, 0xbe2aaa9d
	v_fmaak_f32 v7, v5, v7, 0x3d2aabf7
	s_and_b32 s1, s4, 0xff
	s_mov_b32 s22, 0
	s_mov_b32 s21, -1
	v_mul_f32_e32 v6, v5, v6
	v_fmaak_f32 v7, v5, v7, 0xbf000004
	s_cmp_lt_i32 s1, 11
	s_mov_b32 s0, s17
	v_fmac_f32_e32 v1, v1, v6
	v_mul_lo_u32 v6, v4, s2
	v_fma_f32 v5, v5, v7, 1.0
	v_cndmask_b32_e32 v1, v5, v1, vcc_lo
	v_ashrrev_i32_e32 v5, 31, v6
	v_xor3_b32 v3, v0, v3, v1
	v_add_co_u32 v0, vcc_lo, s8, v6
	v_add_co_ci_u32_e64 v1, null, s9, v5, vcc_lo
	v_cmp_class_f32_e64 vcc_lo, v2, 0x1f8
	v_cndmask_b32_e32 v2, 0x7fc00000, v3, vcc_lo
	s_cbranch_scc1 .LBB14_669
; %bb.662:
	s_and_b32 s21, 0xffff, s1
	s_cmp_gt_i32 s21, 25
	s_cbranch_scc0 .LBB14_710
; %bb.663:
	s_cmp_gt_i32 s21, 28
	s_cbranch_scc0 .LBB14_711
; %bb.664:
	;; [unrolled: 3-line block ×4, first 2 shown]
	s_mov_b32 s23, 0
	s_mov_b32 s0, -1
	s_cmp_eq_u32 s21, 46
	s_cbranch_scc0 .LBB14_714
; %bb.667:
	v_bfe_u32 v3, v2, 16, 1
	v_cmp_o_f32_e32 vcc_lo, v2, v2
	v_mov_b32_e32 v5, 0x7fc0
	s_mov_b32 s22, -1
	s_mov_b32 s0, 0
	v_add3_u32 v3, v2, v3, 0x7fff
	v_cndmask_b32_sdwa v3, v5, v3, vcc_lo dst_sel:DWORD dst_unused:UNUSED_PAD src0_sel:DWORD src1_sel:WORD_1
	global_store_dword v[0:1], v3, off
	s_branch .LBB14_714
.LBB14_668:
	s_mov_b32 s21, 0
	s_mov_b32 s0, s17
	s_branch .LBB14_709
.LBB14_669:
	s_and_b32 vcc_lo, exec_lo, s21
	s_cbranch_vccz .LBB14_783
; %bb.670:
	s_and_b32 s1, 0xffff, s1
	s_mov_b32 s21, -1
	s_cmp_lt_i32 s1, 5
	s_cbranch_scc1 .LBB14_691
; %bb.671:
	s_cmp_lt_i32 s1, 8
	s_cbranch_scc1 .LBB14_681
; %bb.672:
	;; [unrolled: 3-line block ×3, first 2 shown]
	s_cmp_gt_i32 s1, 9
	s_cbranch_scc0 .LBB14_675
; %bb.674:
	v_cvt_f64_f32_e32 v[5:6], v2
	v_mov_b32_e32 v7, 0
	s_mov_b32 s21, 0
	v_mov_b32_e32 v8, v7
	global_store_dwordx4 v[0:1], v[5:8], off
.LBB14_675:
	s_andn2_b32 vcc_lo, exec_lo, s21
	s_cbranch_vccnz .LBB14_677
; %bb.676:
	v_mov_b32_e32 v3, 0
	global_store_dwordx2 v[0:1], v[2:3], off
.LBB14_677:
	s_mov_b32 s21, 0
.LBB14_678:
	s_andn2_b32 vcc_lo, exec_lo, s21
	s_cbranch_vccnz .LBB14_680
; %bb.679:
	v_cvt_f16_f32_e32 v3, v2
	v_and_b32_e32 v3, 0xffff, v3
	global_store_dword v[0:1], v3, off
.LBB14_680:
	s_mov_b32 s21, 0
.LBB14_681:
	s_andn2_b32 vcc_lo, exec_lo, s21
	s_cbranch_vccnz .LBB14_690
; %bb.682:
	s_cmp_lt_i32 s1, 6
	s_mov_b32 s21, -1
	s_cbranch_scc1 .LBB14_688
; %bb.683:
	s_cmp_gt_i32 s1, 6
	s_cbranch_scc0 .LBB14_685
; %bb.684:
	v_cvt_f64_f32_e32 v[5:6], v2
	s_mov_b32 s21, 0
	global_store_dwordx2 v[0:1], v[5:6], off
.LBB14_685:
	s_andn2_b32 vcc_lo, exec_lo, s21
	s_cbranch_vccnz .LBB14_687
; %bb.686:
	global_store_dword v[0:1], v2, off
.LBB14_687:
	s_mov_b32 s21, 0
.LBB14_688:
	s_andn2_b32 vcc_lo, exec_lo, s21
	s_cbranch_vccnz .LBB14_690
; %bb.689:
	v_cvt_f16_f32_e32 v3, v2
	global_store_short v[0:1], v3, off
.LBB14_690:
	s_mov_b32 s21, 0
.LBB14_691:
	s_andn2_b32 vcc_lo, exec_lo, s21
	s_cbranch_vccnz .LBB14_707
; %bb.692:
	s_cmp_lt_i32 s1, 2
	s_mov_b32 s21, -1
	s_cbranch_scc1 .LBB14_702
; %bb.693:
	s_cmp_lt_i32 s1, 3
	s_cbranch_scc1 .LBB14_699
; %bb.694:
	s_cmp_gt_i32 s1, 3
	s_cbranch_scc0 .LBB14_696
; %bb.695:
	v_trunc_f32_e32 v3, v2
	s_mov_b32 s21, 0
	v_mul_f32_e64 v5, 0x2f800000, |v3|
	v_floor_f32_e32 v5, v5
	v_fma_f32 v6, 0xcf800000, v5, |v3|
	v_ashrrev_i32_e32 v3, 31, v3
	v_cvt_u32_f32_e32 v5, v5
	v_cvt_u32_f32_e32 v6, v6
	v_xor_b32_e32 v7, v5, v3
	v_xor_b32_e32 v6, v6, v3
	v_sub_co_u32 v5, vcc_lo, v6, v3
	v_sub_co_ci_u32_e64 v6, null, v7, v3, vcc_lo
	global_store_dwordx2 v[0:1], v[5:6], off
.LBB14_696:
	s_andn2_b32 vcc_lo, exec_lo, s21
	s_cbranch_vccnz .LBB14_698
; %bb.697:
	v_cvt_i32_f32_e32 v3, v2
	global_store_dword v[0:1], v3, off
.LBB14_698:
	s_mov_b32 s21, 0
.LBB14_699:
	s_andn2_b32 vcc_lo, exec_lo, s21
	s_cbranch_vccnz .LBB14_701
; %bb.700:
	v_cvt_i32_f32_e32 v3, v2
	global_store_short v[0:1], v3, off
.LBB14_701:
	s_mov_b32 s21, 0
.LBB14_702:
	s_andn2_b32 vcc_lo, exec_lo, s21
	s_cbranch_vccnz .LBB14_707
; %bb.703:
	s_cmp_gt_i32 s1, 0
	s_mov_b32 s1, -1
	s_cbranch_scc0 .LBB14_705
; %bb.704:
	v_cvt_i32_f32_e32 v3, v2
	s_mov_b32 s1, 0
	global_store_byte v[0:1], v3, off
.LBB14_705:
	s_andn2_b32 vcc_lo, exec_lo, s1
	s_cbranch_vccnz .LBB14_707
; %bb.706:
	v_trunc_f32_e32 v2, v2
	v_mul_f32_e64 v3, 0x2f800000, |v2|
	v_floor_f32_e32 v3, v3
	v_fma_f32 v3, 0xcf800000, v3, |v2|
	v_ashrrev_i32_e32 v2, 31, v2
	v_cvt_u32_f32_e32 v3, v3
	v_xor_b32_e32 v3, v3, v2
	v_sub_nc_u32_e32 v2, v3, v2
	global_store_byte v[0:1], v2, off
.LBB14_707:
	s_branch .LBB14_784
.LBB14_708:
	s_mov_b32 s21, 0
.LBB14_709:
                                        ; implicit-def: $vgpr4
	s_branch .LBB14_785
.LBB14_710:
	s_mov_b32 s23, -1
	s_mov_b32 s0, s17
	s_branch .LBB14_741
.LBB14_711:
	s_mov_b32 s23, -1
	s_mov_b32 s0, s17
	s_branch .LBB14_724
.LBB14_712:
	s_mov_b32 s23, -1
	s_mov_b32 s0, s17
	s_branch .LBB14_720
.LBB14_713:
	s_mov_b32 s23, -1
	s_mov_b32 s0, s17
.LBB14_714:
	s_and_b32 vcc_lo, exec_lo, s23
	s_cbranch_vccz .LBB14_719
; %bb.715:
	s_cmp_eq_u32 s21, 44
	s_mov_b32 s0, -1
	s_cbranch_scc0 .LBB14_719
; %bb.716:
	v_bfe_u32 v5, v2, 23, 8
	v_mov_b32_e32 v3, 0xff
	s_mov_b32 s22, exec_lo
	v_cmpx_ne_u32_e32 0xff, v5
	s_cbranch_execz .LBB14_718
; %bb.717:
	v_and_b32_e32 v3, 0x400000, v2
	v_and_or_b32 v5, 0x3fffff, v2, v5
	v_cmp_ne_u32_e32 vcc_lo, 0, v3
	v_cmp_ne_u32_e64 s0, 0, v5
	v_lshrrev_b32_e32 v3, 23, v2
	s_and_b32 s0, vcc_lo, s0
	v_cndmask_b32_e64 v5, 0, 1, s0
	v_add_nc_u32_e32 v3, v3, v5
.LBB14_718:
	s_or_b32 exec_lo, exec_lo, s22
	s_mov_b32 s22, -1
	s_mov_b32 s0, 0
	global_store_byte v[0:1], v3, off
.LBB14_719:
	s_mov_b32 s23, 0
.LBB14_720:
	s_and_b32 vcc_lo, exec_lo, s23
	s_cbranch_vccz .LBB14_723
; %bb.721:
	s_cmp_eq_u32 s21, 29
	s_mov_b32 s0, -1
	s_cbranch_scc0 .LBB14_723
; %bb.722:
	v_trunc_f32_e32 v3, v2
	s_mov_b32 s22, -1
	s_mov_b32 s0, 0
	s_mov_b32 s23, 0
	v_mul_f32_e32 v5, 0x2f800000, v3
	v_floor_f32_e32 v5, v5
	v_fmamk_f32 v3, v5, 0xcf800000, v3
	v_cvt_u32_f32_e32 v6, v5
	v_cvt_u32_f32_e32 v5, v3
	global_store_dwordx2 v[0:1], v[5:6], off
	s_branch .LBB14_724
.LBB14_723:
	s_mov_b32 s23, 0
.LBB14_724:
	s_and_b32 vcc_lo, exec_lo, s23
	s_cbranch_vccz .LBB14_740
; %bb.725:
	s_cmp_lt_i32 s21, 27
	s_mov_b32 s22, -1
	s_cbranch_scc1 .LBB14_731
; %bb.726:
	v_cvt_u32_f32_e32 v3, v2
	s_cmp_gt_i32 s21, 27
	s_cbranch_scc0 .LBB14_728
; %bb.727:
	s_mov_b32 s22, 0
	global_store_dword v[0:1], v3, off
.LBB14_728:
	s_andn2_b32 vcc_lo, exec_lo, s22
	s_cbranch_vccnz .LBB14_730
; %bb.729:
	global_store_short v[0:1], v3, off
.LBB14_730:
	s_mov_b32 s22, 0
.LBB14_731:
	s_andn2_b32 vcc_lo, exec_lo, s22
	s_cbranch_vccnz .LBB14_739
; %bb.732:
	v_and_b32_e32 v3, 0x7fffffff, v2
	v_mov_b32_e32 v5, 0x80
	s_mov_b32 s22, exec_lo
	v_cmpx_gt_u32_e32 0x43800000, v3
	s_cbranch_execz .LBB14_738
; %bb.733:
	v_cmp_lt_u32_e32 vcc_lo, 0x3bffffff, v3
	s_mov_b32 s23, 0
                                        ; implicit-def: $vgpr3
	s_and_saveexec_b32 s24, vcc_lo
	s_xor_b32 s24, exec_lo, s24
	s_cbranch_execz .LBB14_799
; %bb.734:
	v_bfe_u32 v3, v2, 20, 1
	s_mov_b32 s23, exec_lo
	v_add3_u32 v3, v2, v3, 0x487ffff
	v_lshrrev_b32_e32 v3, 20, v3
	s_andn2_saveexec_b32 s24, s24
	s_cbranch_execnz .LBB14_800
.LBB14_735:
	s_or_b32 exec_lo, exec_lo, s24
	v_mov_b32_e32 v5, 0
	s_and_saveexec_b32 s24, s23
.LBB14_736:
	v_lshrrev_b32_e32 v5, 24, v2
	v_and_or_b32 v5, 0x80, v5, v3
.LBB14_737:
	s_or_b32 exec_lo, exec_lo, s24
.LBB14_738:
	s_or_b32 exec_lo, exec_lo, s22
	global_store_byte v[0:1], v5, off
.LBB14_739:
	s_mov_b32 s22, -1
.LBB14_740:
	s_mov_b32 s23, 0
.LBB14_741:
	s_and_b32 vcc_lo, exec_lo, s23
	s_cbranch_vccz .LBB14_782
; %bb.742:
	s_cmp_gt_i32 s21, 22
	s_mov_b32 s23, -1
	s_cbranch_scc0 .LBB14_774
; %bb.743:
	s_cmp_lt_i32 s21, 24
	s_mov_b32 s22, -1
	s_cbranch_scc1 .LBB14_763
; %bb.744:
	s_cmp_gt_i32 s21, 24
	s_cbranch_scc0 .LBB14_752
; %bb.745:
	v_and_b32_e32 v3, 0x7fffffff, v2
	v_mov_b32_e32 v5, 0x80
	s_mov_b32 s22, exec_lo
	v_cmpx_gt_u32_e32 0x47800000, v3
	s_cbranch_execz .LBB14_751
; %bb.746:
	v_cmp_lt_u32_e32 vcc_lo, 0x37ffffff, v3
	s_mov_b32 s23, 0
                                        ; implicit-def: $vgpr3
	s_and_saveexec_b32 s24, vcc_lo
	s_xor_b32 s24, exec_lo, s24
	s_cbranch_execz .LBB14_802
; %bb.747:
	v_bfe_u32 v3, v2, 21, 1
	s_mov_b32 s23, exec_lo
	v_add3_u32 v3, v2, v3, 0x88fffff
	v_lshrrev_b32_e32 v3, 21, v3
	s_andn2_saveexec_b32 s24, s24
	s_cbranch_execnz .LBB14_803
.LBB14_748:
	s_or_b32 exec_lo, exec_lo, s24
	v_mov_b32_e32 v5, 0
	s_and_saveexec_b32 s24, s23
.LBB14_749:
	v_lshrrev_b32_e32 v5, 24, v2
	v_and_or_b32 v5, 0x80, v5, v3
.LBB14_750:
	s_or_b32 exec_lo, exec_lo, s24
.LBB14_751:
	s_or_b32 exec_lo, exec_lo, s22
	s_mov_b32 s22, 0
	global_store_byte v[0:1], v5, off
.LBB14_752:
	s_and_b32 vcc_lo, exec_lo, s22
	s_cbranch_vccz .LBB14_762
; %bb.753:
	v_and_b32_e32 v5, 0x7fffffff, v2
	s_mov_b32 s22, exec_lo
                                        ; implicit-def: $vgpr3
	v_cmpx_gt_u32_e32 0x43f00000, v5
	s_xor_b32 s22, exec_lo, s22
	s_cbranch_execz .LBB14_759
; %bb.754:
	s_mov_b32 s23, exec_lo
                                        ; implicit-def: $vgpr3
	v_cmpx_lt_u32_e32 0x3c7fffff, v5
	s_xor_b32 s23, exec_lo, s23
; %bb.755:
	v_bfe_u32 v3, v2, 20, 1
	v_add3_u32 v3, v2, v3, 0x407ffff
	v_and_b32_e32 v5, 0xff00000, v3
	v_lshrrev_b32_e32 v3, 20, v3
	v_cmp_ne_u32_e32 vcc_lo, 0x7f00000, v5
	v_cndmask_b32_e32 v3, 0x7e, v3, vcc_lo
; %bb.756:
	s_andn2_saveexec_b32 s23, s23
; %bb.757:
	v_add_f32_e64 v3, 0x46800000, |v2|
; %bb.758:
	s_or_b32 exec_lo, exec_lo, s23
                                        ; implicit-def: $vgpr5
.LBB14_759:
	s_andn2_saveexec_b32 s22, s22
; %bb.760:
	v_mov_b32_e32 v3, 0x7f
	v_cmp_lt_u32_e32 vcc_lo, 0x7f800000, v5
	v_cndmask_b32_e32 v3, 0x7e, v3, vcc_lo
; %bb.761:
	s_or_b32 exec_lo, exec_lo, s22
	v_lshrrev_b32_e32 v5, 24, v2
	v_and_or_b32 v3, 0x80, v5, v3
	global_store_byte v[0:1], v3, off
.LBB14_762:
	s_mov_b32 s22, 0
.LBB14_763:
	s_andn2_b32 vcc_lo, exec_lo, s22
	s_cbranch_vccnz .LBB14_773
; %bb.764:
	v_and_b32_e32 v5, 0x7fffffff, v2
	s_mov_b32 s22, exec_lo
                                        ; implicit-def: $vgpr3
	v_cmpx_gt_u32_e32 0x47800000, v5
	s_xor_b32 s22, exec_lo, s22
	s_cbranch_execz .LBB14_770
; %bb.765:
	s_mov_b32 s23, exec_lo
                                        ; implicit-def: $vgpr3
	v_cmpx_lt_u32_e32 0x387fffff, v5
	s_xor_b32 s23, exec_lo, s23
; %bb.766:
	v_bfe_u32 v3, v2, 21, 1
	v_add3_u32 v3, v2, v3, 0x80fffff
	v_lshrrev_b32_e32 v3, 21, v3
; %bb.767:
	s_andn2_saveexec_b32 s23, s23
; %bb.768:
	v_add_f32_e64 v3, 0x43000000, |v2|
; %bb.769:
	s_or_b32 exec_lo, exec_lo, s23
                                        ; implicit-def: $vgpr5
.LBB14_770:
	s_andn2_saveexec_b32 s22, s22
; %bb.771:
	v_mov_b32_e32 v3, 0x7f
	v_cmp_lt_u32_e32 vcc_lo, 0x7f800000, v5
	v_cndmask_b32_e32 v3, 0x7c, v3, vcc_lo
; %bb.772:
	s_or_b32 exec_lo, exec_lo, s22
	v_lshrrev_b32_e32 v5, 24, v2
	v_and_or_b32 v3, 0x80, v5, v3
	global_store_byte v[0:1], v3, off
.LBB14_773:
	s_mov_b32 s23, 0
	s_mov_b32 s22, -1
.LBB14_774:
	s_andn2_b32 vcc_lo, exec_lo, s23
	s_cbranch_vccnz .LBB14_782
; %bb.775:
	s_cmp_gt_i32 s21, 14
	s_mov_b32 s23, -1
	s_cbranch_scc0 .LBB14_779
; %bb.776:
	s_cmp_eq_u32 s21, 15
	s_mov_b32 s0, -1
	s_cbranch_scc0 .LBB14_778
; %bb.777:
	v_bfe_u32 v3, v2, 16, 1
	v_cmp_o_f32_e32 vcc_lo, v2, v2
	v_mov_b32_e32 v5, 0x7fc0
	s_mov_b32 s22, -1
	s_mov_b32 s0, 0
	v_add3_u32 v3, v2, v3, 0x7fff
	v_cndmask_b32_sdwa v3, v5, v3, vcc_lo dst_sel:DWORD dst_unused:UNUSED_PAD src0_sel:DWORD src1_sel:WORD_1
	global_store_short v[0:1], v3, off
.LBB14_778:
	s_mov_b32 s23, 0
.LBB14_779:
	s_and_b32 vcc_lo, exec_lo, s23
	s_cbranch_vccz .LBB14_782
; %bb.780:
	s_cmp_eq_u32 s21, 11
	s_mov_b32 s0, -1
	s_cbranch_scc0 .LBB14_782
; %bb.781:
	v_cmp_neq_f32_e32 vcc_lo, 0, v2
	s_mov_b32 s0, 0
	s_mov_b32 s22, -1
	v_cndmask_b32_e64 v3, 0, 1, vcc_lo
	global_store_byte v[0:1], v3, off
.LBB14_782:
.LBB14_783:
	s_andn2_b32 vcc_lo, exec_lo, s22
	s_cbranch_vccnz .LBB14_708
.LBB14_784:
	v_add_nc_u32_e32 v4, 0x80, v4
	s_mov_b32 s21, -1
.LBB14_785:
	s_andn2_b32 s1, s17, exec_lo
	s_and_b32 s0, s0, exec_lo
	s_andn2_b32 s22, s16, exec_lo
	s_and_b32 s20, s20, exec_lo
	s_or_b32 s1, s1, s0
	s_or_b32 s0, s22, s20
	s_orn2_b32 s20, s21, exec_lo
.LBB14_786:
	s_or_b32 exec_lo, exec_lo, s19
	s_mov_b32 s21, 0
	s_mov_b32 s22, 0
	s_mov_b32 s23, 0
                                        ; implicit-def: $vgpr0_vgpr1
                                        ; implicit-def: $vgpr3
	s_and_saveexec_b32 s19, s20
	s_cbranch_execz .LBB14_871
; %bb.787:
	v_cmp_gt_i32_e32 vcc_lo, s13, v4
	s_mov_b32 s20, 0
	s_mov_b32 s21, s0
	;; [unrolled: 1-line block ×3, first 2 shown]
                                        ; implicit-def: $vgpr0_vgpr1
                                        ; implicit-def: $vgpr3
	s_and_saveexec_b32 s13, vcc_lo
	s_cbranch_execz .LBB14_870
; %bb.788:
	v_mul_lo_u32 v0, v4, s3
	s_and_b32 s20, 0xffff, s6
	s_cmp_lt_i32 s20, 11
	v_ashrrev_i32_e32 v1, 31, v0
	v_add_co_u32 v0, vcc_lo, s10, v0
	v_add_co_ci_u32_e64 v1, null, s11, v1, vcc_lo
	s_cbranch_scc1 .LBB14_795
; %bb.789:
	s_cmp_gt_i32 s20, 25
	s_cbranch_scc0 .LBB14_796
; %bb.790:
	s_cmp_gt_i32 s20, 28
	s_cbranch_scc0 .LBB14_797
; %bb.791:
	s_cmp_gt_i32 s20, 43
	s_cbranch_scc0 .LBB14_798
; %bb.792:
	s_cmp_gt_i32 s20, 45
	s_cbranch_scc0 .LBB14_801
; %bb.793:
	s_cmp_eq_u32 s20, 46
	s_cbranch_scc0 .LBB14_804
; %bb.794:
	global_load_dword v2, v[0:1], off
	s_mov_b32 s21, 0
	s_mov_b32 s23, -1
	s_waitcnt vmcnt(0)
	v_lshlrev_b32_e32 v3, 16, v2
	s_branch .LBB14_806
.LBB14_795:
	s_mov_b32 s20, -1
	s_mov_b32 s21, s0
                                        ; implicit-def: $vgpr3
	s_branch .LBB14_869
.LBB14_796:
	s_mov_b32 s24, -1
	s_mov_b32 s21, s0
                                        ; implicit-def: $vgpr3
	s_branch .LBB14_835
.LBB14_797:
	s_mov_b32 s24, -1
	s_mov_b32 s21, s0
                                        ; implicit-def: $vgpr3
	s_branch .LBB14_816
.LBB14_798:
	s_mov_b32 s24, -1
	s_mov_b32 s21, s0
                                        ; implicit-def: $vgpr3
	s_branch .LBB14_811
.LBB14_799:
	s_andn2_saveexec_b32 s24, s24
	s_cbranch_execz .LBB14_735
.LBB14_800:
	v_add_f32_e64 v3, 0x46000000, |v2|
	s_andn2_b32 s23, s23, exec_lo
	v_and_b32_e32 v3, 0xff, v3
	v_cmp_ne_u32_e32 vcc_lo, 0, v3
	s_and_b32 s25, vcc_lo, exec_lo
	s_or_b32 s23, s23, s25
	s_or_b32 exec_lo, exec_lo, s24
	v_mov_b32_e32 v5, 0
	s_and_saveexec_b32 s24, s23
	s_cbranch_execnz .LBB14_736
	s_branch .LBB14_737
.LBB14_801:
	s_mov_b32 s24, -1
	s_mov_b32 s21, s0
	s_branch .LBB14_805
.LBB14_802:
	s_andn2_saveexec_b32 s24, s24
	s_cbranch_execz .LBB14_748
.LBB14_803:
	v_add_f32_e64 v3, 0x42800000, |v2|
	s_andn2_b32 s23, s23, exec_lo
	v_and_b32_e32 v3, 0xff, v3
	v_cmp_ne_u32_e32 vcc_lo, 0, v3
	s_and_b32 s25, vcc_lo, exec_lo
	s_or_b32 s23, s23, s25
	s_or_b32 exec_lo, exec_lo, s24
	v_mov_b32_e32 v5, 0
	s_and_saveexec_b32 s24, s23
	s_cbranch_execnz .LBB14_749
	s_branch .LBB14_750
.LBB14_804:
	s_mov_b32 s21, -1
.LBB14_805:
                                        ; implicit-def: $vgpr3
.LBB14_806:
	s_and_b32 vcc_lo, exec_lo, s24
	s_cbranch_vccz .LBB14_810
; %bb.807:
	s_cmp_eq_u32 s20, 44
	s_cbranch_scc0 .LBB14_809
; %bb.808:
	global_load_ubyte v2, v[0:1], off
	s_mov_b32 s21, 0
	s_mov_b32 s23, -1
	s_waitcnt vmcnt(0)
	v_lshlrev_b32_e32 v3, 23, v2
	v_cmp_ne_u32_e32 vcc_lo, 0xff, v2
	v_cndmask_b32_e32 v3, 0x7f800001, v3, vcc_lo
	v_cmp_ne_u32_e32 vcc_lo, 0, v2
	v_cndmask_b32_e32 v3, 0x400000, v3, vcc_lo
	s_branch .LBB14_810
.LBB14_809:
	s_mov_b32 s21, -1
                                        ; implicit-def: $vgpr3
.LBB14_810:
	s_mov_b32 s24, 0
.LBB14_811:
	s_and_b32 vcc_lo, exec_lo, s24
	s_cbranch_vccz .LBB14_815
; %bb.812:
	s_cmp_eq_u32 s20, 29
	s_cbranch_scc0 .LBB14_814
; %bb.813:
	global_load_dwordx2 v[2:3], v[0:1], off
	s_mov_b32 s21, 0
	s_mov_b32 s23, -1
	s_mov_b32 s24, 0
	s_waitcnt vmcnt(0)
	v_ffbh_u32_e32 v5, v3
	v_min_u32_e32 v5, 32, v5
	v_lshlrev_b64 v[2:3], v5, v[2:3]
	v_min_u32_e32 v2, 1, v2
	v_or_b32_e32 v2, v3, v2
	v_sub_nc_u32_e32 v3, 32, v5
	v_cvt_f32_u32_e32 v2, v2
	v_ldexp_f32 v3, v2, v3
	s_branch .LBB14_816
.LBB14_814:
	s_mov_b32 s21, -1
                                        ; implicit-def: $vgpr3
.LBB14_815:
	s_mov_b32 s24, 0
.LBB14_816:
	s_and_b32 vcc_lo, exec_lo, s24
	s_cbranch_vccz .LBB14_834
; %bb.817:
	s_cmp_lt_i32 s20, 27
	s_cbranch_scc1 .LBB14_820
; %bb.818:
	s_cmp_gt_i32 s20, 27
	s_cbranch_scc0 .LBB14_821
; %bb.819:
	global_load_dword v2, v[0:1], off
	s_mov_b32 s23, 0
	s_waitcnt vmcnt(0)
	v_cvt_f32_u32_e32 v3, v2
	s_branch .LBB14_822
.LBB14_820:
	s_mov_b32 s23, -1
                                        ; implicit-def: $vgpr3
	s_branch .LBB14_825
.LBB14_821:
	s_mov_b32 s23, -1
                                        ; implicit-def: $vgpr3
.LBB14_822:
	s_andn2_b32 vcc_lo, exec_lo, s23
	s_cbranch_vccnz .LBB14_824
; %bb.823:
	global_load_ushort v2, v[0:1], off
	s_waitcnt vmcnt(0)
	v_cvt_f32_u32_e32 v3, v2
.LBB14_824:
	s_mov_b32 s23, 0
.LBB14_825:
	s_andn2_b32 vcc_lo, exec_lo, s23
	s_cbranch_vccnz .LBB14_833
; %bb.826:
	global_load_ubyte v2, v[0:1], off
	s_mov_b32 s23, 0
	s_mov_b32 s24, exec_lo
	s_waitcnt vmcnt(0)
	v_cmpx_lt_i16_e32 0x7f, v2
	s_xor_b32 s24, exec_lo, s24
	s_cbranch_execz .LBB14_847
; %bb.827:
	s_mov_b32 s23, -1
	s_mov_b32 s25, exec_lo
	v_cmpx_eq_u16_e32 0x80, v2
; %bb.828:
	s_xor_b32 s23, exec_lo, -1
; %bb.829:
	s_or_b32 exec_lo, exec_lo, s25
	s_and_b32 s23, s23, exec_lo
	s_or_saveexec_b32 s24, s24
	v_mov_b32_e32 v3, 0x7f800001
	s_xor_b32 exec_lo, exec_lo, s24
	s_cbranch_execnz .LBB14_848
.LBB14_830:
	s_or_b32 exec_lo, exec_lo, s24
	s_and_saveexec_b32 s24, s23
	s_cbranch_execz .LBB14_832
.LBB14_831:
	v_and_b32_e32 v3, 0xffff, v2
	v_lshlrev_b32_e32 v2, 24, v2
	v_and_b32_e32 v5, 7, v3
	v_bfe_u32 v8, v3, 3, 4
	v_and_b32_e32 v2, 0x80000000, v2
	v_ffbh_u32_e32 v6, v5
	v_cmp_eq_u32_e32 vcc_lo, 0, v8
	v_min_u32_e32 v6, 32, v6
	v_subrev_nc_u32_e32 v7, 28, v6
	v_sub_nc_u32_e32 v6, 29, v6
	v_lshlrev_b32_e32 v3, v7, v3
	v_cndmask_b32_e32 v6, v8, v6, vcc_lo
	v_and_b32_e32 v3, 7, v3
	v_cndmask_b32_e32 v3, v5, v3, vcc_lo
	v_lshl_add_u32 v5, v6, 23, 0x3b800000
	v_lshlrev_b32_e32 v3, 20, v3
	v_or3_b32 v3, v2, v5, v3
.LBB14_832:
	s_or_b32 exec_lo, exec_lo, s24
.LBB14_833:
	s_mov_b32 s23, -1
.LBB14_834:
	s_mov_b32 s24, 0
.LBB14_835:
	s_and_b32 vcc_lo, exec_lo, s24
	s_cbranch_vccz .LBB14_868
; %bb.836:
	s_cmp_gt_i32 s20, 22
	s_cbranch_scc0 .LBB14_846
; %bb.837:
	s_cmp_lt_i32 s20, 24
	s_cbranch_scc1 .LBB14_849
; %bb.838:
	s_cmp_gt_i32 s20, 24
	s_cbranch_scc0 .LBB14_850
; %bb.839:
	global_load_ubyte v2, v[0:1], off
	s_mov_b32 s23, exec_lo
	s_waitcnt vmcnt(0)
	v_cmpx_lt_i16_e32 0x7f, v2
	s_xor_b32 s23, exec_lo, s23
	s_cbranch_execz .LBB14_862
; %bb.840:
	s_mov_b32 s22, -1
	s_mov_b32 s24, exec_lo
	v_cmpx_eq_u16_e32 0x80, v2
; %bb.841:
	s_xor_b32 s22, exec_lo, -1
; %bb.842:
	s_or_b32 exec_lo, exec_lo, s24
	s_and_b32 s22, s22, exec_lo
	s_or_saveexec_b32 s23, s23
	v_mov_b32_e32 v3, 0x7f800001
	s_xor_b32 exec_lo, exec_lo, s23
	s_cbranch_execnz .LBB14_863
.LBB14_843:
	s_or_b32 exec_lo, exec_lo, s23
	s_and_saveexec_b32 s23, s22
	s_cbranch_execz .LBB14_845
.LBB14_844:
	v_and_b32_e32 v3, 0xffff, v2
	v_lshlrev_b32_e32 v2, 24, v2
	v_and_b32_e32 v5, 3, v3
	v_bfe_u32 v8, v3, 2, 5
	v_and_b32_e32 v2, 0x80000000, v2
	v_ffbh_u32_e32 v6, v5
	v_cmp_eq_u32_e32 vcc_lo, 0, v8
	v_min_u32_e32 v6, 32, v6
	v_subrev_nc_u32_e32 v7, 29, v6
	v_sub_nc_u32_e32 v6, 30, v6
	v_lshlrev_b32_e32 v3, v7, v3
	v_cndmask_b32_e32 v6, v8, v6, vcc_lo
	v_and_b32_e32 v3, 3, v3
	v_cndmask_b32_e32 v3, v5, v3, vcc_lo
	v_lshl_add_u32 v5, v6, 23, 0x37800000
	v_lshlrev_b32_e32 v3, 21, v3
	v_or3_b32 v3, v2, v5, v3
.LBB14_845:
	s_or_b32 exec_lo, exec_lo, s23
	s_mov_b32 s22, 0
	s_branch .LBB14_851
.LBB14_846:
	s_mov_b32 s22, -1
                                        ; implicit-def: $vgpr3
	s_branch .LBB14_857
.LBB14_847:
	s_or_saveexec_b32 s24, s24
	v_mov_b32_e32 v3, 0x7f800001
	s_xor_b32 exec_lo, exec_lo, s24
	s_cbranch_execz .LBB14_830
.LBB14_848:
	v_cmp_ne_u16_e32 vcc_lo, 0, v2
	v_mov_b32_e32 v3, 0
	s_andn2_b32 s23, s23, exec_lo
	s_and_b32 s25, vcc_lo, exec_lo
	s_or_b32 s23, s23, s25
	s_or_b32 exec_lo, exec_lo, s24
	s_and_saveexec_b32 s24, s23
	s_cbranch_execnz .LBB14_831
	s_branch .LBB14_832
.LBB14_849:
	s_mov_b32 s22, -1
                                        ; implicit-def: $vgpr3
	s_branch .LBB14_854
.LBB14_850:
	s_mov_b32 s22, -1
                                        ; implicit-def: $vgpr3
.LBB14_851:
	s_and_b32 vcc_lo, exec_lo, s22
	s_cbranch_vccz .LBB14_853
; %bb.852:
	global_load_ubyte v2, v[0:1], off
	s_waitcnt vmcnt(0)
	v_lshlrev_b32_e32 v2, 24, v2
	v_and_b32_e32 v3, 0x7f000000, v2
	v_ffbh_u32_e32 v5, v3
	v_add_nc_u32_e32 v7, 0x1000000, v3
	v_cmp_ne_u32_e32 vcc_lo, 0, v3
	v_min_u32_e32 v5, 32, v5
	v_sub_nc_u32_e64 v5, v5, 4 clamp
	v_lshlrev_b32_e32 v6, v5, v3
	v_lshlrev_b32_e32 v5, 23, v5
	v_lshrrev_b32_e32 v6, 4, v6
	v_sub_nc_u32_e32 v5, v6, v5
	v_ashrrev_i32_e32 v6, 8, v7
	v_add_nc_u32_e32 v5, 0x3c000000, v5
	v_and_or_b32 v5, 0x7f800000, v6, v5
	v_cndmask_b32_e32 v3, 0, v5, vcc_lo
	v_and_or_b32 v3, 0x80000000, v2, v3
.LBB14_853:
	s_mov_b32 s22, 0
.LBB14_854:
	s_andn2_b32 vcc_lo, exec_lo, s22
	s_cbranch_vccnz .LBB14_856
; %bb.855:
	global_load_ubyte v2, v[0:1], off
	s_waitcnt vmcnt(0)
	v_lshlrev_b32_e32 v3, 25, v2
	v_lshlrev_b16 v2, 8, v2
	v_lshrrev_b32_e32 v5, 4, v3
	v_and_or_b32 v6, 0x7f00, v2, 0.5
	v_cmp_gt_u32_e32 vcc_lo, 0x8000000, v3
	v_bfe_i32 v2, v2, 0, 16
	v_or_b32_e32 v5, 0x70000000, v5
	v_add_f32_e32 v6, -0.5, v6
	v_mul_f32_e32 v5, 0x7800000, v5
	v_cndmask_b32_e32 v3, v5, v6, vcc_lo
	v_and_or_b32 v3, 0x80000000, v2, v3
.LBB14_856:
	s_mov_b32 s22, 0
	s_mov_b32 s23, -1
.LBB14_857:
	s_andn2_b32 vcc_lo, exec_lo, s22
	s_mov_b32 s22, 0
	s_cbranch_vccnz .LBB14_868
; %bb.858:
	s_cmp_gt_i32 s20, 14
	s_cbranch_scc0 .LBB14_861
; %bb.859:
	s_cmp_eq_u32 s20, 15
	s_cbranch_scc0 .LBB14_864
; %bb.860:
	global_load_ushort v2, v[0:1], off
	s_mov_b32 s21, 0
	s_mov_b32 s23, -1
	s_waitcnt vmcnt(0)
	v_lshlrev_b32_e32 v3, 16, v2
	s_branch .LBB14_866
.LBB14_861:
	s_mov_b32 s22, -1
	s_branch .LBB14_865
.LBB14_862:
	s_or_saveexec_b32 s23, s23
	v_mov_b32_e32 v3, 0x7f800001
	s_xor_b32 exec_lo, exec_lo, s23
	s_cbranch_execz .LBB14_843
.LBB14_863:
	v_cmp_ne_u16_e32 vcc_lo, 0, v2
	v_mov_b32_e32 v3, 0
	s_andn2_b32 s22, s22, exec_lo
	s_and_b32 s24, vcc_lo, exec_lo
	s_or_b32 s22, s22, s24
	s_or_b32 exec_lo, exec_lo, s23
	s_and_saveexec_b32 s23, s22
	s_cbranch_execnz .LBB14_844
	s_branch .LBB14_845
.LBB14_864:
	s_mov_b32 s21, -1
.LBB14_865:
                                        ; implicit-def: $vgpr3
.LBB14_866:
	s_and_b32 vcc_lo, exec_lo, s22
	s_mov_b32 s22, 0
	s_cbranch_vccz .LBB14_868
; %bb.867:
	s_cmp_lg_u32 s20, 11
	s_mov_b32 s22, -1
	s_cselect_b32 s20, -1, 0
	s_andn2_b32 s21, s21, exec_lo
	s_and_b32 s20, s20, exec_lo
	s_or_b32 s21, s21, s20
.LBB14_868:
	s_mov_b32 s20, 0
.LBB14_869:
	s_andn2_b32 s25, s0, exec_lo
	s_and_b32 s21, s21, exec_lo
	s_and_b32 s23, s23, exec_lo
	;; [unrolled: 1-line block ×4, first 2 shown]
	s_or_b32 s21, s25, s21
.LBB14_870:
	s_or_b32 exec_lo, exec_lo, s13
	s_andn2_b32 s0, s0, exec_lo
	s_and_b32 s13, s21, exec_lo
	s_and_b32 s23, s23, exec_lo
	;; [unrolled: 1-line block ×4, first 2 shown]
	s_or_b32 s0, s0, s13
.LBB14_871:
	s_or_b32 exec_lo, exec_lo, s19
	s_andn2_b32 s13, s17, exec_lo
	s_and_b32 s1, s1, exec_lo
	s_and_b32 s0, s0, exec_lo
	s_or_b32 s17, s13, s1
	s_andn2_b32 s13, s16, exec_lo
	s_and_b32 s20, s23, exec_lo
	s_and_b32 s19, s22, exec_lo
	;; [unrolled: 1-line block ×3, first 2 shown]
	s_or_b32 s16, s13, s0
.LBB14_872:
	s_or_b32 exec_lo, exec_lo, s18
	s_andn2_b32 s0, s12, exec_lo
	s_and_b32 s12, s17, exec_lo
	s_andn2_b32 s13, s14, exec_lo
	s_and_b32 s14, s16, exec_lo
	s_or_b32 s12, s0, s12
	s_and_b32 s0, s20, exec_lo
	s_and_b32 s17, s19, exec_lo
	;; [unrolled: 1-line block ×3, first 2 shown]
	s_or_b32 s14, s13, s14
	s_or_b32 exec_lo, exec_lo, s15
	s_mov_b32 s13, 0
	s_and_saveexec_b32 s1, s14
	s_cbranch_execz .LBB14_266
.LBB14_873:
	s_mov_b32 s13, exec_lo
	s_andn2_b32 s16, s16, exec_lo
	s_trap 2
	s_or_b32 exec_lo, exec_lo, s1
	s_and_saveexec_b32 s1, s16
	s_xor_b32 s1, exec_lo, s1
	s_cbranch_execnz .LBB14_267
.LBB14_874:
	s_or_b32 exec_lo, exec_lo, s1
	s_and_saveexec_b32 s1, s17
	s_cbranch_execz .LBB14_920
.LBB14_875:
	s_sext_i32_i16 s14, s6
	s_cmp_lt_i32 s14, 5
	s_cbranch_scc1 .LBB14_880
; %bb.876:
	s_cmp_lt_i32 s14, 8
	s_cbranch_scc1 .LBB14_881
; %bb.877:
	;; [unrolled: 3-line block ×3, first 2 shown]
	s_cmp_gt_i32 s14, 9
	s_cbranch_scc0 .LBB14_883
; %bb.879:
	global_load_dwordx2 v[2:3], v[0:1], off
	s_mov_b32 s14, 0
	s_waitcnt vmcnt(0)
	v_cvt_f32_f64_e32 v3, v[2:3]
	s_branch .LBB14_884
.LBB14_880:
                                        ; implicit-def: $vgpr3
	s_branch .LBB14_901
.LBB14_881:
                                        ; implicit-def: $vgpr3
	s_branch .LBB14_890
.LBB14_882:
	s_mov_b32 s14, -1
                                        ; implicit-def: $vgpr3
	s_branch .LBB14_887
.LBB14_883:
	s_mov_b32 s14, -1
                                        ; implicit-def: $vgpr3
.LBB14_884:
	s_andn2_b32 vcc_lo, exec_lo, s14
	s_cbranch_vccnz .LBB14_886
; %bb.885:
	global_load_dword v3, v[0:1], off
.LBB14_886:
	s_mov_b32 s14, 0
.LBB14_887:
	s_andn2_b32 vcc_lo, exec_lo, s14
	s_cbranch_vccnz .LBB14_889
; %bb.888:
	global_load_dword v2, v[0:1], off
	s_waitcnt vmcnt(0)
	v_cvt_f32_f16_e32 v3, v2
.LBB14_889:
	s_cbranch_execnz .LBB14_900
.LBB14_890:
	s_sext_i32_i16 s14, s6
	s_cmp_lt_i32 s14, 6
	s_cbranch_scc1 .LBB14_893
; %bb.891:
	s_cmp_gt_i32 s14, 6
	s_cbranch_scc0 .LBB14_894
; %bb.892:
	global_load_dwordx2 v[2:3], v[0:1], off
	s_mov_b32 s14, 0
	s_waitcnt vmcnt(0)
	v_cvt_f32_f64_e32 v3, v[2:3]
	s_branch .LBB14_895
.LBB14_893:
	s_mov_b32 s14, -1
                                        ; implicit-def: $vgpr3
	s_branch .LBB14_898
.LBB14_894:
	s_mov_b32 s14, -1
                                        ; implicit-def: $vgpr3
.LBB14_895:
	s_andn2_b32 vcc_lo, exec_lo, s14
	s_cbranch_vccnz .LBB14_897
; %bb.896:
	global_load_dword v3, v[0:1], off
.LBB14_897:
	s_mov_b32 s14, 0
.LBB14_898:
	s_andn2_b32 vcc_lo, exec_lo, s14
	s_cbranch_vccnz .LBB14_900
; %bb.899:
	global_load_ushort v2, v[0:1], off
	s_waitcnt vmcnt(0)
	v_cvt_f32_f16_e32 v3, v2
.LBB14_900:
	s_cbranch_execnz .LBB14_919
.LBB14_901:
	s_sext_i32_i16 s14, s6
	s_cmp_lt_i32 s14, 2
	s_cbranch_scc1 .LBB14_905
; %bb.902:
	s_cmp_lt_i32 s14, 3
	s_cbranch_scc1 .LBB14_906
; %bb.903:
	s_cmp_gt_i32 s14, 3
	s_cbranch_scc0 .LBB14_907
; %bb.904:
	global_load_dwordx2 v[2:3], v[0:1], off
	s_mov_b32 s14, 0
	s_waitcnt vmcnt(0)
	v_xor_b32_e32 v5, v2, v3
	v_ffbh_i32_e32 v6, v3
	v_ashrrev_i32_e32 v5, 31, v5
	v_add_nc_u32_e32 v6, -1, v6
	v_add_nc_u32_e32 v5, 32, v5
	v_min_u32_e32 v5, v6, v5
	v_lshlrev_b64 v[2:3], v5, v[2:3]
	v_min_u32_e32 v2, 1, v2
	v_or_b32_e32 v2, v3, v2
	v_sub_nc_u32_e32 v3, 32, v5
	v_cvt_f32_i32_e32 v2, v2
	v_ldexp_f32 v3, v2, v3
	s_branch .LBB14_908
.LBB14_905:
                                        ; implicit-def: $vgpr3
	s_branch .LBB14_914
.LBB14_906:
	s_mov_b32 s14, -1
                                        ; implicit-def: $vgpr3
	s_branch .LBB14_911
.LBB14_907:
	s_mov_b32 s14, -1
                                        ; implicit-def: $vgpr3
.LBB14_908:
	s_andn2_b32 vcc_lo, exec_lo, s14
	s_cbranch_vccnz .LBB14_910
; %bb.909:
	global_load_dword v2, v[0:1], off
	s_waitcnt vmcnt(0)
	v_cvt_f32_i32_e32 v3, v2
.LBB14_910:
	s_mov_b32 s14, 0
.LBB14_911:
	s_andn2_b32 vcc_lo, exec_lo, s14
	s_cbranch_vccnz .LBB14_913
; %bb.912:
	global_load_sshort v2, v[0:1], off
	s_waitcnt vmcnt(0)
	v_cvt_f32_i32_e32 v3, v2
.LBB14_913:
	s_cbranch_execnz .LBB14_919
.LBB14_914:
	s_sext_i32_i16 s14, s6
	s_cmp_gt_i32 s14, 0
	s_mov_b32 s14, 0
	s_cbranch_scc0 .LBB14_916
; %bb.915:
	global_load_sbyte v2, v[0:1], off
	s_waitcnt vmcnt(0)
	v_cvt_f32_i32_e32 v3, v2
	s_branch .LBB14_917
.LBB14_916:
	s_mov_b32 s14, -1
                                        ; implicit-def: $vgpr3
.LBB14_917:
	s_andn2_b32 vcc_lo, exec_lo, s14
	s_cbranch_vccnz .LBB14_919
; %bb.918:
	global_load_ubyte v0, v[0:1], off
	s_waitcnt vmcnt(0)
	v_cvt_f32_ubyte0_e32 v3, v0
.LBB14_919:
	s_or_b32 s0, s0, exec_lo
.LBB14_920:
	s_or_b32 exec_lo, exec_lo, s1
	s_mov_b32 s16, 0
	s_mov_b32 s15, 0
                                        ; implicit-def: $sgpr1
                                        ; implicit-def: $vgpr0_vgpr1
                                        ; implicit-def: $vgpr2
	s_and_saveexec_b32 s14, s0
	s_cbranch_execz .LBB14_999
; %bb.921:
	s_waitcnt vmcnt(0)
	v_and_b32_e32 v0, 0x7fffffff, v3
                                        ; implicit-def: $vgpr2
                                        ; implicit-def: $vgpr1
	s_mov_b32 s1, exec_lo
	v_cmpx_ngt_f32_e64 0x48000000, |v3|
	s_xor_b32 s15, exec_lo, s1
	s_cbranch_execz .LBB14_923
; %bb.922:
	s_mov_b32 s0, 0x7fffff
	v_mov_b32_e32 v6, 0
	v_and_or_b32 v13, v0, s0, 0x800000
	v_mad_u64_u32 v[1:2], null, 0xfe5163ab, v13, 0
	v_mov_b32_e32 v5, v2
	v_lshrrev_b32_e32 v2, 23, v0
	v_mad_u64_u32 v[7:8], null, 0x3c439041, v13, v[5:6]
	v_add_nc_u32_e32 v2, 0xffffff88, v2
	v_cmp_lt_u32_e32 vcc_lo, 63, v2
	v_mov_b32_e32 v5, v8
	v_cndmask_b32_e64 v12, 0, 0xffffffc0, vcc_lo
	v_mad_u64_u32 v[8:9], null, 0xdb629599, v13, v[5:6]
	v_add_nc_u32_e32 v2, v12, v2
	v_mov_b32_e32 v5, v9
	v_cmp_lt_u32_e64 s0, 31, v2
	v_cndmask_b32_e32 v1, v8, v1, vcc_lo
	v_mad_u64_u32 v[9:10], null, 0xf534ddc0, v13, v[5:6]
	v_cndmask_b32_e64 v14, 0, 0xffffffe0, s0
	v_add_nc_u32_e32 v2, v14, v2
	v_mov_b32_e32 v5, v10
	v_cndmask_b32_e32 v7, v9, v7, vcc_lo
	v_cmp_lt_u32_e64 s1, 31, v2
	v_mad_u64_u32 v[10:11], null, 0xfc2757d1, v13, v[5:6]
	v_cndmask_b32_e64 v1, v7, v1, s0
	v_mov_b32_e32 v5, v11
	v_mad_u64_u32 v[11:12], null, 0x4e441529, v13, v[5:6]
	v_mov_b32_e32 v5, v12
	v_cndmask_b32_e64 v12, 0, 0xffffffe0, s1
	v_mad_u64_u32 v[5:6], null, 0xa2f9836e, v13, v[5:6]
	v_cndmask_b32_e32 v13, v11, v9, vcc_lo
	v_add_nc_u32_e32 v2, v12, v2
	v_cndmask_b32_e32 v5, v5, v10, vcc_lo
	v_cndmask_b32_e32 v6, v6, v11, vcc_lo
	;; [unrolled: 1-line block ×3, first 2 shown]
	v_sub_nc_u32_e32 v11, 32, v2
	v_cmp_eq_u32_e32 vcc_lo, 0, v2
	v_cndmask_b32_e64 v9, v5, v13, s0
	v_cndmask_b32_e64 v5, v6, v5, s0
	;; [unrolled: 1-line block ×8, first 2 shown]
	v_alignbit_b32 v12, v5, v9, v11
	v_alignbit_b32 v8, v9, v6, v11
	;; [unrolled: 1-line block ×3, first 2 shown]
	v_cndmask_b32_e32 v2, v12, v5, vcc_lo
	v_cndmask_b32_e32 v5, v8, v9, vcc_lo
	;; [unrolled: 1-line block ×3, first 2 shown]
	v_bfe_u32 v7, v2, 29, 1
	v_alignbit_b32 v8, v2, v5, 30
	v_alignbit_b32 v5, v5, v6, 30
	;; [unrolled: 1-line block ×3, first 2 shown]
	v_sub_nc_u32_e32 v9, 0, v7
	v_xor_b32_e32 v8, v8, v9
	v_xor_b32_e32 v5, v5, v9
	;; [unrolled: 1-line block ×3, first 2 shown]
	v_lshrrev_b32_e32 v9, 29, v2
	v_lshrrev_b32_e32 v2, 30, v2
	v_ffbh_u32_e32 v10, v8
	v_add_nc_u32_e32 v2, v7, v2
	v_min_u32_e32 v10, 32, v10
	v_sub_nc_u32_e32 v6, 31, v10
	v_lshlrev_b32_e32 v11, 23, v10
	v_alignbit_b32 v8, v8, v5, v6
	v_alignbit_b32 v1, v5, v1, v6
	v_lshlrev_b32_e32 v5, 31, v9
	v_alignbit_b32 v6, v8, v1, 9
	v_or_b32_e32 v9, 0.5, v5
	v_lshrrev_b32_e32 v8, 9, v8
	v_or_b32_e32 v5, 0x33000000, v5
	v_ffbh_u32_e32 v12, v6
	v_sub_nc_u32_e32 v9, v9, v11
	v_min_u32_e32 v11, 32, v12
	v_or_b32_e32 v8, v8, v9
	v_not_b32_e32 v9, v11
	v_mul_f32_e32 v12, 0x3fc90fda, v8
	v_add_lshl_u32 v10, v11, v10, 23
	v_alignbit_b32 v1, v6, v1, v9
	v_fma_f32 v6, 0x3fc90fda, v8, -v12
	v_sub_nc_u32_e32 v5, v5, v10
	v_lshrrev_b32_e32 v1, 9, v1
	v_fmamk_f32 v6, v8, 0x33a22168, v6
	v_or_b32_e32 v1, v5, v1
	v_fmac_f32_e32 v6, 0x3fc90fda, v1
	v_add_f32_e32 v1, v12, v6
.LBB14_923:
	s_andn2_saveexec_b32 s0, s15
; %bb.924:
	v_mul_f32_e64 v1, 0x3f22f983, |v3|
	v_rndne_f32_e32 v2, v1
	v_fma_f32 v1, 0xbfc90fda, v2, |v3|
	v_fmamk_f32 v1, v2, 0xb3a22168, v1
	v_fmamk_f32 v1, v2, 0xa7c234c4, v1
	v_cvt_i32_f32_e32 v2, v2
; %bb.925:
	s_or_b32 exec_lo, exec_lo, s0
	v_mul_f32_e32 v5, v1, v1
	s_mov_b32 s0, 0xb94c1982
	s_mov_b32 s1, 0x37d75334
	v_and_b32_e32 v8, 1, v2
	v_mul_lo_u32 v4, v4, s2
	v_fmaak_f32 v6, s0, v5, 0x3c0881c4
	v_fmaak_f32 v7, s1, v5, 0xbab64f3b
	v_lshlrev_b32_e32 v2, 30, v2
	v_cmp_eq_u32_e32 vcc_lo, 0, v8
	v_xor_b32_e32 v0, v0, v3
	v_fmaak_f32 v6, v5, v6, 0xbe2aaa9d
	v_fmaak_f32 v7, v5, v7, 0x3d2aabf7
	v_and_b32_e32 v2, 0x80000000, v2
	s_and_b32 s1, s4, 0xff
	s_mov_b32 s17, 0
	v_mul_f32_e32 v6, v5, v6
	v_fmaak_f32 v7, v5, v7, 0xbf000004
	s_mov_b32 s16, -1
	s_cmp_lt_i32 s1, 11
	s_mov_b32 s0, s12
	v_fmac_f32_e32 v1, v1, v6
	v_fma_f32 v5, v5, v7, 1.0
	v_cndmask_b32_e32 v1, v5, v1, vcc_lo
	v_ashrrev_i32_e32 v5, 31, v4
	v_xor3_b32 v2, v0, v2, v1
	v_add_co_u32 v0, vcc_lo, s8, v4
	v_add_co_ci_u32_e64 v1, null, s9, v5, vcc_lo
	v_cmp_class_f32_e64 vcc_lo, v3, 0x1f8
	v_cndmask_b32_e32 v2, 0x7fc00000, v2, vcc_lo
	s_cbranch_scc1 .LBB14_1003
; %bb.926:
	s_and_b32 s15, 0xffff, s1
	s_mov_b32 s0, s12
	s_cmp_gt_i32 s15, 25
	s_cbranch_scc0 .LBB14_959
; %bb.927:
	s_cmp_gt_i32 s15, 28
	s_mov_b32 s0, s12
	s_cbranch_scc0 .LBB14_943
; %bb.928:
	s_cmp_gt_i32 s15, 43
	s_mov_b32 s0, s12
	;; [unrolled: 4-line block ×3, first 2 shown]
	s_cbranch_scc0 .LBB14_933
; %bb.930:
	s_cmp_eq_u32 s15, 46
	s_mov_b32 s0, -1
	s_cbranch_scc0 .LBB14_932
; %bb.931:
	v_bfe_u32 v3, v2, 16, 1
	v_cmp_o_f32_e32 vcc_lo, v2, v2
	v_mov_b32_e32 v4, 0x7fc0
	s_mov_b32 s0, 0
	v_add3_u32 v3, v2, v3, 0x7fff
	v_cndmask_b32_sdwa v3, v4, v3, vcc_lo dst_sel:DWORD dst_unused:UNUSED_PAD src0_sel:DWORD src1_sel:WORD_1
	global_store_dword v[0:1], v3, off
.LBB14_932:
	s_mov_b32 s16, 0
.LBB14_933:
	s_and_b32 vcc_lo, exec_lo, s16
	s_cbranch_vccz .LBB14_938
; %bb.934:
	s_cmp_eq_u32 s15, 44
	s_mov_b32 s0, -1
	s_cbranch_scc0 .LBB14_938
; %bb.935:
	v_bfe_u32 v4, v2, 23, 8
	v_mov_b32_e32 v3, 0xff
	s_mov_b32 s16, exec_lo
	v_cmpx_ne_u32_e32 0xff, v4
	s_cbranch_execz .LBB14_937
; %bb.936:
	v_and_b32_e32 v3, 0x400000, v2
	v_and_or_b32 v4, 0x3fffff, v2, v4
	v_cmp_ne_u32_e32 vcc_lo, 0, v3
	v_cmp_ne_u32_e64 s0, 0, v4
	v_lshrrev_b32_e32 v3, 23, v2
	s_and_b32 s0, vcc_lo, s0
	v_cndmask_b32_e64 v4, 0, 1, s0
	v_add_nc_u32_e32 v3, v3, v4
.LBB14_937:
	s_or_b32 exec_lo, exec_lo, s16
	s_mov_b32 s0, 0
	global_store_byte v[0:1], v3, off
.LBB14_938:
	s_mov_b32 s16, 0
.LBB14_939:
	s_and_b32 vcc_lo, exec_lo, s16
	s_cbranch_vccz .LBB14_942
; %bb.940:
	s_cmp_eq_u32 s15, 29
	s_mov_b32 s0, -1
	s_cbranch_scc0 .LBB14_942
; %bb.941:
	v_trunc_f32_e32 v3, v2
	s_mov_b32 s0, 0
	v_mul_f32_e32 v4, 0x2f800000, v3
	v_floor_f32_e32 v4, v4
	v_fmamk_f32 v3, v4, 0xcf800000, v3
	v_cvt_u32_f32_e32 v4, v4
	v_cvt_u32_f32_e32 v3, v3
	global_store_dwordx2 v[0:1], v[3:4], off
.LBB14_942:
	s_mov_b32 s16, 0
.LBB14_943:
	s_and_b32 vcc_lo, exec_lo, s16
	s_cbranch_vccz .LBB14_958
; %bb.944:
	s_cmp_lt_i32 s15, 27
	s_mov_b32 s16, -1
	s_cbranch_scc1 .LBB14_950
; %bb.945:
	v_cvt_u32_f32_e32 v3, v2
	s_cmp_gt_i32 s15, 27
	s_cbranch_scc0 .LBB14_947
; %bb.946:
	s_mov_b32 s16, 0
	global_store_dword v[0:1], v3, off
.LBB14_947:
	s_andn2_b32 vcc_lo, exec_lo, s16
	s_cbranch_vccnz .LBB14_949
; %bb.948:
	global_store_short v[0:1], v3, off
.LBB14_949:
	s_mov_b32 s16, 0
.LBB14_950:
	s_andn2_b32 vcc_lo, exec_lo, s16
	s_cbranch_vccnz .LBB14_958
; %bb.951:
	v_and_b32_e32 v3, 0x7fffffff, v2
	v_mov_b32_e32 v4, 0x80
	s_mov_b32 s16, exec_lo
	v_cmpx_gt_u32_e32 0x43800000, v3
	s_cbranch_execz .LBB14_957
; %bb.952:
	v_cmp_lt_u32_e32 vcc_lo, 0x3bffffff, v3
                                        ; implicit-def: $vgpr3
	s_and_saveexec_b32 s18, vcc_lo
	s_xor_b32 s18, exec_lo, s18
	s_cbranch_execz .LBB14_1058
; %bb.953:
	v_bfe_u32 v3, v2, 20, 1
	s_mov_b32 s17, exec_lo
	v_add3_u32 v3, v2, v3, 0x487ffff
	v_lshrrev_b32_e32 v3, 20, v3
	s_andn2_saveexec_b32 s18, s18
	s_cbranch_execnz .LBB14_1059
.LBB14_954:
	s_or_b32 exec_lo, exec_lo, s18
	v_mov_b32_e32 v4, 0
	s_and_saveexec_b32 s18, s17
.LBB14_955:
	v_lshrrev_b32_e32 v4, 24, v2
	v_and_or_b32 v4, 0x80, v4, v3
.LBB14_956:
	s_or_b32 exec_lo, exec_lo, s18
.LBB14_957:
	s_or_b32 exec_lo, exec_lo, s16
	global_store_byte v[0:1], v4, off
.LBB14_958:
	s_mov_b32 s16, 0
.LBB14_959:
	s_and_b32 vcc_lo, exec_lo, s16
	s_mov_b32 s16, 0
	s_cbranch_vccz .LBB14_1002
; %bb.960:
	s_cmp_gt_i32 s15, 22
	s_mov_b32 s17, -1
	s_cbranch_scc0 .LBB14_992
; %bb.961:
	s_cmp_lt_i32 s15, 24
	s_cbranch_scc1 .LBB14_981
; %bb.962:
	s_cmp_gt_i32 s15, 24
	s_cbranch_scc0 .LBB14_970
; %bb.963:
	v_and_b32_e32 v3, 0x7fffffff, v2
	v_mov_b32_e32 v4, 0x80
	s_mov_b32 s17, exec_lo
	v_cmpx_gt_u32_e32 0x47800000, v3
	s_cbranch_execz .LBB14_969
; %bb.964:
	v_cmp_lt_u32_e32 vcc_lo, 0x37ffffff, v3
	s_mov_b32 s18, 0
                                        ; implicit-def: $vgpr3
	s_and_saveexec_b32 s19, vcc_lo
	s_xor_b32 s19, exec_lo, s19
	s_cbranch_execz .LBB14_1188
; %bb.965:
	v_bfe_u32 v3, v2, 21, 1
	s_mov_b32 s18, exec_lo
	v_add3_u32 v3, v2, v3, 0x88fffff
	v_lshrrev_b32_e32 v3, 21, v3
	s_andn2_saveexec_b32 s19, s19
	s_cbranch_execnz .LBB14_1189
.LBB14_966:
	s_or_b32 exec_lo, exec_lo, s19
	v_mov_b32_e32 v4, 0
	s_and_saveexec_b32 s19, s18
.LBB14_967:
	v_lshrrev_b32_e32 v4, 24, v2
	v_and_or_b32 v4, 0x80, v4, v3
.LBB14_968:
	s_or_b32 exec_lo, exec_lo, s19
.LBB14_969:
	s_or_b32 exec_lo, exec_lo, s17
	s_mov_b32 s17, 0
	global_store_byte v[0:1], v4, off
.LBB14_970:
	s_and_b32 vcc_lo, exec_lo, s17
	s_cbranch_vccz .LBB14_980
; %bb.971:
	v_and_b32_e32 v4, 0x7fffffff, v2
	s_mov_b32 s17, exec_lo
                                        ; implicit-def: $vgpr3
	v_cmpx_gt_u32_e32 0x43f00000, v4
	s_xor_b32 s17, exec_lo, s17
	s_cbranch_execz .LBB14_977
; %bb.972:
	s_mov_b32 s18, exec_lo
                                        ; implicit-def: $vgpr3
	v_cmpx_lt_u32_e32 0x3c7fffff, v4
	s_xor_b32 s18, exec_lo, s18
; %bb.973:
	v_bfe_u32 v3, v2, 20, 1
	v_add3_u32 v3, v2, v3, 0x407ffff
	v_and_b32_e32 v4, 0xff00000, v3
	v_lshrrev_b32_e32 v3, 20, v3
	v_cmp_ne_u32_e32 vcc_lo, 0x7f00000, v4
	v_cndmask_b32_e32 v3, 0x7e, v3, vcc_lo
; %bb.974:
	s_andn2_saveexec_b32 s18, s18
; %bb.975:
	v_add_f32_e64 v3, 0x46800000, |v2|
; %bb.976:
	s_or_b32 exec_lo, exec_lo, s18
                                        ; implicit-def: $vgpr4
.LBB14_977:
	s_andn2_saveexec_b32 s17, s17
; %bb.978:
	v_mov_b32_e32 v3, 0x7f
	v_cmp_lt_u32_e32 vcc_lo, 0x7f800000, v4
	v_cndmask_b32_e32 v3, 0x7e, v3, vcc_lo
; %bb.979:
	s_or_b32 exec_lo, exec_lo, s17
	v_lshrrev_b32_e32 v4, 24, v2
	v_and_or_b32 v3, 0x80, v4, v3
	global_store_byte v[0:1], v3, off
.LBB14_980:
	s_mov_b32 s17, 0
.LBB14_981:
	s_andn2_b32 vcc_lo, exec_lo, s17
	s_cbranch_vccnz .LBB14_991
; %bb.982:
	v_and_b32_e32 v4, 0x7fffffff, v2
	s_mov_b32 s17, exec_lo
                                        ; implicit-def: $vgpr3
	v_cmpx_gt_u32_e32 0x47800000, v4
	s_xor_b32 s17, exec_lo, s17
	s_cbranch_execz .LBB14_988
; %bb.983:
	s_mov_b32 s18, exec_lo
                                        ; implicit-def: $vgpr3
	v_cmpx_lt_u32_e32 0x387fffff, v4
	s_xor_b32 s18, exec_lo, s18
; %bb.984:
	v_bfe_u32 v3, v2, 21, 1
	v_add3_u32 v3, v2, v3, 0x80fffff
	v_lshrrev_b32_e32 v3, 21, v3
; %bb.985:
	s_andn2_saveexec_b32 s18, s18
; %bb.986:
	v_add_f32_e64 v3, 0x43000000, |v2|
; %bb.987:
	s_or_b32 exec_lo, exec_lo, s18
                                        ; implicit-def: $vgpr4
.LBB14_988:
	s_andn2_saveexec_b32 s17, s17
; %bb.989:
	v_mov_b32_e32 v3, 0x7f
	v_cmp_lt_u32_e32 vcc_lo, 0x7f800000, v4
	v_cndmask_b32_e32 v3, 0x7c, v3, vcc_lo
; %bb.990:
	s_or_b32 exec_lo, exec_lo, s17
	v_lshrrev_b32_e32 v4, 24, v2
	v_and_or_b32 v3, 0x80, v4, v3
	global_store_byte v[0:1], v3, off
.LBB14_991:
	s_mov_b32 s17, 0
.LBB14_992:
	s_andn2_b32 vcc_lo, exec_lo, s17
	s_mov_b32 s17, 0
	s_cbranch_vccnz .LBB14_1003
; %bb.993:
	s_cmp_gt_i32 s15, 14
	s_mov_b32 s17, -1
	s_cbranch_scc0 .LBB14_997
; %bb.994:
	s_cmp_eq_u32 s15, 15
	s_mov_b32 s0, -1
	s_cbranch_scc0 .LBB14_996
; %bb.995:
	v_bfe_u32 v3, v2, 16, 1
	v_cmp_o_f32_e32 vcc_lo, v2, v2
	v_mov_b32_e32 v4, 0x7fc0
	s_mov_b32 s0, 0
	v_add3_u32 v3, v2, v3, 0x7fff
	v_cndmask_b32_sdwa v3, v4, v3, vcc_lo dst_sel:DWORD dst_unused:UNUSED_PAD src0_sel:DWORD src1_sel:WORD_1
	global_store_short v[0:1], v3, off
.LBB14_996:
	s_mov_b32 s17, 0
.LBB14_997:
	s_and_b32 vcc_lo, exec_lo, s17
	s_mov_b32 s17, 0
	s_cbranch_vccz .LBB14_1003
; %bb.998:
	s_cmp_lg_u32 s15, 11
	s_mov_b32 s17, -1
	s_cselect_b32 s15, -1, 0
	s_andn2_b32 s0, s0, exec_lo
	s_and_b32 s15, s15, exec_lo
	s_or_b32 s0, s0, s15
	s_branch .LBB14_1003
.LBB14_999:
	s_or_b32 exec_lo, exec_lo, s14
	s_and_saveexec_b32 s0, s12
	s_cbranch_execnz .LBB14_1004
.LBB14_1000:
	s_or_b32 exec_lo, exec_lo, s0
	s_and_saveexec_b32 s0, s16
	s_xor_b32 s0, exec_lo, s0
	s_cbranch_execz .LBB14_1005
.LBB14_1001:
	s_waitcnt vmcnt(0)
	v_cmp_neq_f32_e32 vcc_lo, 0, v2
	v_cndmask_b32_e64 v3, 0, 1, vcc_lo
	global_store_byte v[0:1], v3, off
	s_or_b32 exec_lo, exec_lo, s0
	s_and_saveexec_b32 s0, s15
	s_xor_b32 s0, exec_lo, s0
	s_cbranch_execz .LBB14_1043
	s_branch .LBB14_1006
.LBB14_1002:
	s_mov_b32 s17, 0
.LBB14_1003:
	s_andn2_b32 s12, s12, exec_lo
	s_and_b32 s0, s0, exec_lo
	s_and_b32 s15, s16, exec_lo
	;; [unrolled: 1-line block ×3, first 2 shown]
	s_or_b32 s12, s12, s0
	s_or_b32 exec_lo, exec_lo, s14
	s_and_saveexec_b32 s0, s12
	s_cbranch_execz .LBB14_1000
.LBB14_1004:
	s_or_b32 s13, s13, exec_lo
	s_andn2_b32 s16, s16, exec_lo
	s_trap 2
	s_or_b32 exec_lo, exec_lo, s0
	s_and_saveexec_b32 s0, s16
	s_xor_b32 s0, exec_lo, s0
	s_cbranch_execnz .LBB14_1001
.LBB14_1005:
	s_or_b32 exec_lo, exec_lo, s0
	s_and_saveexec_b32 s0, s15
	s_xor_b32 s0, exec_lo, s0
	s_cbranch_execz .LBB14_1043
.LBB14_1006:
	s_sext_i32_i16 s14, s1
	s_mov_b32 s12, -1
	s_cmp_lt_i32 s14, 5
	s_cbranch_scc1 .LBB14_1027
; %bb.1007:
	s_cmp_lt_i32 s14, 8
	s_cbranch_scc1 .LBB14_1017
; %bb.1008:
	;; [unrolled: 3-line block ×3, first 2 shown]
	s_cmp_gt_i32 s14, 9
	s_cbranch_scc0 .LBB14_1011
; %bb.1010:
	s_waitcnt vmcnt(0)
	v_cvt_f64_f32_e32 v[3:4], v2
	v_mov_b32_e32 v5, 0
	s_mov_b32 s12, 0
	v_mov_b32_e32 v6, v5
	global_store_dwordx4 v[0:1], v[3:6], off
.LBB14_1011:
	s_andn2_b32 vcc_lo, exec_lo, s12
	s_cbranch_vccnz .LBB14_1013
; %bb.1012:
	s_waitcnt vmcnt(0)
	v_mov_b32_e32 v3, 0
	global_store_dwordx2 v[0:1], v[2:3], off
.LBB14_1013:
	s_mov_b32 s12, 0
.LBB14_1014:
	s_andn2_b32 vcc_lo, exec_lo, s12
	s_cbranch_vccnz .LBB14_1016
; %bb.1015:
	s_waitcnt vmcnt(0)
	v_cvt_f16_f32_e32 v3, v2
	v_and_b32_e32 v3, 0xffff, v3
	global_store_dword v[0:1], v3, off
.LBB14_1016:
	s_mov_b32 s12, 0
.LBB14_1017:
	s_andn2_b32 vcc_lo, exec_lo, s12
	s_cbranch_vccnz .LBB14_1026
; %bb.1018:
	s_sext_i32_i16 s14, s1
	s_mov_b32 s12, -1
	s_cmp_lt_i32 s14, 6
	s_cbranch_scc1 .LBB14_1024
; %bb.1019:
	s_cmp_gt_i32 s14, 6
	s_cbranch_scc0 .LBB14_1021
; %bb.1020:
	s_waitcnt vmcnt(0)
	v_cvt_f64_f32_e32 v[3:4], v2
	s_mov_b32 s12, 0
	global_store_dwordx2 v[0:1], v[3:4], off
.LBB14_1021:
	s_andn2_b32 vcc_lo, exec_lo, s12
	s_cbranch_vccnz .LBB14_1023
; %bb.1022:
	s_waitcnt vmcnt(0)
	global_store_dword v[0:1], v2, off
.LBB14_1023:
	s_mov_b32 s12, 0
.LBB14_1024:
	s_andn2_b32 vcc_lo, exec_lo, s12
	s_cbranch_vccnz .LBB14_1026
; %bb.1025:
	s_waitcnt vmcnt(0)
	v_cvt_f16_f32_e32 v3, v2
	global_store_short v[0:1], v3, off
.LBB14_1026:
	s_mov_b32 s12, 0
.LBB14_1027:
	s_andn2_b32 vcc_lo, exec_lo, s12
	s_cbranch_vccnz .LBB14_1043
; %bb.1028:
	s_sext_i32_i16 s14, s1
	s_mov_b32 s12, -1
	s_cmp_lt_i32 s14, 2
	s_cbranch_scc1 .LBB14_1038
; %bb.1029:
	s_cmp_lt_i32 s14, 3
	s_cbranch_scc1 .LBB14_1035
; %bb.1030:
	s_cmp_gt_i32 s14, 3
	s_cbranch_scc0 .LBB14_1032
; %bb.1031:
	s_waitcnt vmcnt(0)
	v_trunc_f32_e32 v3, v2
	s_mov_b32 s12, 0
	v_mul_f32_e64 v4, 0x2f800000, |v3|
	v_ashrrev_i32_e32 v6, 31, v3
	v_floor_f32_e32 v4, v4
	v_fma_f32 v5, 0xcf800000, v4, |v3|
	v_cvt_u32_f32_e32 v4, v4
	v_cvt_u32_f32_e32 v3, v5
	v_xor_b32_e32 v4, v4, v6
	v_xor_b32_e32 v3, v3, v6
	v_sub_co_u32 v3, vcc_lo, v3, v6
	v_sub_co_ci_u32_e64 v4, null, v4, v6, vcc_lo
	global_store_dwordx2 v[0:1], v[3:4], off
.LBB14_1032:
	s_andn2_b32 vcc_lo, exec_lo, s12
	s_cbranch_vccnz .LBB14_1034
; %bb.1033:
	s_waitcnt vmcnt(0)
	v_cvt_i32_f32_e32 v3, v2
	global_store_dword v[0:1], v3, off
.LBB14_1034:
	s_mov_b32 s12, 0
.LBB14_1035:
	s_andn2_b32 vcc_lo, exec_lo, s12
	s_cbranch_vccnz .LBB14_1037
; %bb.1036:
	s_waitcnt vmcnt(0)
	v_cvt_i32_f32_e32 v3, v2
	global_store_short v[0:1], v3, off
.LBB14_1037:
	s_mov_b32 s12, 0
.LBB14_1038:
	s_andn2_b32 vcc_lo, exec_lo, s12
	s_cbranch_vccnz .LBB14_1043
; %bb.1039:
	s_sext_i32_i16 s1, s1
	s_cmp_gt_i32 s1, 0
	s_mov_b32 s1, -1
	s_cbranch_scc0 .LBB14_1041
; %bb.1040:
	s_waitcnt vmcnt(0)
	v_cvt_i32_f32_e32 v3, v2
	s_mov_b32 s1, 0
	global_store_byte v[0:1], v3, off
.LBB14_1041:
	s_andn2_b32 vcc_lo, exec_lo, s1
	s_cbranch_vccnz .LBB14_1043
; %bb.1042:
	s_waitcnt vmcnt(0)
	v_trunc_f32_e32 v2, v2
	v_mul_f32_e64 v3, 0x2f800000, |v2|
	v_floor_f32_e32 v3, v3
	v_fma_f32 v3, 0xcf800000, v3, |v2|
	v_ashrrev_i32_e32 v2, 31, v2
	v_cvt_u32_f32_e32 v3, v3
	v_xor_b32_e32 v3, v3, v2
	v_sub_nc_u32_e32 v2, v3, v2
	global_store_byte v[0:1], v2, off
.LBB14_1043:
	s_or_b32 exec_lo, exec_lo, s0
	s_and_b32 s12, s13, exec_lo
                                        ; implicit-def: $vgpr4
.LBB14_1044:
	s_or_saveexec_b32 s7, s7
	s_mov_b32 s0, 0
                                        ; implicit-def: $sgpr1
                                        ; implicit-def: $vgpr0_vgpr1
                                        ; implicit-def: $vgpr2
	s_xor_b32 exec_lo, exec_lo, s7
	s_cbranch_execz .LBB14_2009
; %bb.1045:
	v_mul_lo_u32 v5, s3, v4
	s_and_b32 s6, 0xffff, s6
	s_cmp_lt_i32 s6, 11
	v_ashrrev_i32_e32 v1, 31, v5
	v_add_co_u32 v0, vcc_lo, s10, v5
	v_add_co_ci_u32_e64 v1, null, s11, v1, vcc_lo
	s_cbranch_scc1 .LBB14_1052
; %bb.1046:
	s_cmp_gt_i32 s6, 25
	s_mov_b32 s1, 0
	s_cbranch_scc0 .LBB14_1054
; %bb.1047:
	s_cmp_gt_i32 s6, 28
	s_cbranch_scc0 .LBB14_1055
; %bb.1048:
	s_cmp_gt_i32 s6, 43
	;; [unrolled: 3-line block ×3, first 2 shown]
	s_cbranch_scc0 .LBB14_1057
; %bb.1050:
	s_cmp_eq_u32 s6, 46
	s_cbranch_scc0 .LBB14_1060
; %bb.1051:
	global_load_dword v2, v[0:1], off
	s_mov_b32 s13, -1
	s_waitcnt vmcnt(0)
	v_lshlrev_b32_e32 v2, 16, v2
	s_branch .LBB14_1062
.LBB14_1052:
	s_mov_b32 s13, 0
	s_mov_b32 s5, s12
                                        ; implicit-def: $vgpr2
	s_cbranch_execnz .LBB14_1125
.LBB14_1053:
	s_andn2_b32 vcc_lo, exec_lo, s13
	s_cbranch_vccz .LBB14_1170
	s_branch .LBB14_2007
.LBB14_1054:
	s_mov_b32 s13, 0
                                        ; implicit-def: $vgpr2
	s_cbranch_execnz .LBB14_1090
	s_branch .LBB14_1121
.LBB14_1055:
	s_mov_b32 s5, -1
	s_mov_b32 s13, 0
                                        ; implicit-def: $vgpr2
	s_branch .LBB14_1071
.LBB14_1056:
	s_mov_b32 s13, 0
                                        ; implicit-def: $vgpr2
	s_cbranch_execnz .LBB14_1067
	s_branch .LBB14_1070
.LBB14_1057:
	s_mov_b32 s5, -1
	s_branch .LBB14_1061
.LBB14_1058:
	s_andn2_saveexec_b32 s18, s18
	s_cbranch_execz .LBB14_954
.LBB14_1059:
	v_add_f32_e64 v3, 0x46000000, |v2|
	s_andn2_b32 s17, s17, exec_lo
	v_and_b32_e32 v3, 0xff, v3
	v_cmp_ne_u32_e32 vcc_lo, 0, v3
	s_and_b32 s19, vcc_lo, exec_lo
	s_or_b32 s17, s17, s19
	s_or_b32 exec_lo, exec_lo, s18
	v_mov_b32_e32 v4, 0
	s_and_saveexec_b32 s18, s17
	s_cbranch_execnz .LBB14_955
	s_branch .LBB14_956
.LBB14_1060:
	s_mov_b32 s0, -1
.LBB14_1061:
	s_mov_b32 s13, 0
                                        ; implicit-def: $vgpr2
.LBB14_1062:
	s_and_b32 vcc_lo, exec_lo, s5
	s_cbranch_vccz .LBB14_1065
; %bb.1063:
	s_cmp_eq_u32 s6, 44
	s_cbranch_scc0 .LBB14_1066
; %bb.1064:
	global_load_ubyte v2, v[0:1], off
	s_mov_b32 s0, 0
	s_mov_b32 s13, -1
	s_waitcnt vmcnt(0)
	v_lshlrev_b32_e32 v3, 23, v2
	v_cmp_ne_u32_e32 vcc_lo, 0xff, v2
	v_cndmask_b32_e32 v3, 0x7f800001, v3, vcc_lo
	v_cmp_ne_u32_e32 vcc_lo, 0, v2
	v_cndmask_b32_e32 v2, 0x400000, v3, vcc_lo
.LBB14_1065:
	s_branch .LBB14_1070
.LBB14_1066:
	s_mov_b32 s0, -1
                                        ; implicit-def: $vgpr2
	s_branch .LBB14_1070
.LBB14_1067:
	s_cmp_eq_u32 s6, 29
	s_cbranch_scc0 .LBB14_1069
; %bb.1068:
	global_load_dwordx2 v[2:3], v[0:1], off
	s_mov_b32 s0, 0
	s_mov_b32 s13, -1
	s_mov_b32 s5, 0
	s_waitcnt vmcnt(0)
	v_ffbh_u32_e32 v6, v3
	v_min_u32_e32 v6, 32, v6
	v_lshlrev_b64 v[2:3], v6, v[2:3]
	v_min_u32_e32 v2, 1, v2
	v_or_b32_e32 v2, v3, v2
	v_sub_nc_u32_e32 v3, 32, v6
	v_cvt_f32_u32_e32 v2, v2
	v_ldexp_f32 v2, v2, v3
	s_branch .LBB14_1071
.LBB14_1069:
	s_mov_b32 s0, -1
                                        ; implicit-def: $vgpr2
.LBB14_1070:
	s_mov_b32 s5, 0
.LBB14_1071:
	s_and_b32 vcc_lo, exec_lo, s5
	s_cbranch_vccz .LBB14_1089
; %bb.1072:
	s_cmp_lt_i32 s6, 27
	s_cbranch_scc1 .LBB14_1075
; %bb.1073:
	s_cmp_gt_i32 s6, 27
	s_cbranch_scc0 .LBB14_1076
; %bb.1074:
	global_load_dword v2, v[0:1], off
	s_mov_b32 s5, 0
	s_waitcnt vmcnt(0)
	v_cvt_f32_u32_e32 v2, v2
	s_branch .LBB14_1077
.LBB14_1075:
	s_mov_b32 s5, -1
                                        ; implicit-def: $vgpr2
	s_branch .LBB14_1080
.LBB14_1076:
	s_mov_b32 s5, -1
                                        ; implicit-def: $vgpr2
.LBB14_1077:
	s_andn2_b32 vcc_lo, exec_lo, s5
	s_cbranch_vccnz .LBB14_1079
; %bb.1078:
	global_load_ushort v2, v[0:1], off
	s_waitcnt vmcnt(0)
	v_cvt_f32_u32_e32 v2, v2
.LBB14_1079:
	s_mov_b32 s5, 0
.LBB14_1080:
	s_andn2_b32 vcc_lo, exec_lo, s5
	s_cbranch_vccnz .LBB14_1088
; %bb.1081:
	global_load_ubyte v3, v[0:1], off
	s_mov_b32 s5, 0
	s_mov_b32 s13, exec_lo
	s_waitcnt vmcnt(0)
	v_cmpx_lt_i16_e32 0x7f, v3
	s_xor_b32 s13, exec_lo, s13
	s_cbranch_execz .LBB14_1101
; %bb.1082:
	s_mov_b32 s5, -1
	s_mov_b32 s14, exec_lo
	v_cmpx_eq_u16_e32 0x80, v3
; %bb.1083:
	s_xor_b32 s5, exec_lo, -1
; %bb.1084:
	s_or_b32 exec_lo, exec_lo, s14
	s_and_b32 s5, s5, exec_lo
	s_or_saveexec_b32 s13, s13
	v_mov_b32_e32 v2, 0x7f800001
	s_xor_b32 exec_lo, exec_lo, s13
	s_cbranch_execnz .LBB14_1102
.LBB14_1085:
	s_or_b32 exec_lo, exec_lo, s13
	s_and_saveexec_b32 s13, s5
	s_cbranch_execz .LBB14_1087
.LBB14_1086:
	v_and_b32_e32 v2, 0xffff, v3
	v_lshlrev_b32_e32 v3, 24, v3
	v_and_b32_e32 v6, 7, v2
	v_bfe_u32 v9, v2, 3, 4
	v_and_b32_e32 v3, 0x80000000, v3
	v_ffbh_u32_e32 v7, v6
	v_cmp_eq_u32_e32 vcc_lo, 0, v9
	v_min_u32_e32 v7, 32, v7
	v_subrev_nc_u32_e32 v8, 28, v7
	v_sub_nc_u32_e32 v7, 29, v7
	v_lshlrev_b32_e32 v2, v8, v2
	v_cndmask_b32_e32 v7, v9, v7, vcc_lo
	v_and_b32_e32 v2, 7, v2
	v_cndmask_b32_e32 v2, v6, v2, vcc_lo
	v_lshl_add_u32 v6, v7, 23, 0x3b800000
	v_lshlrev_b32_e32 v2, 20, v2
	v_or3_b32 v2, v3, v6, v2
.LBB14_1087:
	s_or_b32 exec_lo, exec_lo, s13
.LBB14_1088:
	s_mov_b32 s13, -1
.LBB14_1089:
	s_branch .LBB14_1121
.LBB14_1090:
	s_cmp_gt_i32 s6, 22
	s_cbranch_scc0 .LBB14_1100
; %bb.1091:
	s_cmp_lt_i32 s6, 24
	s_cbranch_scc1 .LBB14_1103
; %bb.1092:
	s_cmp_gt_i32 s6, 24
	s_cbranch_scc0 .LBB14_1104
; %bb.1093:
	global_load_ubyte v3, v[0:1], off
	s_mov_b32 s5, exec_lo
	s_waitcnt vmcnt(0)
	v_cmpx_lt_i16_e32 0x7f, v3
	s_xor_b32 s5, exec_lo, s5
	s_cbranch_execz .LBB14_1115
; %bb.1094:
	s_mov_b32 s1, -1
	s_mov_b32 s13, exec_lo
	v_cmpx_eq_u16_e32 0x80, v3
; %bb.1095:
	s_xor_b32 s1, exec_lo, -1
; %bb.1096:
	s_or_b32 exec_lo, exec_lo, s13
	s_and_b32 s1, s1, exec_lo
	s_or_saveexec_b32 s5, s5
	v_mov_b32_e32 v2, 0x7f800001
	s_xor_b32 exec_lo, exec_lo, s5
	s_cbranch_execnz .LBB14_1116
.LBB14_1097:
	s_or_b32 exec_lo, exec_lo, s5
	s_and_saveexec_b32 s5, s1
	s_cbranch_execz .LBB14_1099
.LBB14_1098:
	v_and_b32_e32 v2, 0xffff, v3
	v_lshlrev_b32_e32 v3, 24, v3
	v_and_b32_e32 v6, 3, v2
	v_bfe_u32 v9, v2, 2, 5
	v_and_b32_e32 v3, 0x80000000, v3
	v_ffbh_u32_e32 v7, v6
	v_cmp_eq_u32_e32 vcc_lo, 0, v9
	v_min_u32_e32 v7, 32, v7
	v_subrev_nc_u32_e32 v8, 29, v7
	v_sub_nc_u32_e32 v7, 30, v7
	v_lshlrev_b32_e32 v2, v8, v2
	v_cndmask_b32_e32 v7, v9, v7, vcc_lo
	v_and_b32_e32 v2, 3, v2
	v_cndmask_b32_e32 v2, v6, v2, vcc_lo
	v_lshl_add_u32 v6, v7, 23, 0x37800000
	v_lshlrev_b32_e32 v2, 21, v2
	v_or3_b32 v2, v3, v6, v2
.LBB14_1099:
	s_or_b32 exec_lo, exec_lo, s5
	s_mov_b32 s1, 0
	s_branch .LBB14_1105
.LBB14_1100:
                                        ; implicit-def: $vgpr2
	s_mov_b32 s1, 0
	s_branch .LBB14_1111
.LBB14_1101:
	s_or_saveexec_b32 s13, s13
	v_mov_b32_e32 v2, 0x7f800001
	s_xor_b32 exec_lo, exec_lo, s13
	s_cbranch_execz .LBB14_1085
.LBB14_1102:
	v_cmp_ne_u16_e32 vcc_lo, 0, v3
	v_mov_b32_e32 v2, 0
	s_andn2_b32 s5, s5, exec_lo
	s_and_b32 s14, vcc_lo, exec_lo
	s_or_b32 s5, s5, s14
	s_or_b32 exec_lo, exec_lo, s13
	s_and_saveexec_b32 s13, s5
	s_cbranch_execnz .LBB14_1086
	s_branch .LBB14_1087
.LBB14_1103:
	s_mov_b32 s1, -1
                                        ; implicit-def: $vgpr2
	s_branch .LBB14_1108
.LBB14_1104:
	s_mov_b32 s1, -1
                                        ; implicit-def: $vgpr2
.LBB14_1105:
	s_and_b32 vcc_lo, exec_lo, s1
	s_cbranch_vccz .LBB14_1107
; %bb.1106:
	global_load_ubyte v2, v[0:1], off
	s_waitcnt vmcnt(0)
	v_lshlrev_b32_e32 v2, 24, v2
	v_and_b32_e32 v3, 0x7f000000, v2
	v_ffbh_u32_e32 v6, v3
	v_add_nc_u32_e32 v8, 0x1000000, v3
	v_cmp_ne_u32_e32 vcc_lo, 0, v3
	v_min_u32_e32 v6, 32, v6
	v_sub_nc_u32_e64 v6, v6, 4 clamp
	v_lshlrev_b32_e32 v7, v6, v3
	v_lshlrev_b32_e32 v6, 23, v6
	v_lshrrev_b32_e32 v7, 4, v7
	v_sub_nc_u32_e32 v6, v7, v6
	v_ashrrev_i32_e32 v7, 8, v8
	v_add_nc_u32_e32 v6, 0x3c000000, v6
	v_and_or_b32 v6, 0x7f800000, v7, v6
	v_cndmask_b32_e32 v3, 0, v6, vcc_lo
	v_and_or_b32 v2, 0x80000000, v2, v3
.LBB14_1107:
	s_mov_b32 s1, 0
.LBB14_1108:
	s_andn2_b32 vcc_lo, exec_lo, s1
	s_cbranch_vccnz .LBB14_1110
; %bb.1109:
	global_load_ubyte v2, v[0:1], off
	s_waitcnt vmcnt(0)
	v_lshlrev_b32_e32 v3, 25, v2
	v_lshlrev_b16 v2, 8, v2
	v_lshrrev_b32_e32 v6, 4, v3
	v_and_or_b32 v7, 0x7f00, v2, 0.5
	v_cmp_gt_u32_e32 vcc_lo, 0x8000000, v3
	v_bfe_i32 v2, v2, 0, 16
	v_or_b32_e32 v6, 0x70000000, v6
	v_add_f32_e32 v7, -0.5, v7
	v_mul_f32_e32 v6, 0x7800000, v6
	v_cndmask_b32_e32 v3, v6, v7, vcc_lo
	v_and_or_b32 v2, 0x80000000, v2, v3
.LBB14_1110:
	s_mov_b32 s13, -1
	s_mov_b32 s1, 0
	s_cbranch_execnz .LBB14_1121
.LBB14_1111:
	s_cmp_gt_i32 s6, 14
	s_cbranch_scc0 .LBB14_1114
; %bb.1112:
	s_cmp_eq_u32 s6, 15
	s_cbranch_scc0 .LBB14_1117
; %bb.1113:
	global_load_ushort v2, v[0:1], off
	s_mov_b32 s0, 0
	s_mov_b32 s13, -1
	s_waitcnt vmcnt(0)
	v_lshlrev_b32_e32 v2, 16, v2
	s_branch .LBB14_1119
.LBB14_1114:
	s_mov_b32 s1, -1
	s_branch .LBB14_1118
.LBB14_1115:
	s_or_saveexec_b32 s5, s5
	v_mov_b32_e32 v2, 0x7f800001
	s_xor_b32 exec_lo, exec_lo, s5
	s_cbranch_execz .LBB14_1097
.LBB14_1116:
	v_cmp_ne_u16_e32 vcc_lo, 0, v3
	v_mov_b32_e32 v2, 0
	s_andn2_b32 s1, s1, exec_lo
	s_and_b32 s13, vcc_lo, exec_lo
	s_or_b32 s1, s1, s13
	s_or_b32 exec_lo, exec_lo, s5
	s_and_saveexec_b32 s5, s1
	s_cbranch_execnz .LBB14_1098
	s_branch .LBB14_1099
.LBB14_1117:
	s_mov_b32 s0, -1
.LBB14_1118:
                                        ; implicit-def: $vgpr2
.LBB14_1119:
	s_and_b32 vcc_lo, exec_lo, s1
	s_mov_b32 s1, 0
	s_cbranch_vccz .LBB14_1121
; %bb.1120:
	s_cmp_lg_u32 s6, 11
	s_mov_b32 s1, -1
	s_cselect_b32 s0, -1, 0
.LBB14_1121:
	s_and_b32 vcc_lo, exec_lo, s0
	s_mov_b32 s5, s12
	s_cbranch_vccnz .LBB14_1186
; %bb.1122:
	s_andn2_b32 vcc_lo, exec_lo, s1
	s_cbranch_vccnz .LBB14_1124
.LBB14_1123:
	global_load_ubyte v2, v[0:1], off
	s_mov_b32 s13, -1
	s_waitcnt vmcnt(0)
	v_cmp_ne_u16_e32 vcc_lo, 0, v2
	v_cndmask_b32_e64 v2, 0, 1.0, vcc_lo
.LBB14_1124:
	s_branch .LBB14_1053
.LBB14_1125:
	s_cmp_lt_i32 s6, 5
	s_cbranch_scc1 .LBB14_1130
; %bb.1126:
	s_cmp_lt_i32 s6, 8
	s_cbranch_scc1 .LBB14_1131
; %bb.1127:
	;; [unrolled: 3-line block ×3, first 2 shown]
	s_cmp_gt_i32 s6, 9
	s_cbranch_scc0 .LBB14_1133
; %bb.1129:
	global_load_dwordx2 v[2:3], v[0:1], off
	s_mov_b32 s0, 0
	s_waitcnt vmcnt(0)
	v_cvt_f32_f64_e32 v2, v[2:3]
	s_branch .LBB14_1134
.LBB14_1130:
                                        ; implicit-def: $vgpr2
	s_branch .LBB14_1151
.LBB14_1131:
                                        ; implicit-def: $vgpr2
	s_branch .LBB14_1140
.LBB14_1132:
	s_mov_b32 s0, -1
                                        ; implicit-def: $vgpr2
	s_branch .LBB14_1137
.LBB14_1133:
	s_mov_b32 s0, -1
                                        ; implicit-def: $vgpr2
.LBB14_1134:
	s_andn2_b32 vcc_lo, exec_lo, s0
	s_cbranch_vccnz .LBB14_1136
; %bb.1135:
	global_load_dword v2, v[0:1], off
.LBB14_1136:
	s_mov_b32 s0, 0
.LBB14_1137:
	s_andn2_b32 vcc_lo, exec_lo, s0
	s_cbranch_vccnz .LBB14_1139
; %bb.1138:
	global_load_dword v2, v[0:1], off
	s_waitcnt vmcnt(0)
	v_cvt_f32_f16_e32 v2, v2
.LBB14_1139:
	s_cbranch_execnz .LBB14_1150
.LBB14_1140:
	s_cmp_lt_i32 s6, 6
	s_cbranch_scc1 .LBB14_1143
; %bb.1141:
	s_cmp_gt_i32 s6, 6
	s_cbranch_scc0 .LBB14_1144
; %bb.1142:
	global_load_dwordx2 v[2:3], v[0:1], off
	s_mov_b32 s0, 0
	s_waitcnt vmcnt(0)
	v_cvt_f32_f64_e32 v2, v[2:3]
	s_branch .LBB14_1145
.LBB14_1143:
	s_mov_b32 s0, -1
                                        ; implicit-def: $vgpr2
	s_branch .LBB14_1148
.LBB14_1144:
	s_mov_b32 s0, -1
                                        ; implicit-def: $vgpr2
.LBB14_1145:
	s_andn2_b32 vcc_lo, exec_lo, s0
	s_cbranch_vccnz .LBB14_1147
; %bb.1146:
	global_load_dword v2, v[0:1], off
.LBB14_1147:
	s_mov_b32 s0, 0
.LBB14_1148:
	s_andn2_b32 vcc_lo, exec_lo, s0
	s_cbranch_vccnz .LBB14_1150
; %bb.1149:
	global_load_ushort v2, v[0:1], off
	s_waitcnt vmcnt(0)
	v_cvt_f32_f16_e32 v2, v2
.LBB14_1150:
	s_cbranch_execnz .LBB14_1169
.LBB14_1151:
	s_cmp_lt_i32 s6, 2
	s_cbranch_scc1 .LBB14_1155
; %bb.1152:
	s_cmp_lt_i32 s6, 3
	s_cbranch_scc1 .LBB14_1156
; %bb.1153:
	s_cmp_gt_i32 s6, 3
	s_cbranch_scc0 .LBB14_1157
; %bb.1154:
	global_load_dwordx2 v[2:3], v[0:1], off
	s_mov_b32 s0, 0
	s_waitcnt vmcnt(0)
	v_xor_b32_e32 v6, v2, v3
	v_ffbh_i32_e32 v7, v3
	v_ashrrev_i32_e32 v6, 31, v6
	v_add_nc_u32_e32 v7, -1, v7
	v_add_nc_u32_e32 v6, 32, v6
	v_min_u32_e32 v6, v7, v6
	v_lshlrev_b64 v[2:3], v6, v[2:3]
	v_min_u32_e32 v2, 1, v2
	v_or_b32_e32 v2, v3, v2
	v_sub_nc_u32_e32 v3, 32, v6
	v_cvt_f32_i32_e32 v2, v2
	v_ldexp_f32 v2, v2, v3
	s_branch .LBB14_1158
.LBB14_1155:
                                        ; implicit-def: $vgpr2
	s_branch .LBB14_1164
.LBB14_1156:
	s_mov_b32 s0, -1
                                        ; implicit-def: $vgpr2
	s_branch .LBB14_1161
.LBB14_1157:
	s_mov_b32 s0, -1
                                        ; implicit-def: $vgpr2
.LBB14_1158:
	s_andn2_b32 vcc_lo, exec_lo, s0
	s_cbranch_vccnz .LBB14_1160
; %bb.1159:
	global_load_dword v2, v[0:1], off
	s_waitcnt vmcnt(0)
	v_cvt_f32_i32_e32 v2, v2
.LBB14_1160:
	s_mov_b32 s0, 0
.LBB14_1161:
	s_andn2_b32 vcc_lo, exec_lo, s0
	s_cbranch_vccnz .LBB14_1163
; %bb.1162:
	global_load_sshort v2, v[0:1], off
	s_waitcnt vmcnt(0)
	v_cvt_f32_i32_e32 v2, v2
.LBB14_1163:
	s_cbranch_execnz .LBB14_1169
.LBB14_1164:
	s_cmp_gt_i32 s6, 0
	s_mov_b32 s0, 0
	s_cbranch_scc0 .LBB14_1166
; %bb.1165:
	global_load_sbyte v2, v[0:1], off
	s_waitcnt vmcnt(0)
	v_cvt_f32_i32_e32 v2, v2
	s_branch .LBB14_1167
.LBB14_1166:
	s_mov_b32 s0, -1
                                        ; implicit-def: $vgpr2
.LBB14_1167:
	s_andn2_b32 vcc_lo, exec_lo, s0
	s_cbranch_vccnz .LBB14_1169
; %bb.1168:
	global_load_ubyte v0, v[0:1], off
	s_waitcnt vmcnt(0)
	v_cvt_f32_ubyte0_e32 v2, v0
.LBB14_1169:
.LBB14_1170:
	s_waitcnt vmcnt(0)
	v_and_b32_e32 v3, 0x7fffffff, v2
                                        ; implicit-def: $vgpr9
                                        ; implicit-def: $vgpr8
	s_mov_b32 s1, exec_lo
	v_cmpx_ngt_f32_e64 0x48000000, |v2|
	s_xor_b32 s13, exec_lo, s1
	s_cbranch_execz .LBB14_1172
; %bb.1171:
	s_mov_b32 s0, 0x7fffff
	v_mov_b32_e32 v7, 0
	v_and_or_b32 v14, v3, s0, 0x800000
	v_mad_u64_u32 v[0:1], null, 0xfe5163ab, v14, 0
	v_mov_b32_e32 v6, v1
	v_lshrrev_b32_e32 v1, 23, v3
	v_mad_u64_u32 v[8:9], null, 0x3c439041, v14, v[6:7]
	v_add_nc_u32_e32 v1, 0xffffff88, v1
	v_cmp_lt_u32_e32 vcc_lo, 63, v1
	v_mov_b32_e32 v6, v9
	v_cndmask_b32_e64 v13, 0, 0xffffffc0, vcc_lo
	v_mad_u64_u32 v[9:10], null, 0xdb629599, v14, v[6:7]
	v_add_nc_u32_e32 v1, v13, v1
	v_mov_b32_e32 v6, v10
	v_cmp_lt_u32_e64 s0, 31, v1
	v_cndmask_b32_e32 v0, v9, v0, vcc_lo
	v_mad_u64_u32 v[10:11], null, 0xf534ddc0, v14, v[6:7]
	v_cndmask_b32_e64 v15, 0, 0xffffffe0, s0
	v_add_nc_u32_e32 v1, v15, v1
	v_mov_b32_e32 v6, v11
	v_cndmask_b32_e32 v8, v10, v8, vcc_lo
	v_cmp_lt_u32_e64 s1, 31, v1
	v_mad_u64_u32 v[11:12], null, 0xfc2757d1, v14, v[6:7]
	v_cndmask_b32_e64 v0, v8, v0, s0
	v_mov_b32_e32 v6, v12
	v_mad_u64_u32 v[12:13], null, 0x4e441529, v14, v[6:7]
	v_mov_b32_e32 v6, v13
	v_cndmask_b32_e64 v13, 0, 0xffffffe0, s1
	v_mad_u64_u32 v[6:7], null, 0xa2f9836e, v14, v[6:7]
	v_cndmask_b32_e32 v14, v12, v10, vcc_lo
	v_add_nc_u32_e32 v1, v13, v1
	v_cndmask_b32_e32 v6, v6, v11, vcc_lo
	v_cndmask_b32_e32 v7, v7, v12, vcc_lo
	v_cndmask_b32_e32 v11, v11, v9, vcc_lo
	v_sub_nc_u32_e32 v12, 32, v1
	v_cmp_eq_u32_e32 vcc_lo, 0, v1
	v_cndmask_b32_e64 v10, v6, v14, s0
	v_cndmask_b32_e64 v6, v7, v6, s0
	;; [unrolled: 1-line block ×8, first 2 shown]
	v_alignbit_b32 v13, v6, v10, v12
	v_alignbit_b32 v9, v10, v7, v12
	;; [unrolled: 1-line block ×3, first 2 shown]
	v_cndmask_b32_e32 v1, v13, v6, vcc_lo
	v_cndmask_b32_e32 v6, v9, v10, vcc_lo
	;; [unrolled: 1-line block ×3, first 2 shown]
	v_bfe_u32 v9, v1, 29, 1
	v_alignbit_b32 v8, v1, v6, 30
	v_alignbit_b32 v6, v6, v7, 30
	;; [unrolled: 1-line block ×3, first 2 shown]
	v_sub_nc_u32_e32 v10, 0, v9
	v_xor_b32_e32 v8, v8, v10
	v_xor_b32_e32 v6, v6, v10
	;; [unrolled: 1-line block ×3, first 2 shown]
	v_lshrrev_b32_e32 v10, 29, v1
	v_ffbh_u32_e32 v11, v8
	v_min_u32_e32 v11, 32, v11
	v_sub_nc_u32_e32 v7, 31, v11
	v_lshlrev_b32_e32 v12, 23, v11
	v_alignbit_b32 v8, v8, v6, v7
	v_alignbit_b32 v0, v6, v0, v7
	v_lshlrev_b32_e32 v6, 31, v10
	v_alignbit_b32 v7, v8, v0, 9
	v_or_b32_e32 v10, 0.5, v6
	v_lshrrev_b32_e32 v8, 9, v8
	v_or_b32_e32 v6, 0x33000000, v6
	v_ffbh_u32_e32 v13, v7
	v_sub_nc_u32_e32 v10, v10, v12
	v_min_u32_e32 v12, 32, v13
	v_or_b32_e32 v8, v8, v10
	v_not_b32_e32 v10, v12
	v_mul_f32_e32 v13, 0x3fc90fda, v8
	v_add_lshl_u32 v11, v12, v11, 23
	v_alignbit_b32 v0, v7, v0, v10
	v_fma_f32 v7, 0x3fc90fda, v8, -v13
	v_sub_nc_u32_e32 v6, v6, v11
	v_lshrrev_b32_e32 v0, 9, v0
	v_fmamk_f32 v7, v8, 0x33a22168, v7
	v_or_b32_e32 v0, v6, v0
	v_fmac_f32_e32 v7, 0x3fc90fda, v0
	v_lshrrev_b32_e32 v0, 30, v1
	v_add_f32_e32 v8, v13, v7
	v_add_nc_u32_e32 v9, v9, v0
.LBB14_1172:
	s_andn2_saveexec_b32 s0, s13
; %bb.1173:
	v_mul_f32_e64 v0, 0x3f22f983, |v2|
	v_rndne_f32_e32 v0, v0
	v_fma_f32 v1, 0xbfc90fda, v0, |v2|
	v_cvt_i32_f32_e32 v9, v0
	v_fmamk_f32 v1, v0, 0xb3a22168, v1
	v_fmamk_f32 v8, v0, 0xa7c234c4, v1
; %bb.1174:
	s_or_b32 exec_lo, exec_lo, s0
	s_lshl_b32 s3, s3, 7
	s_cmp_lt_i32 s6, 11
	v_add_nc_u32_e32 v6, s3, v5
	v_ashrrev_i32_e32 v1, 31, v6
	v_add_co_u32 v0, vcc_lo, s10, v6
	v_add_co_ci_u32_e64 v1, null, s11, v1, vcc_lo
	s_cbranch_scc1 .LBB14_1181
; %bb.1175:
	s_cmp_gt_i32 s6, 25
	s_mov_b32 s1, 0
	s_cbranch_scc0 .LBB14_1183
; %bb.1176:
	s_cmp_gt_i32 s6, 28
	s_cbranch_scc0 .LBB14_1184
; %bb.1177:
	s_cmp_gt_i32 s6, 43
	;; [unrolled: 3-line block ×3, first 2 shown]
	s_cbranch_scc0 .LBB14_1187
; %bb.1179:
	s_cmp_eq_u32 s6, 46
	s_mov_b32 s14, 0
	s_cbranch_scc0 .LBB14_1190
; %bb.1180:
	global_load_dword v5, v[0:1], off
	s_mov_b32 s0, 0
	s_mov_b32 s13, -1
	s_waitcnt vmcnt(0)
	v_lshlrev_b32_e32 v5, 16, v5
	s_branch .LBB14_1192
.LBB14_1181:
	s_mov_b32 s13, 0
                                        ; implicit-def: $vgpr5
	s_cbranch_execnz .LBB14_1257
.LBB14_1182:
	s_andn2_b32 vcc_lo, exec_lo, s13
	s_cbranch_vccz .LBB14_1304
	s_branch .LBB14_2007
.LBB14_1183:
	s_mov_b32 s13, 0
	s_mov_b32 s0, 0
                                        ; implicit-def: $vgpr5
	s_cbranch_execnz .LBB14_1221
	s_branch .LBB14_1253
.LBB14_1184:
	s_mov_b32 s14, -1
	s_mov_b32 s13, 0
	s_mov_b32 s0, 0
                                        ; implicit-def: $vgpr5
	s_branch .LBB14_1202
.LBB14_1185:
	s_mov_b32 s14, -1
	s_mov_b32 s13, 0
	s_mov_b32 s0, 0
                                        ; implicit-def: $vgpr5
	s_branch .LBB14_1197
.LBB14_1186:
	s_or_b32 s5, s12, exec_lo
	s_trap 2
	s_cbranch_execz .LBB14_1123
	s_branch .LBB14_1124
.LBB14_1187:
	s_mov_b32 s14, -1
	s_mov_b32 s13, 0
	s_mov_b32 s0, 0
	s_branch .LBB14_1191
.LBB14_1188:
	s_andn2_saveexec_b32 s19, s19
	s_cbranch_execz .LBB14_966
.LBB14_1189:
	v_add_f32_e64 v3, 0x42800000, |v2|
	s_andn2_b32 s18, s18, exec_lo
	v_and_b32_e32 v3, 0xff, v3
	v_cmp_ne_u32_e32 vcc_lo, 0, v3
	s_and_b32 s20, vcc_lo, exec_lo
	s_or_b32 s18, s18, s20
	s_or_b32 exec_lo, exec_lo, s19
	v_mov_b32_e32 v4, 0
	s_and_saveexec_b32 s19, s18
	s_cbranch_execnz .LBB14_967
	s_branch .LBB14_968
.LBB14_1190:
	s_mov_b32 s0, -1
	s_mov_b32 s13, 0
.LBB14_1191:
                                        ; implicit-def: $vgpr5
.LBB14_1192:
	s_and_b32 vcc_lo, exec_lo, s14
	s_cbranch_vccz .LBB14_1196
; %bb.1193:
	s_cmp_eq_u32 s6, 44
	s_cbranch_scc0 .LBB14_1195
; %bb.1194:
	global_load_ubyte v5, v[0:1], off
	s_mov_b32 s0, 0
	s_mov_b32 s13, -1
	s_waitcnt vmcnt(0)
	v_lshlrev_b32_e32 v7, 23, v5
	v_cmp_ne_u32_e32 vcc_lo, 0xff, v5
	v_cndmask_b32_e32 v7, 0x7f800001, v7, vcc_lo
	v_cmp_ne_u32_e32 vcc_lo, 0, v5
	v_cndmask_b32_e32 v5, 0x400000, v7, vcc_lo
	s_branch .LBB14_1196
.LBB14_1195:
	s_mov_b32 s0, -1
                                        ; implicit-def: $vgpr5
.LBB14_1196:
	s_mov_b32 s14, 0
.LBB14_1197:
	s_and_b32 vcc_lo, exec_lo, s14
	s_cbranch_vccz .LBB14_1201
; %bb.1198:
	s_cmp_eq_u32 s6, 29
	s_cbranch_scc0 .LBB14_1200
; %bb.1199:
	global_load_dwordx2 v[10:11], v[0:1], off
	s_mov_b32 s0, 0
	s_mov_b32 s13, -1
	s_mov_b32 s14, 0
	s_waitcnt vmcnt(0)
	v_ffbh_u32_e32 v5, v11
	v_min_u32_e32 v5, 32, v5
	v_lshlrev_b64 v[10:11], v5, v[10:11]
	v_sub_nc_u32_e32 v5, 32, v5
	v_min_u32_e32 v7, 1, v10
	v_or_b32_e32 v7, v11, v7
	v_cvt_f32_u32_e32 v7, v7
	v_ldexp_f32 v5, v7, v5
	s_branch .LBB14_1202
.LBB14_1200:
	s_mov_b32 s0, -1
                                        ; implicit-def: $vgpr5
.LBB14_1201:
	s_mov_b32 s14, 0
.LBB14_1202:
	s_and_b32 vcc_lo, exec_lo, s14
	s_cbranch_vccz .LBB14_1220
; %bb.1203:
	s_cmp_lt_i32 s6, 27
	s_cbranch_scc1 .LBB14_1206
; %bb.1204:
	s_cmp_gt_i32 s6, 27
	s_cbranch_scc0 .LBB14_1207
; %bb.1205:
	global_load_dword v5, v[0:1], off
	s_mov_b32 s13, 0
	s_waitcnt vmcnt(0)
	v_cvt_f32_u32_e32 v5, v5
	s_branch .LBB14_1208
.LBB14_1206:
	s_mov_b32 s13, -1
                                        ; implicit-def: $vgpr5
	s_branch .LBB14_1211
.LBB14_1207:
	s_mov_b32 s13, -1
                                        ; implicit-def: $vgpr5
.LBB14_1208:
	s_andn2_b32 vcc_lo, exec_lo, s13
	s_cbranch_vccnz .LBB14_1210
; %bb.1209:
	global_load_ushort v5, v[0:1], off
	s_waitcnt vmcnt(0)
	v_cvt_f32_u32_e32 v5, v5
.LBB14_1210:
	s_mov_b32 s13, 0
.LBB14_1211:
	s_andn2_b32 vcc_lo, exec_lo, s13
	s_cbranch_vccnz .LBB14_1219
; %bb.1212:
	global_load_ubyte v7, v[0:1], off
	s_mov_b32 s13, 0
	s_mov_b32 s14, exec_lo
	s_waitcnt vmcnt(0)
	v_cmpx_lt_i16_e32 0x7f, v7
	s_xor_b32 s14, exec_lo, s14
	s_cbranch_execz .LBB14_1232
; %bb.1213:
	s_mov_b32 s13, -1
	s_mov_b32 s15, exec_lo
	v_cmpx_eq_u16_e32 0x80, v7
; %bb.1214:
	s_xor_b32 s13, exec_lo, -1
; %bb.1215:
	s_or_b32 exec_lo, exec_lo, s15
	s_and_b32 s13, s13, exec_lo
	s_or_saveexec_b32 s14, s14
	v_mov_b32_e32 v5, 0x7f800001
	s_xor_b32 exec_lo, exec_lo, s14
	s_cbranch_execnz .LBB14_1233
.LBB14_1216:
	s_or_b32 exec_lo, exec_lo, s14
	s_and_saveexec_b32 s14, s13
	s_cbranch_execz .LBB14_1218
.LBB14_1217:
	v_and_b32_e32 v5, 0xffff, v7
	v_lshlrev_b32_e32 v7, 24, v7
	v_and_b32_e32 v10, 7, v5
	v_bfe_u32 v13, v5, 3, 4
	v_and_b32_e32 v7, 0x80000000, v7
	v_ffbh_u32_e32 v11, v10
	v_cmp_eq_u32_e32 vcc_lo, 0, v13
	v_min_u32_e32 v11, 32, v11
	v_subrev_nc_u32_e32 v12, 28, v11
	v_sub_nc_u32_e32 v11, 29, v11
	v_lshlrev_b32_e32 v5, v12, v5
	v_cndmask_b32_e32 v11, v13, v11, vcc_lo
	v_and_b32_e32 v5, 7, v5
	v_cndmask_b32_e32 v5, v10, v5, vcc_lo
	v_lshl_add_u32 v10, v11, 23, 0x3b800000
	v_lshlrev_b32_e32 v5, 20, v5
	v_or3_b32 v5, v7, v10, v5
.LBB14_1218:
	s_or_b32 exec_lo, exec_lo, s14
.LBB14_1219:
	s_mov_b32 s13, -1
.LBB14_1220:
	s_branch .LBB14_1253
.LBB14_1221:
	s_cmp_gt_i32 s6, 22
	s_cbranch_scc0 .LBB14_1231
; %bb.1222:
	s_cmp_lt_i32 s6, 24
	s_cbranch_scc1 .LBB14_1234
; %bb.1223:
	s_cmp_gt_i32 s6, 24
	s_cbranch_scc0 .LBB14_1235
; %bb.1224:
	global_load_ubyte v7, v[0:1], off
	s_mov_b32 s13, exec_lo
	s_waitcnt vmcnt(0)
	v_cmpx_lt_i16_e32 0x7f, v7
	s_xor_b32 s13, exec_lo, s13
	s_cbranch_execz .LBB14_1247
; %bb.1225:
	s_mov_b32 s1, -1
	s_mov_b32 s14, exec_lo
	v_cmpx_eq_u16_e32 0x80, v7
; %bb.1226:
	s_xor_b32 s1, exec_lo, -1
; %bb.1227:
	s_or_b32 exec_lo, exec_lo, s14
	s_and_b32 s1, s1, exec_lo
	s_or_saveexec_b32 s13, s13
	v_mov_b32_e32 v5, 0x7f800001
	s_xor_b32 exec_lo, exec_lo, s13
	s_cbranch_execnz .LBB14_1248
.LBB14_1228:
	s_or_b32 exec_lo, exec_lo, s13
	s_and_saveexec_b32 s13, s1
	s_cbranch_execz .LBB14_1230
.LBB14_1229:
	v_and_b32_e32 v5, 0xffff, v7
	v_lshlrev_b32_e32 v7, 24, v7
	v_and_b32_e32 v10, 3, v5
	v_bfe_u32 v13, v5, 2, 5
	v_and_b32_e32 v7, 0x80000000, v7
	v_ffbh_u32_e32 v11, v10
	v_cmp_eq_u32_e32 vcc_lo, 0, v13
	v_min_u32_e32 v11, 32, v11
	v_subrev_nc_u32_e32 v12, 29, v11
	v_sub_nc_u32_e32 v11, 30, v11
	v_lshlrev_b32_e32 v5, v12, v5
	v_cndmask_b32_e32 v11, v13, v11, vcc_lo
	v_and_b32_e32 v5, 3, v5
	v_cndmask_b32_e32 v5, v10, v5, vcc_lo
	v_lshl_add_u32 v10, v11, 23, 0x37800000
	v_lshlrev_b32_e32 v5, 21, v5
	v_or3_b32 v5, v7, v10, v5
.LBB14_1230:
	s_or_b32 exec_lo, exec_lo, s13
	s_mov_b32 s1, 0
	s_branch .LBB14_1236
.LBB14_1231:
	s_mov_b32 s1, -1
                                        ; implicit-def: $vgpr5
	s_branch .LBB14_1242
.LBB14_1232:
	s_or_saveexec_b32 s14, s14
	v_mov_b32_e32 v5, 0x7f800001
	s_xor_b32 exec_lo, exec_lo, s14
	s_cbranch_execz .LBB14_1216
.LBB14_1233:
	v_cmp_ne_u16_e32 vcc_lo, 0, v7
	v_mov_b32_e32 v5, 0
	s_andn2_b32 s13, s13, exec_lo
	s_and_b32 s15, vcc_lo, exec_lo
	s_or_b32 s13, s13, s15
	s_or_b32 exec_lo, exec_lo, s14
	s_and_saveexec_b32 s14, s13
	s_cbranch_execnz .LBB14_1217
	s_branch .LBB14_1218
.LBB14_1234:
	s_mov_b32 s1, -1
                                        ; implicit-def: $vgpr5
	s_branch .LBB14_1239
.LBB14_1235:
	s_mov_b32 s1, -1
                                        ; implicit-def: $vgpr5
.LBB14_1236:
	s_and_b32 vcc_lo, exec_lo, s1
	s_cbranch_vccz .LBB14_1238
; %bb.1237:
	global_load_ubyte v5, v[0:1], off
	s_waitcnt vmcnt(0)
	v_lshlrev_b32_e32 v5, 24, v5
	v_and_b32_e32 v7, 0x7f000000, v5
	v_ffbh_u32_e32 v10, v7
	v_add_nc_u32_e32 v12, 0x1000000, v7
	v_cmp_ne_u32_e32 vcc_lo, 0, v7
	v_min_u32_e32 v10, 32, v10
	v_sub_nc_u32_e64 v10, v10, 4 clamp
	v_lshlrev_b32_e32 v11, v10, v7
	v_lshlrev_b32_e32 v10, 23, v10
	v_lshrrev_b32_e32 v11, 4, v11
	v_sub_nc_u32_e32 v10, v11, v10
	v_ashrrev_i32_e32 v11, 8, v12
	v_add_nc_u32_e32 v10, 0x3c000000, v10
	v_and_or_b32 v10, 0x7f800000, v11, v10
	v_cndmask_b32_e32 v7, 0, v10, vcc_lo
	v_and_or_b32 v5, 0x80000000, v5, v7
.LBB14_1238:
	s_mov_b32 s1, 0
.LBB14_1239:
	s_andn2_b32 vcc_lo, exec_lo, s1
	s_cbranch_vccnz .LBB14_1241
; %bb.1240:
	global_load_ubyte v5, v[0:1], off
	s_waitcnt vmcnt(0)
	v_lshlrev_b32_e32 v7, 25, v5
	v_lshlrev_b16 v5, 8, v5
	v_lshrrev_b32_e32 v10, 4, v7
	v_and_or_b32 v11, 0x7f00, v5, 0.5
	v_cmp_gt_u32_e32 vcc_lo, 0x8000000, v7
	v_bfe_i32 v5, v5, 0, 16
	v_or_b32_e32 v10, 0x70000000, v10
	v_add_f32_e32 v11, -0.5, v11
	v_mul_f32_e32 v10, 0x7800000, v10
	v_cndmask_b32_e32 v7, v10, v11, vcc_lo
	v_and_or_b32 v5, 0x80000000, v5, v7
.LBB14_1241:
	s_mov_b32 s1, 0
	s_mov_b32 s13, -1
.LBB14_1242:
	s_andn2_b32 vcc_lo, exec_lo, s1
	s_mov_b32 s1, 0
	s_cbranch_vccnz .LBB14_1253
; %bb.1243:
	s_cmp_gt_i32 s6, 14
	s_cbranch_scc0 .LBB14_1246
; %bb.1244:
	s_cmp_eq_u32 s6, 15
	s_cbranch_scc0 .LBB14_1249
; %bb.1245:
	global_load_ushort v5, v[0:1], off
	s_mov_b32 s0, 0
	s_mov_b32 s13, -1
	s_waitcnt vmcnt(0)
	v_lshlrev_b32_e32 v5, 16, v5
	s_branch .LBB14_1251
.LBB14_1246:
	s_mov_b32 s1, -1
	s_branch .LBB14_1250
.LBB14_1247:
	s_or_saveexec_b32 s13, s13
	v_mov_b32_e32 v5, 0x7f800001
	s_xor_b32 exec_lo, exec_lo, s13
	s_cbranch_execz .LBB14_1228
.LBB14_1248:
	v_cmp_ne_u16_e32 vcc_lo, 0, v7
	v_mov_b32_e32 v5, 0
	s_andn2_b32 s1, s1, exec_lo
	s_and_b32 s14, vcc_lo, exec_lo
	s_or_b32 s1, s1, s14
	s_or_b32 exec_lo, exec_lo, s13
	s_and_saveexec_b32 s13, s1
	s_cbranch_execnz .LBB14_1229
	s_branch .LBB14_1230
.LBB14_1249:
	s_mov_b32 s0, -1
.LBB14_1250:
                                        ; implicit-def: $vgpr5
.LBB14_1251:
	s_and_b32 vcc_lo, exec_lo, s1
	s_mov_b32 s1, 0
	s_cbranch_vccz .LBB14_1253
; %bb.1252:
	s_cmp_lg_u32 s6, 11
	s_mov_b32 s1, -1
	s_cselect_b32 s0, -1, 0
.LBB14_1253:
	s_and_b32 vcc_lo, exec_lo, s0
	s_cbranch_vccnz .LBB14_1320
; %bb.1254:
	s_andn2_b32 vcc_lo, exec_lo, s1
	s_cbranch_vccnz .LBB14_1256
.LBB14_1255:
	global_load_ubyte v5, v[0:1], off
	s_mov_b32 s13, -1
	s_waitcnt vmcnt(0)
	v_cmp_ne_u16_e32 vcc_lo, 0, v5
	v_cndmask_b32_e64 v5, 0, 1.0, vcc_lo
.LBB14_1256:
	s_branch .LBB14_1182
.LBB14_1257:
	s_cmp_lt_i32 s6, 5
	s_cbranch_scc1 .LBB14_1262
; %bb.1258:
	s_cmp_lt_i32 s6, 8
	s_cbranch_scc1 .LBB14_1263
; %bb.1259:
	;; [unrolled: 3-line block ×3, first 2 shown]
	s_cmp_gt_i32 s6, 9
	s_cbranch_scc0 .LBB14_1265
; %bb.1261:
	global_load_dwordx2 v[10:11], v[0:1], off
	s_mov_b32 s0, 0
	s_waitcnt vmcnt(0)
	v_cvt_f32_f64_e32 v5, v[10:11]
	s_branch .LBB14_1266
.LBB14_1262:
                                        ; implicit-def: $vgpr5
	s_branch .LBB14_1284
.LBB14_1263:
	s_mov_b32 s0, -1
                                        ; implicit-def: $vgpr5
	s_branch .LBB14_1272
.LBB14_1264:
	s_mov_b32 s0, -1
                                        ; implicit-def: $vgpr5
	s_branch .LBB14_1269
.LBB14_1265:
	s_mov_b32 s0, -1
                                        ; implicit-def: $vgpr5
.LBB14_1266:
	s_andn2_b32 vcc_lo, exec_lo, s0
	s_cbranch_vccnz .LBB14_1268
; %bb.1267:
	global_load_dword v5, v[0:1], off
.LBB14_1268:
	s_mov_b32 s0, 0
.LBB14_1269:
	s_andn2_b32 vcc_lo, exec_lo, s0
	s_cbranch_vccnz .LBB14_1271
; %bb.1270:
	global_load_dword v5, v[0:1], off
	s_waitcnt vmcnt(0)
	v_cvt_f32_f16_e32 v5, v5
.LBB14_1271:
	s_mov_b32 s0, 0
.LBB14_1272:
	s_andn2_b32 vcc_lo, exec_lo, s0
	s_cbranch_vccnz .LBB14_1283
; %bb.1273:
	s_cmp_lt_i32 s6, 6
	s_cbranch_scc1 .LBB14_1276
; %bb.1274:
	s_cmp_gt_i32 s6, 6
	s_cbranch_scc0 .LBB14_1277
; %bb.1275:
	global_load_dwordx2 v[10:11], v[0:1], off
	s_mov_b32 s0, 0
	s_waitcnt vmcnt(0)
	v_cvt_f32_f64_e32 v5, v[10:11]
	s_branch .LBB14_1278
.LBB14_1276:
	s_mov_b32 s0, -1
                                        ; implicit-def: $vgpr5
	s_branch .LBB14_1281
.LBB14_1277:
	s_mov_b32 s0, -1
                                        ; implicit-def: $vgpr5
.LBB14_1278:
	s_andn2_b32 vcc_lo, exec_lo, s0
	s_cbranch_vccnz .LBB14_1280
; %bb.1279:
	global_load_dword v5, v[0:1], off
.LBB14_1280:
	s_mov_b32 s0, 0
.LBB14_1281:
	s_andn2_b32 vcc_lo, exec_lo, s0
	s_cbranch_vccnz .LBB14_1283
; %bb.1282:
	global_load_ushort v5, v[0:1], off
	s_waitcnt vmcnt(0)
	v_cvt_f32_f16_e32 v5, v5
.LBB14_1283:
	s_cbranch_execnz .LBB14_1303
.LBB14_1284:
	s_cmp_lt_i32 s6, 2
	s_cbranch_scc1 .LBB14_1288
; %bb.1285:
	s_cmp_lt_i32 s6, 3
	s_cbranch_scc1 .LBB14_1289
; %bb.1286:
	s_cmp_gt_i32 s6, 3
	s_cbranch_scc0 .LBB14_1290
; %bb.1287:
	global_load_dwordx2 v[10:11], v[0:1], off
	s_mov_b32 s0, 0
	s_waitcnt vmcnt(0)
	v_xor_b32_e32 v5, v10, v11
	v_ffbh_i32_e32 v7, v11
	v_ashrrev_i32_e32 v5, 31, v5
	v_add_nc_u32_e32 v7, -1, v7
	v_add_nc_u32_e32 v5, 32, v5
	v_min_u32_e32 v5, v7, v5
	v_lshlrev_b64 v[10:11], v5, v[10:11]
	v_sub_nc_u32_e32 v5, 32, v5
	v_min_u32_e32 v7, 1, v10
	v_or_b32_e32 v7, v11, v7
	v_cvt_f32_i32_e32 v7, v7
	v_ldexp_f32 v5, v7, v5
	s_branch .LBB14_1291
.LBB14_1288:
	s_mov_b32 s0, -1
                                        ; implicit-def: $vgpr5
	s_branch .LBB14_1297
.LBB14_1289:
	s_mov_b32 s0, -1
                                        ; implicit-def: $vgpr5
	s_branch .LBB14_1294
.LBB14_1290:
	s_mov_b32 s0, -1
                                        ; implicit-def: $vgpr5
.LBB14_1291:
	s_andn2_b32 vcc_lo, exec_lo, s0
	s_cbranch_vccnz .LBB14_1293
; %bb.1292:
	global_load_dword v5, v[0:1], off
	s_waitcnt vmcnt(0)
	v_cvt_f32_i32_e32 v5, v5
.LBB14_1293:
	s_mov_b32 s0, 0
.LBB14_1294:
	s_andn2_b32 vcc_lo, exec_lo, s0
	s_cbranch_vccnz .LBB14_1296
; %bb.1295:
	global_load_sshort v5, v[0:1], off
	s_waitcnt vmcnt(0)
	v_cvt_f32_i32_e32 v5, v5
.LBB14_1296:
	s_mov_b32 s0, 0
.LBB14_1297:
	s_andn2_b32 vcc_lo, exec_lo, s0
	s_cbranch_vccnz .LBB14_1303
; %bb.1298:
	s_cmp_gt_i32 s6, 0
	s_mov_b32 s0, 0
	s_cbranch_scc0 .LBB14_1300
; %bb.1299:
	global_load_sbyte v5, v[0:1], off
	s_waitcnt vmcnt(0)
	v_cvt_f32_i32_e32 v5, v5
	s_branch .LBB14_1301
.LBB14_1300:
	s_mov_b32 s0, -1
                                        ; implicit-def: $vgpr5
.LBB14_1301:
	s_andn2_b32 vcc_lo, exec_lo, s0
	s_cbranch_vccnz .LBB14_1303
; %bb.1302:
	global_load_ubyte v0, v[0:1], off
	s_waitcnt vmcnt(0)
	v_cvt_f32_ubyte0_e32 v5, v0
.LBB14_1303:
.LBB14_1304:
	s_waitcnt vmcnt(0)
	v_and_b32_e32 v10, 0x7fffffff, v5
                                        ; implicit-def: $vgpr12
                                        ; implicit-def: $vgpr11
	s_mov_b32 s1, exec_lo
	v_cmpx_ngt_f32_e64 0x48000000, |v5|
	s_xor_b32 s13, exec_lo, s1
	s_cbranch_execz .LBB14_1306
; %bb.1305:
	s_mov_b32 s0, 0x7fffff
	v_mov_b32_e32 v12, 0
	v_and_or_b32 v7, v10, s0, 0x800000
	v_mad_u64_u32 v[0:1], null, 0xfe5163ab, v7, 0
	v_mov_b32_e32 v11, v1
	v_lshrrev_b32_e32 v1, 23, v10
	v_mad_u64_u32 v[13:14], null, 0x3c439041, v7, v[11:12]
	v_add_nc_u32_e32 v1, 0xffffff88, v1
	v_cmp_lt_u32_e32 vcc_lo, 63, v1
	v_mov_b32_e32 v11, v14
	v_cndmask_b32_e64 v18, 0, 0xffffffc0, vcc_lo
	v_mad_u64_u32 v[14:15], null, 0xdb629599, v7, v[11:12]
	v_add_nc_u32_e32 v1, v18, v1
	v_mov_b32_e32 v11, v15
	v_cmp_lt_u32_e64 s0, 31, v1
	v_cndmask_b32_e32 v0, v14, v0, vcc_lo
	v_mad_u64_u32 v[15:16], null, 0xf534ddc0, v7, v[11:12]
	v_cndmask_b32_e64 v19, 0, 0xffffffe0, s0
	v_add_nc_u32_e32 v1, v19, v1
	v_mov_b32_e32 v11, v16
	v_cmp_lt_u32_e64 s1, 31, v1
	v_mad_u64_u32 v[16:17], null, 0xfc2757d1, v7, v[11:12]
	v_mov_b32_e32 v11, v17
	v_mad_u64_u32 v[17:18], null, 0x4e441529, v7, v[11:12]
	v_mov_b32_e32 v11, v18
	v_cndmask_b32_e32 v18, v17, v15, vcc_lo
	v_mad_u64_u32 v[11:12], null, 0xa2f9836e, v7, v[11:12]
	v_cndmask_b32_e64 v7, 0, 0xffffffe0, s1
	v_add_nc_u32_e32 v1, v7, v1
	v_cndmask_b32_e32 v11, v11, v16, vcc_lo
	v_cndmask_b32_e32 v12, v12, v17, vcc_lo
	;; [unrolled: 1-line block ×4, first 2 shown]
	v_sub_nc_u32_e32 v15, 32, v1
	v_cndmask_b32_e64 v13, v11, v18, s0
	v_cndmask_b32_e64 v11, v12, v11, s0
	;; [unrolled: 1-line block ×4, first 2 shown]
	v_cmp_eq_u32_e32 vcc_lo, 0, v1
	v_cndmask_b32_e64 v0, v7, v0, s0
	v_cndmask_b32_e64 v11, v11, v13, s1
	;; [unrolled: 1-line block ×5, first 2 shown]
	v_alignbit_b32 v17, v11, v13, v15
	v_alignbit_b32 v14, v13, v12, v15
	;; [unrolled: 1-line block ×3, first 2 shown]
	v_cndmask_b32_e32 v1, v17, v11, vcc_lo
	v_cndmask_b32_e32 v7, v14, v13, vcc_lo
	;; [unrolled: 1-line block ×3, first 2 shown]
	v_bfe_u32 v13, v1, 29, 1
	v_alignbit_b32 v11, v1, v7, 30
	v_alignbit_b32 v7, v7, v12, 30
	;; [unrolled: 1-line block ×3, first 2 shown]
	v_sub_nc_u32_e32 v14, 0, v13
	v_xor_b32_e32 v11, v11, v14
	v_xor_b32_e32 v7, v7, v14
	;; [unrolled: 1-line block ×3, first 2 shown]
	v_lshrrev_b32_e32 v14, 29, v1
	v_ffbh_u32_e32 v15, v11
	v_min_u32_e32 v15, 32, v15
	v_sub_nc_u32_e32 v12, 31, v15
	v_lshlrev_b32_e32 v16, 23, v15
	v_alignbit_b32 v11, v11, v7, v12
	v_alignbit_b32 v0, v7, v0, v12
	v_lshlrev_b32_e32 v7, 31, v14
	v_alignbit_b32 v12, v11, v0, 9
	v_or_b32_e32 v14, 0.5, v7
	v_lshrrev_b32_e32 v11, 9, v11
	v_or_b32_e32 v7, 0x33000000, v7
	v_ffbh_u32_e32 v17, v12
	v_sub_nc_u32_e32 v14, v14, v16
	v_min_u32_e32 v16, 32, v17
	v_or_b32_e32 v11, v11, v14
	v_not_b32_e32 v14, v16
	v_mul_f32_e32 v17, 0x3fc90fda, v11
	v_add_lshl_u32 v15, v16, v15, 23
	v_alignbit_b32 v0, v12, v0, v14
	v_fma_f32 v12, 0x3fc90fda, v11, -v17
	v_sub_nc_u32_e32 v7, v7, v15
	v_lshrrev_b32_e32 v0, 9, v0
	v_fmamk_f32 v11, v11, 0x33a22168, v12
	v_or_b32_e32 v0, v7, v0
	v_fmac_f32_e32 v11, 0x3fc90fda, v0
	v_lshrrev_b32_e32 v0, 30, v1
	v_add_f32_e32 v11, v17, v11
	v_add_nc_u32_e32 v12, v13, v0
.LBB14_1306:
	s_andn2_saveexec_b32 s0, s13
; %bb.1307:
	v_mul_f32_e64 v0, 0x3f22f983, |v5|
	v_rndne_f32_e32 v0, v0
	v_fma_f32 v1, 0xbfc90fda, v0, |v5|
	v_cvt_i32_f32_e32 v12, v0
	v_fmamk_f32 v1, v0, 0xb3a22168, v1
	v_fmamk_f32 v11, v0, 0xa7c234c4, v1
; %bb.1308:
	s_or_b32 exec_lo, exec_lo, s0
	v_add_nc_u32_e32 v7, s3, v6
	s_cmp_lt_i32 s6, 11
	v_ashrrev_i32_e32 v1, 31, v7
	v_add_co_u32 v0, vcc_lo, s10, v7
	v_add_co_ci_u32_e64 v1, null, s11, v1, vcc_lo
	s_cbranch_scc1 .LBB14_1315
; %bb.1309:
	s_cmp_gt_i32 s6, 25
	s_mov_b32 s1, 0
	s_cbranch_scc0 .LBB14_1317
; %bb.1310:
	s_cmp_gt_i32 s6, 28
	s_cbranch_scc0 .LBB14_1318
; %bb.1311:
	s_cmp_gt_i32 s6, 43
	;; [unrolled: 3-line block ×3, first 2 shown]
	s_cbranch_scc0 .LBB14_1321
; %bb.1313:
	s_cmp_eq_u32 s6, 46
	s_mov_b32 s14, 0
	s_cbranch_scc0 .LBB14_1322
; %bb.1314:
	global_load_dword v6, v[0:1], off
	s_mov_b32 s0, 0
	s_mov_b32 s13, -1
	s_waitcnt vmcnt(0)
	v_lshlrev_b32_e32 v6, 16, v6
	s_branch .LBB14_1324
.LBB14_1315:
	s_mov_b32 s13, 0
                                        ; implicit-def: $vgpr6
	s_cbranch_execnz .LBB14_1390
.LBB14_1316:
	s_andn2_b32 vcc_lo, exec_lo, s13
	s_cbranch_vccz .LBB14_1438
	s_branch .LBB14_2007
.LBB14_1317:
	s_mov_b32 s14, -1
	s_mov_b32 s13, 0
	s_mov_b32 s0, 0
                                        ; implicit-def: $vgpr6
	s_branch .LBB14_1353
.LBB14_1318:
	s_mov_b32 s14, -1
	s_mov_b32 s13, 0
	s_mov_b32 s0, 0
                                        ; implicit-def: $vgpr6
	s_branch .LBB14_1334
.LBB14_1319:
	s_mov_b32 s14, -1
	s_mov_b32 s13, 0
	s_mov_b32 s0, 0
                                        ; implicit-def: $vgpr6
	s_branch .LBB14_1329
.LBB14_1320:
	s_or_b32 s5, s5, exec_lo
	s_trap 2
	s_cbranch_execz .LBB14_1255
	s_branch .LBB14_1256
.LBB14_1321:
	s_mov_b32 s14, -1
	s_mov_b32 s13, 0
	s_mov_b32 s0, 0
	s_branch .LBB14_1323
.LBB14_1322:
	s_mov_b32 s0, -1
	s_mov_b32 s13, 0
.LBB14_1323:
                                        ; implicit-def: $vgpr6
.LBB14_1324:
	s_and_b32 vcc_lo, exec_lo, s14
	s_cbranch_vccz .LBB14_1328
; %bb.1325:
	s_cmp_eq_u32 s6, 44
	s_cbranch_scc0 .LBB14_1327
; %bb.1326:
	global_load_ubyte v6, v[0:1], off
	s_mov_b32 s0, 0
	s_mov_b32 s13, -1
	s_waitcnt vmcnt(0)
	v_lshlrev_b32_e32 v13, 23, v6
	v_cmp_ne_u32_e32 vcc_lo, 0xff, v6
	v_cndmask_b32_e32 v13, 0x7f800001, v13, vcc_lo
	v_cmp_ne_u32_e32 vcc_lo, 0, v6
	v_cndmask_b32_e32 v6, 0x400000, v13, vcc_lo
	s_branch .LBB14_1328
.LBB14_1327:
	s_mov_b32 s0, -1
                                        ; implicit-def: $vgpr6
.LBB14_1328:
	s_mov_b32 s14, 0
.LBB14_1329:
	s_and_b32 vcc_lo, exec_lo, s14
	s_cbranch_vccz .LBB14_1333
; %bb.1330:
	s_cmp_eq_u32 s6, 29
	s_cbranch_scc0 .LBB14_1332
; %bb.1331:
	global_load_dwordx2 v[13:14], v[0:1], off
	s_mov_b32 s0, 0
	s_mov_b32 s13, -1
	s_mov_b32 s14, 0
	s_waitcnt vmcnt(0)
	v_ffbh_u32_e32 v6, v14
	v_min_u32_e32 v6, 32, v6
	v_lshlrev_b64 v[13:14], v6, v[13:14]
	v_sub_nc_u32_e32 v6, 32, v6
	v_min_u32_e32 v13, 1, v13
	v_or_b32_e32 v13, v14, v13
	v_cvt_f32_u32_e32 v13, v13
	v_ldexp_f32 v6, v13, v6
	s_branch .LBB14_1334
.LBB14_1332:
	s_mov_b32 s0, -1
                                        ; implicit-def: $vgpr6
.LBB14_1333:
	s_mov_b32 s14, 0
.LBB14_1334:
	s_and_b32 vcc_lo, exec_lo, s14
	s_cbranch_vccz .LBB14_1352
; %bb.1335:
	s_cmp_lt_i32 s6, 27
	s_cbranch_scc1 .LBB14_1338
; %bb.1336:
	s_cmp_gt_i32 s6, 27
	s_cbranch_scc0 .LBB14_1339
; %bb.1337:
	global_load_dword v6, v[0:1], off
	s_mov_b32 s13, 0
	s_waitcnt vmcnt(0)
	v_cvt_f32_u32_e32 v6, v6
	s_branch .LBB14_1340
.LBB14_1338:
	s_mov_b32 s13, -1
                                        ; implicit-def: $vgpr6
	s_branch .LBB14_1343
.LBB14_1339:
	s_mov_b32 s13, -1
                                        ; implicit-def: $vgpr6
.LBB14_1340:
	s_andn2_b32 vcc_lo, exec_lo, s13
	s_cbranch_vccnz .LBB14_1342
; %bb.1341:
	global_load_ushort v6, v[0:1], off
	s_waitcnt vmcnt(0)
	v_cvt_f32_u32_e32 v6, v6
.LBB14_1342:
	s_mov_b32 s13, 0
.LBB14_1343:
	s_andn2_b32 vcc_lo, exec_lo, s13
	s_cbranch_vccnz .LBB14_1351
; %bb.1344:
	global_load_ubyte v13, v[0:1], off
	s_mov_b32 s13, 0
	s_mov_b32 s14, exec_lo
	s_waitcnt vmcnt(0)
	v_cmpx_lt_i16_e32 0x7f, v13
	s_xor_b32 s14, exec_lo, s14
	s_cbranch_execz .LBB14_1365
; %bb.1345:
	s_mov_b32 s13, -1
	s_mov_b32 s15, exec_lo
	v_cmpx_eq_u16_e32 0x80, v13
; %bb.1346:
	s_xor_b32 s13, exec_lo, -1
; %bb.1347:
	s_or_b32 exec_lo, exec_lo, s15
	s_and_b32 s13, s13, exec_lo
	s_or_saveexec_b32 s14, s14
	v_mov_b32_e32 v6, 0x7f800001
	s_xor_b32 exec_lo, exec_lo, s14
	s_cbranch_execnz .LBB14_1366
.LBB14_1348:
	s_or_b32 exec_lo, exec_lo, s14
	s_and_saveexec_b32 s14, s13
	s_cbranch_execz .LBB14_1350
.LBB14_1349:
	v_and_b32_e32 v6, 0xffff, v13
	v_lshlrev_b32_e32 v13, 24, v13
	v_and_b32_e32 v14, 7, v6
	v_bfe_u32 v17, v6, 3, 4
	v_and_b32_e32 v13, 0x80000000, v13
	v_ffbh_u32_e32 v15, v14
	v_cmp_eq_u32_e32 vcc_lo, 0, v17
	v_min_u32_e32 v15, 32, v15
	v_subrev_nc_u32_e32 v16, 28, v15
	v_sub_nc_u32_e32 v15, 29, v15
	v_lshlrev_b32_e32 v6, v16, v6
	v_cndmask_b32_e32 v15, v17, v15, vcc_lo
	v_and_b32_e32 v6, 7, v6
	v_cndmask_b32_e32 v6, v14, v6, vcc_lo
	v_lshl_add_u32 v14, v15, 23, 0x3b800000
	v_lshlrev_b32_e32 v6, 20, v6
	v_or3_b32 v6, v13, v14, v6
.LBB14_1350:
	s_or_b32 exec_lo, exec_lo, s14
.LBB14_1351:
	s_mov_b32 s13, -1
.LBB14_1352:
	s_mov_b32 s14, 0
.LBB14_1353:
	s_and_b32 vcc_lo, exec_lo, s14
	s_cbranch_vccz .LBB14_1386
; %bb.1354:
	s_cmp_gt_i32 s6, 22
	s_cbranch_scc0 .LBB14_1364
; %bb.1355:
	s_cmp_lt_i32 s6, 24
	s_cbranch_scc1 .LBB14_1367
; %bb.1356:
	s_cmp_gt_i32 s6, 24
	s_cbranch_scc0 .LBB14_1368
; %bb.1357:
	global_load_ubyte v13, v[0:1], off
	s_mov_b32 s13, exec_lo
	s_waitcnt vmcnt(0)
	v_cmpx_lt_i16_e32 0x7f, v13
	s_xor_b32 s13, exec_lo, s13
	s_cbranch_execz .LBB14_1380
; %bb.1358:
	s_mov_b32 s1, -1
	s_mov_b32 s14, exec_lo
	v_cmpx_eq_u16_e32 0x80, v13
; %bb.1359:
	s_xor_b32 s1, exec_lo, -1
; %bb.1360:
	s_or_b32 exec_lo, exec_lo, s14
	s_and_b32 s1, s1, exec_lo
	s_or_saveexec_b32 s13, s13
	v_mov_b32_e32 v6, 0x7f800001
	s_xor_b32 exec_lo, exec_lo, s13
	s_cbranch_execnz .LBB14_1381
.LBB14_1361:
	s_or_b32 exec_lo, exec_lo, s13
	s_and_saveexec_b32 s13, s1
	s_cbranch_execz .LBB14_1363
.LBB14_1362:
	v_and_b32_e32 v6, 0xffff, v13
	v_lshlrev_b32_e32 v13, 24, v13
	v_and_b32_e32 v14, 3, v6
	v_bfe_u32 v17, v6, 2, 5
	v_and_b32_e32 v13, 0x80000000, v13
	v_ffbh_u32_e32 v15, v14
	v_cmp_eq_u32_e32 vcc_lo, 0, v17
	v_min_u32_e32 v15, 32, v15
	v_subrev_nc_u32_e32 v16, 29, v15
	v_sub_nc_u32_e32 v15, 30, v15
	v_lshlrev_b32_e32 v6, v16, v6
	v_cndmask_b32_e32 v15, v17, v15, vcc_lo
	v_and_b32_e32 v6, 3, v6
	v_cndmask_b32_e32 v6, v14, v6, vcc_lo
	v_lshl_add_u32 v14, v15, 23, 0x37800000
	v_lshlrev_b32_e32 v6, 21, v6
	v_or3_b32 v6, v13, v14, v6
.LBB14_1363:
	s_or_b32 exec_lo, exec_lo, s13
	s_mov_b32 s1, 0
	s_branch .LBB14_1369
.LBB14_1364:
	s_mov_b32 s1, -1
                                        ; implicit-def: $vgpr6
	s_branch .LBB14_1375
.LBB14_1365:
	s_or_saveexec_b32 s14, s14
	v_mov_b32_e32 v6, 0x7f800001
	s_xor_b32 exec_lo, exec_lo, s14
	s_cbranch_execz .LBB14_1348
.LBB14_1366:
	v_cmp_ne_u16_e32 vcc_lo, 0, v13
	v_mov_b32_e32 v6, 0
	s_andn2_b32 s13, s13, exec_lo
	s_and_b32 s15, vcc_lo, exec_lo
	s_or_b32 s13, s13, s15
	s_or_b32 exec_lo, exec_lo, s14
	s_and_saveexec_b32 s14, s13
	s_cbranch_execnz .LBB14_1349
	s_branch .LBB14_1350
.LBB14_1367:
	s_mov_b32 s1, -1
                                        ; implicit-def: $vgpr6
	s_branch .LBB14_1372
.LBB14_1368:
	s_mov_b32 s1, -1
                                        ; implicit-def: $vgpr6
.LBB14_1369:
	s_and_b32 vcc_lo, exec_lo, s1
	s_cbranch_vccz .LBB14_1371
; %bb.1370:
	global_load_ubyte v6, v[0:1], off
	s_waitcnt vmcnt(0)
	v_lshlrev_b32_e32 v6, 24, v6
	v_and_b32_e32 v13, 0x7f000000, v6
	v_ffbh_u32_e32 v14, v13
	v_add_nc_u32_e32 v16, 0x1000000, v13
	v_cmp_ne_u32_e32 vcc_lo, 0, v13
	v_min_u32_e32 v14, 32, v14
	v_sub_nc_u32_e64 v14, v14, 4 clamp
	v_lshlrev_b32_e32 v15, v14, v13
	v_lshlrev_b32_e32 v14, 23, v14
	v_lshrrev_b32_e32 v15, 4, v15
	v_sub_nc_u32_e32 v14, v15, v14
	v_ashrrev_i32_e32 v15, 8, v16
	v_add_nc_u32_e32 v14, 0x3c000000, v14
	v_and_or_b32 v14, 0x7f800000, v15, v14
	v_cndmask_b32_e32 v13, 0, v14, vcc_lo
	v_and_or_b32 v6, 0x80000000, v6, v13
.LBB14_1371:
	s_mov_b32 s1, 0
.LBB14_1372:
	s_andn2_b32 vcc_lo, exec_lo, s1
	s_cbranch_vccnz .LBB14_1374
; %bb.1373:
	global_load_ubyte v6, v[0:1], off
	s_waitcnt vmcnt(0)
	v_lshlrev_b32_e32 v13, 25, v6
	v_lshlrev_b16 v6, 8, v6
	v_lshrrev_b32_e32 v14, 4, v13
	v_and_or_b32 v15, 0x7f00, v6, 0.5
	v_cmp_gt_u32_e32 vcc_lo, 0x8000000, v13
	v_bfe_i32 v6, v6, 0, 16
	v_or_b32_e32 v14, 0x70000000, v14
	v_add_f32_e32 v15, -0.5, v15
	v_mul_f32_e32 v14, 0x7800000, v14
	v_cndmask_b32_e32 v13, v14, v15, vcc_lo
	v_and_or_b32 v6, 0x80000000, v6, v13
.LBB14_1374:
	s_mov_b32 s1, 0
	s_mov_b32 s13, -1
.LBB14_1375:
	s_andn2_b32 vcc_lo, exec_lo, s1
	s_mov_b32 s1, 0
	s_cbranch_vccnz .LBB14_1386
; %bb.1376:
	s_cmp_gt_i32 s6, 14
	s_cbranch_scc0 .LBB14_1379
; %bb.1377:
	s_cmp_eq_u32 s6, 15
	s_cbranch_scc0 .LBB14_1382
; %bb.1378:
	global_load_ushort v6, v[0:1], off
	s_mov_b32 s0, 0
	s_mov_b32 s13, -1
	s_waitcnt vmcnt(0)
	v_lshlrev_b32_e32 v6, 16, v6
	s_branch .LBB14_1384
.LBB14_1379:
	s_mov_b32 s1, -1
	s_branch .LBB14_1383
.LBB14_1380:
	s_or_saveexec_b32 s13, s13
	v_mov_b32_e32 v6, 0x7f800001
	s_xor_b32 exec_lo, exec_lo, s13
	s_cbranch_execz .LBB14_1361
.LBB14_1381:
	v_cmp_ne_u16_e32 vcc_lo, 0, v13
	v_mov_b32_e32 v6, 0
	s_andn2_b32 s1, s1, exec_lo
	s_and_b32 s14, vcc_lo, exec_lo
	s_or_b32 s1, s1, s14
	s_or_b32 exec_lo, exec_lo, s13
	s_and_saveexec_b32 s13, s1
	s_cbranch_execnz .LBB14_1362
	s_branch .LBB14_1363
.LBB14_1382:
	s_mov_b32 s0, -1
.LBB14_1383:
                                        ; implicit-def: $vgpr6
.LBB14_1384:
	s_and_b32 vcc_lo, exec_lo, s1
	s_mov_b32 s1, 0
	s_cbranch_vccz .LBB14_1386
; %bb.1385:
	s_cmp_lg_u32 s6, 11
	s_mov_b32 s1, -1
	s_cselect_b32 s0, -1, 0
.LBB14_1386:
	s_and_b32 vcc_lo, exec_lo, s0
	s_cbranch_vccnz .LBB14_1453
; %bb.1387:
	s_andn2_b32 vcc_lo, exec_lo, s1
	s_cbranch_vccnz .LBB14_1389
.LBB14_1388:
	global_load_ubyte v6, v[0:1], off
	s_mov_b32 s13, -1
	s_waitcnt vmcnt(0)
	v_cmp_ne_u16_e32 vcc_lo, 0, v6
	v_cndmask_b32_e64 v6, 0, 1.0, vcc_lo
.LBB14_1389:
	s_branch .LBB14_1316
.LBB14_1390:
	s_cmp_lt_i32 s6, 5
	s_cbranch_scc1 .LBB14_1395
; %bb.1391:
	s_cmp_lt_i32 s6, 8
	s_cbranch_scc1 .LBB14_1396
; %bb.1392:
	;; [unrolled: 3-line block ×3, first 2 shown]
	s_cmp_gt_i32 s6, 9
	s_cbranch_scc0 .LBB14_1398
; %bb.1394:
	global_load_dwordx2 v[13:14], v[0:1], off
	s_mov_b32 s0, 0
	s_waitcnt vmcnt(0)
	v_cvt_f32_f64_e32 v6, v[13:14]
	s_branch .LBB14_1399
.LBB14_1395:
	s_mov_b32 s0, -1
                                        ; implicit-def: $vgpr6
	s_branch .LBB14_1417
.LBB14_1396:
	s_mov_b32 s0, -1
                                        ; implicit-def: $vgpr6
	s_branch .LBB14_1405
.LBB14_1397:
	s_mov_b32 s0, -1
                                        ; implicit-def: $vgpr6
	s_branch .LBB14_1402
.LBB14_1398:
	s_mov_b32 s0, -1
                                        ; implicit-def: $vgpr6
.LBB14_1399:
	s_andn2_b32 vcc_lo, exec_lo, s0
	s_cbranch_vccnz .LBB14_1401
; %bb.1400:
	global_load_dword v6, v[0:1], off
.LBB14_1401:
	s_mov_b32 s0, 0
.LBB14_1402:
	s_andn2_b32 vcc_lo, exec_lo, s0
	s_cbranch_vccnz .LBB14_1404
; %bb.1403:
	global_load_dword v6, v[0:1], off
	s_waitcnt vmcnt(0)
	v_cvt_f32_f16_e32 v6, v6
.LBB14_1404:
	s_mov_b32 s0, 0
.LBB14_1405:
	s_andn2_b32 vcc_lo, exec_lo, s0
	s_cbranch_vccnz .LBB14_1416
; %bb.1406:
	s_cmp_lt_i32 s6, 6
	s_cbranch_scc1 .LBB14_1409
; %bb.1407:
	s_cmp_gt_i32 s6, 6
	s_cbranch_scc0 .LBB14_1410
; %bb.1408:
	global_load_dwordx2 v[13:14], v[0:1], off
	s_mov_b32 s0, 0
	s_waitcnt vmcnt(0)
	v_cvt_f32_f64_e32 v6, v[13:14]
	s_branch .LBB14_1411
.LBB14_1409:
	s_mov_b32 s0, -1
                                        ; implicit-def: $vgpr6
	s_branch .LBB14_1414
.LBB14_1410:
	s_mov_b32 s0, -1
                                        ; implicit-def: $vgpr6
.LBB14_1411:
	s_andn2_b32 vcc_lo, exec_lo, s0
	s_cbranch_vccnz .LBB14_1413
; %bb.1412:
	global_load_dword v6, v[0:1], off
.LBB14_1413:
	s_mov_b32 s0, 0
.LBB14_1414:
	s_andn2_b32 vcc_lo, exec_lo, s0
	s_cbranch_vccnz .LBB14_1416
; %bb.1415:
	global_load_ushort v6, v[0:1], off
	s_waitcnt vmcnt(0)
	v_cvt_f32_f16_e32 v6, v6
.LBB14_1416:
	s_mov_b32 s0, 0
.LBB14_1417:
	s_andn2_b32 vcc_lo, exec_lo, s0
	s_cbranch_vccnz .LBB14_1437
; %bb.1418:
	s_cmp_lt_i32 s6, 2
	s_cbranch_scc1 .LBB14_1422
; %bb.1419:
	s_cmp_lt_i32 s6, 3
	s_cbranch_scc1 .LBB14_1423
; %bb.1420:
	s_cmp_gt_i32 s6, 3
	s_cbranch_scc0 .LBB14_1424
; %bb.1421:
	global_load_dwordx2 v[13:14], v[0:1], off
	s_mov_b32 s0, 0
	s_waitcnt vmcnt(0)
	v_xor_b32_e32 v6, v13, v14
	v_ffbh_i32_e32 v15, v14
	v_ashrrev_i32_e32 v6, 31, v6
	v_add_nc_u32_e32 v15, -1, v15
	v_add_nc_u32_e32 v6, 32, v6
	v_min_u32_e32 v6, v15, v6
	v_lshlrev_b64 v[13:14], v6, v[13:14]
	v_sub_nc_u32_e32 v6, 32, v6
	v_min_u32_e32 v13, 1, v13
	v_or_b32_e32 v13, v14, v13
	v_cvt_f32_i32_e32 v13, v13
	v_ldexp_f32 v6, v13, v6
	s_branch .LBB14_1425
.LBB14_1422:
	s_mov_b32 s0, -1
                                        ; implicit-def: $vgpr6
	s_branch .LBB14_1431
.LBB14_1423:
	s_mov_b32 s0, -1
                                        ; implicit-def: $vgpr6
	s_branch .LBB14_1428
.LBB14_1424:
	s_mov_b32 s0, -1
                                        ; implicit-def: $vgpr6
.LBB14_1425:
	s_andn2_b32 vcc_lo, exec_lo, s0
	s_cbranch_vccnz .LBB14_1427
; %bb.1426:
	global_load_dword v6, v[0:1], off
	s_waitcnt vmcnt(0)
	v_cvt_f32_i32_e32 v6, v6
.LBB14_1427:
	s_mov_b32 s0, 0
.LBB14_1428:
	s_andn2_b32 vcc_lo, exec_lo, s0
	s_cbranch_vccnz .LBB14_1430
; %bb.1429:
	global_load_sshort v6, v[0:1], off
	s_waitcnt vmcnt(0)
	v_cvt_f32_i32_e32 v6, v6
.LBB14_1430:
	s_mov_b32 s0, 0
.LBB14_1431:
	s_andn2_b32 vcc_lo, exec_lo, s0
	s_cbranch_vccnz .LBB14_1437
; %bb.1432:
	s_cmp_gt_i32 s6, 0
	s_mov_b32 s0, 0
	s_cbranch_scc0 .LBB14_1434
; %bb.1433:
	global_load_sbyte v6, v[0:1], off
	s_waitcnt vmcnt(0)
	v_cvt_f32_i32_e32 v6, v6
	s_branch .LBB14_1435
.LBB14_1434:
	s_mov_b32 s0, -1
                                        ; implicit-def: $vgpr6
.LBB14_1435:
	s_andn2_b32 vcc_lo, exec_lo, s0
	s_cbranch_vccnz .LBB14_1437
; %bb.1436:
	global_load_ubyte v0, v[0:1], off
	s_waitcnt vmcnt(0)
	v_cvt_f32_ubyte0_e32 v6, v0
.LBB14_1437:
.LBB14_1438:
	s_waitcnt vmcnt(0)
	v_and_b32_e32 v13, 0x7fffffff, v6
                                        ; implicit-def: $vgpr15
                                        ; implicit-def: $vgpr14
	s_mov_b32 s1, exec_lo
	v_cmpx_ngt_f32_e64 0x48000000, |v6|
	s_xor_b32 s13, exec_lo, s1
	s_cbranch_execz .LBB14_1440
; %bb.1439:
	s_mov_b32 s0, 0x7fffff
	v_mov_b32_e32 v15, 0
	v_and_or_b32 v22, v13, s0, 0x800000
	v_mad_u64_u32 v[0:1], null, 0xfe5163ab, v22, 0
	v_mov_b32_e32 v14, v1
	v_lshrrev_b32_e32 v1, 23, v13
	v_mad_u64_u32 v[16:17], null, 0x3c439041, v22, v[14:15]
	v_add_nc_u32_e32 v1, 0xffffff88, v1
	v_cmp_lt_u32_e32 vcc_lo, 63, v1
	v_mov_b32_e32 v14, v17
	v_cndmask_b32_e64 v21, 0, 0xffffffc0, vcc_lo
	v_mad_u64_u32 v[17:18], null, 0xdb629599, v22, v[14:15]
	v_add_nc_u32_e32 v1, v21, v1
	v_mov_b32_e32 v14, v18
	v_cmp_lt_u32_e64 s0, 31, v1
	v_cndmask_b32_e32 v0, v17, v0, vcc_lo
	v_mad_u64_u32 v[18:19], null, 0xf534ddc0, v22, v[14:15]
	v_cndmask_b32_e64 v23, 0, 0xffffffe0, s0
	v_add_nc_u32_e32 v1, v23, v1
	v_mov_b32_e32 v14, v19
	v_cndmask_b32_e32 v16, v18, v16, vcc_lo
	v_cmp_lt_u32_e64 s1, 31, v1
	v_mad_u64_u32 v[19:20], null, 0xfc2757d1, v22, v[14:15]
	v_cndmask_b32_e64 v0, v16, v0, s0
	v_mov_b32_e32 v14, v20
	v_mad_u64_u32 v[20:21], null, 0x4e441529, v22, v[14:15]
	v_mov_b32_e32 v14, v21
	v_cndmask_b32_e64 v21, 0, 0xffffffe0, s1
	v_mad_u64_u32 v[14:15], null, 0xa2f9836e, v22, v[14:15]
	v_cndmask_b32_e32 v22, v20, v18, vcc_lo
	v_add_nc_u32_e32 v1, v21, v1
	v_cndmask_b32_e32 v14, v14, v19, vcc_lo
	v_cndmask_b32_e32 v15, v15, v20, vcc_lo
	;; [unrolled: 1-line block ×3, first 2 shown]
	v_sub_nc_u32_e32 v20, 32, v1
	v_cmp_eq_u32_e32 vcc_lo, 0, v1
	v_cndmask_b32_e64 v18, v14, v22, s0
	v_cndmask_b32_e64 v14, v15, v14, s0
	;; [unrolled: 1-line block ×8, first 2 shown]
	v_alignbit_b32 v21, v14, v18, v20
	v_alignbit_b32 v17, v18, v15, v20
	;; [unrolled: 1-line block ×3, first 2 shown]
	v_cndmask_b32_e32 v1, v21, v14, vcc_lo
	v_cndmask_b32_e32 v14, v17, v18, vcc_lo
	;; [unrolled: 1-line block ×3, first 2 shown]
	v_bfe_u32 v16, v1, 29, 1
	v_alignbit_b32 v17, v1, v14, 30
	v_alignbit_b32 v14, v14, v15, 30
	;; [unrolled: 1-line block ×3, first 2 shown]
	v_sub_nc_u32_e32 v18, 0, v16
	v_xor_b32_e32 v17, v17, v18
	v_xor_b32_e32 v14, v14, v18
	;; [unrolled: 1-line block ×3, first 2 shown]
	v_lshrrev_b32_e32 v18, 29, v1
	v_ffbh_u32_e32 v19, v17
	v_min_u32_e32 v19, 32, v19
	v_sub_nc_u32_e32 v15, 31, v19
	v_lshlrev_b32_e32 v20, 23, v19
	v_alignbit_b32 v17, v17, v14, v15
	v_alignbit_b32 v0, v14, v0, v15
	v_lshlrev_b32_e32 v14, 31, v18
	v_alignbit_b32 v15, v17, v0, 9
	v_or_b32_e32 v18, 0.5, v14
	v_lshrrev_b32_e32 v17, 9, v17
	v_or_b32_e32 v14, 0x33000000, v14
	v_ffbh_u32_e32 v21, v15
	v_sub_nc_u32_e32 v18, v18, v20
	v_min_u32_e32 v20, 32, v21
	v_or_b32_e32 v17, v17, v18
	v_not_b32_e32 v18, v20
	v_mul_f32_e32 v21, 0x3fc90fda, v17
	v_add_lshl_u32 v19, v20, v19, 23
	v_alignbit_b32 v0, v15, v0, v18
	v_fma_f32 v15, 0x3fc90fda, v17, -v21
	v_sub_nc_u32_e32 v14, v14, v19
	v_lshrrev_b32_e32 v0, 9, v0
	v_fmamk_f32 v15, v17, 0x33a22168, v15
	v_or_b32_e32 v0, v14, v0
	v_fmac_f32_e32 v15, 0x3fc90fda, v0
	v_lshrrev_b32_e32 v0, 30, v1
	v_add_f32_e32 v14, v21, v15
	v_add_nc_u32_e32 v15, v16, v0
.LBB14_1440:
	s_andn2_saveexec_b32 s0, s13
; %bb.1441:
	v_mul_f32_e64 v0, 0x3f22f983, |v6|
	v_rndne_f32_e32 v0, v0
	v_fma_f32 v1, 0xbfc90fda, v0, |v6|
	v_cvt_i32_f32_e32 v15, v0
	v_fmamk_f32 v1, v0, 0xb3a22168, v1
	v_fmamk_f32 v14, v0, 0xa7c234c4, v1
; %bb.1442:
	s_or_b32 exec_lo, exec_lo, s0
	v_add_nc_u32_e32 v0, s3, v7
	s_cmp_lt_i32 s6, 11
	v_ashrrev_i32_e32 v1, 31, v0
	v_add_co_u32 v0, vcc_lo, s10, v0
	v_add_co_ci_u32_e64 v1, null, s11, v1, vcc_lo
	s_cbranch_scc1 .LBB14_1449
; %bb.1443:
	s_cmp_gt_i32 s6, 25
	s_mov_b32 s1, 0
	s_cbranch_scc0 .LBB14_1450
; %bb.1444:
	s_cmp_gt_i32 s6, 28
	s_cbranch_scc0 .LBB14_1451
; %bb.1445:
	s_cmp_gt_i32 s6, 43
	;; [unrolled: 3-line block ×3, first 2 shown]
	s_cbranch_scc0 .LBB14_1454
; %bb.1447:
	s_cmp_eq_u32 s6, 46
	s_mov_b32 s10, 0
	s_cbranch_scc0 .LBB14_1455
; %bb.1448:
	global_load_dword v7, v[0:1], off
	s_mov_b32 s0, 0
	s_mov_b32 s3, -1
	s_waitcnt vmcnt(0)
	v_lshlrev_b32_e32 v7, 16, v7
	s_branch .LBB14_1457
.LBB14_1449:
	s_mov_b32 s0, -1
	s_mov_b32 s3, 0
                                        ; implicit-def: $vgpr7
	s_branch .LBB14_1523
.LBB14_1450:
	s_mov_b32 s10, -1
	s_mov_b32 s3, 0
	s_mov_b32 s0, 0
                                        ; implicit-def: $vgpr7
	s_branch .LBB14_1486
.LBB14_1451:
	s_mov_b32 s10, -1
	s_mov_b32 s3, 0
	s_mov_b32 s0, 0
                                        ; implicit-def: $vgpr7
	s_branch .LBB14_1467
.LBB14_1452:
	s_mov_b32 s10, -1
	s_mov_b32 s3, 0
	s_mov_b32 s0, 0
                                        ; implicit-def: $vgpr7
	s_branch .LBB14_1462
.LBB14_1453:
	s_or_b32 s5, s5, exec_lo
	s_trap 2
	s_cbranch_execz .LBB14_1388
	s_branch .LBB14_1389
.LBB14_1454:
	s_mov_b32 s10, -1
	s_mov_b32 s3, 0
	s_mov_b32 s0, 0
	s_branch .LBB14_1456
.LBB14_1455:
	s_mov_b32 s0, -1
	s_mov_b32 s3, 0
.LBB14_1456:
                                        ; implicit-def: $vgpr7
.LBB14_1457:
	s_and_b32 vcc_lo, exec_lo, s10
	s_cbranch_vccz .LBB14_1461
; %bb.1458:
	s_cmp_eq_u32 s6, 44
	s_cbranch_scc0 .LBB14_1460
; %bb.1459:
	global_load_ubyte v7, v[0:1], off
	s_mov_b32 s0, 0
	s_mov_b32 s3, -1
	s_waitcnt vmcnt(0)
	v_lshlrev_b32_e32 v16, 23, v7
	v_cmp_ne_u32_e32 vcc_lo, 0xff, v7
	v_cndmask_b32_e32 v16, 0x7f800001, v16, vcc_lo
	v_cmp_ne_u32_e32 vcc_lo, 0, v7
	v_cndmask_b32_e32 v7, 0x400000, v16, vcc_lo
	s_branch .LBB14_1461
.LBB14_1460:
	s_mov_b32 s0, -1
                                        ; implicit-def: $vgpr7
.LBB14_1461:
	s_mov_b32 s10, 0
.LBB14_1462:
	s_and_b32 vcc_lo, exec_lo, s10
	s_cbranch_vccz .LBB14_1466
; %bb.1463:
	s_cmp_eq_u32 s6, 29
	s_cbranch_scc0 .LBB14_1465
; %bb.1464:
	global_load_dwordx2 v[16:17], v[0:1], off
	s_mov_b32 s0, 0
	s_mov_b32 s3, -1
	s_mov_b32 s10, 0
	s_waitcnt vmcnt(0)
	v_ffbh_u32_e32 v7, v17
	v_min_u32_e32 v7, 32, v7
	v_lshlrev_b64 v[16:17], v7, v[16:17]
	v_sub_nc_u32_e32 v7, 32, v7
	v_min_u32_e32 v16, 1, v16
	v_or_b32_e32 v16, v17, v16
	v_cvt_f32_u32_e32 v16, v16
	v_ldexp_f32 v7, v16, v7
	s_branch .LBB14_1467
.LBB14_1465:
	s_mov_b32 s0, -1
                                        ; implicit-def: $vgpr7
.LBB14_1466:
	s_mov_b32 s10, 0
.LBB14_1467:
	s_and_b32 vcc_lo, exec_lo, s10
	s_cbranch_vccz .LBB14_1485
; %bb.1468:
	s_cmp_lt_i32 s6, 27
	s_cbranch_scc1 .LBB14_1471
; %bb.1469:
	s_cmp_gt_i32 s6, 27
	s_cbranch_scc0 .LBB14_1472
; %bb.1470:
	global_load_dword v7, v[0:1], off
	s_mov_b32 s3, 0
	s_waitcnt vmcnt(0)
	v_cvt_f32_u32_e32 v7, v7
	s_branch .LBB14_1473
.LBB14_1471:
	s_mov_b32 s3, -1
                                        ; implicit-def: $vgpr7
	s_branch .LBB14_1476
.LBB14_1472:
	s_mov_b32 s3, -1
                                        ; implicit-def: $vgpr7
.LBB14_1473:
	s_andn2_b32 vcc_lo, exec_lo, s3
	s_cbranch_vccnz .LBB14_1475
; %bb.1474:
	global_load_ushort v7, v[0:1], off
	s_waitcnt vmcnt(0)
	v_cvt_f32_u32_e32 v7, v7
.LBB14_1475:
	s_mov_b32 s3, 0
.LBB14_1476:
	s_andn2_b32 vcc_lo, exec_lo, s3
	s_cbranch_vccnz .LBB14_1484
; %bb.1477:
	global_load_ubyte v16, v[0:1], off
	s_mov_b32 s3, 0
	s_mov_b32 s10, exec_lo
	s_waitcnt vmcnt(0)
	v_cmpx_lt_i16_e32 0x7f, v16
	s_xor_b32 s10, exec_lo, s10
	s_cbranch_execz .LBB14_1498
; %bb.1478:
	s_mov_b32 s3, -1
	s_mov_b32 s11, exec_lo
	v_cmpx_eq_u16_e32 0x80, v16
; %bb.1479:
	s_xor_b32 s3, exec_lo, -1
; %bb.1480:
	s_or_b32 exec_lo, exec_lo, s11
	s_and_b32 s3, s3, exec_lo
	s_or_saveexec_b32 s10, s10
	v_mov_b32_e32 v7, 0x7f800001
	s_xor_b32 exec_lo, exec_lo, s10
	s_cbranch_execnz .LBB14_1499
.LBB14_1481:
	s_or_b32 exec_lo, exec_lo, s10
	s_and_saveexec_b32 s10, s3
	s_cbranch_execz .LBB14_1483
.LBB14_1482:
	v_and_b32_e32 v7, 0xffff, v16
	v_lshlrev_b32_e32 v16, 24, v16
	v_and_b32_e32 v17, 7, v7
	v_bfe_u32 v20, v7, 3, 4
	v_and_b32_e32 v16, 0x80000000, v16
	v_ffbh_u32_e32 v18, v17
	v_cmp_eq_u32_e32 vcc_lo, 0, v20
	v_min_u32_e32 v18, 32, v18
	v_subrev_nc_u32_e32 v19, 28, v18
	v_sub_nc_u32_e32 v18, 29, v18
	v_lshlrev_b32_e32 v7, v19, v7
	v_cndmask_b32_e32 v18, v20, v18, vcc_lo
	v_and_b32_e32 v7, 7, v7
	v_cndmask_b32_e32 v7, v17, v7, vcc_lo
	v_lshl_add_u32 v17, v18, 23, 0x3b800000
	v_lshlrev_b32_e32 v7, 20, v7
	v_or3_b32 v7, v16, v17, v7
.LBB14_1483:
	s_or_b32 exec_lo, exec_lo, s10
.LBB14_1484:
	s_mov_b32 s3, -1
.LBB14_1485:
	s_mov_b32 s10, 0
.LBB14_1486:
	s_and_b32 vcc_lo, exec_lo, s10
	s_cbranch_vccz .LBB14_1519
; %bb.1487:
	s_cmp_gt_i32 s6, 22
	s_cbranch_scc0 .LBB14_1497
; %bb.1488:
	s_cmp_lt_i32 s6, 24
	s_cbranch_scc1 .LBB14_1500
; %bb.1489:
	s_cmp_gt_i32 s6, 24
	s_cbranch_scc0 .LBB14_1501
; %bb.1490:
	global_load_ubyte v16, v[0:1], off
	s_mov_b32 s3, exec_lo
	s_waitcnt vmcnt(0)
	v_cmpx_lt_i16_e32 0x7f, v16
	s_xor_b32 s3, exec_lo, s3
	s_cbranch_execz .LBB14_1513
; %bb.1491:
	s_mov_b32 s1, -1
	s_mov_b32 s10, exec_lo
	v_cmpx_eq_u16_e32 0x80, v16
; %bb.1492:
	s_xor_b32 s1, exec_lo, -1
; %bb.1493:
	s_or_b32 exec_lo, exec_lo, s10
	s_and_b32 s1, s1, exec_lo
	s_or_saveexec_b32 s3, s3
	v_mov_b32_e32 v7, 0x7f800001
	s_xor_b32 exec_lo, exec_lo, s3
	s_cbranch_execnz .LBB14_1514
.LBB14_1494:
	s_or_b32 exec_lo, exec_lo, s3
	s_and_saveexec_b32 s3, s1
	s_cbranch_execz .LBB14_1496
.LBB14_1495:
	v_and_b32_e32 v7, 0xffff, v16
	v_lshlrev_b32_e32 v16, 24, v16
	v_and_b32_e32 v17, 3, v7
	v_bfe_u32 v20, v7, 2, 5
	v_and_b32_e32 v16, 0x80000000, v16
	v_ffbh_u32_e32 v18, v17
	v_cmp_eq_u32_e32 vcc_lo, 0, v20
	v_min_u32_e32 v18, 32, v18
	v_subrev_nc_u32_e32 v19, 29, v18
	v_sub_nc_u32_e32 v18, 30, v18
	v_lshlrev_b32_e32 v7, v19, v7
	v_cndmask_b32_e32 v18, v20, v18, vcc_lo
	v_and_b32_e32 v7, 3, v7
	v_cndmask_b32_e32 v7, v17, v7, vcc_lo
	v_lshl_add_u32 v17, v18, 23, 0x37800000
	v_lshlrev_b32_e32 v7, 21, v7
	v_or3_b32 v7, v16, v17, v7
.LBB14_1496:
	s_or_b32 exec_lo, exec_lo, s3
	s_mov_b32 s1, 0
	s_branch .LBB14_1502
.LBB14_1497:
	s_mov_b32 s1, -1
                                        ; implicit-def: $vgpr7
	s_branch .LBB14_1508
.LBB14_1498:
	s_or_saveexec_b32 s10, s10
	v_mov_b32_e32 v7, 0x7f800001
	s_xor_b32 exec_lo, exec_lo, s10
	s_cbranch_execz .LBB14_1481
.LBB14_1499:
	v_cmp_ne_u16_e32 vcc_lo, 0, v16
	v_mov_b32_e32 v7, 0
	s_andn2_b32 s3, s3, exec_lo
	s_and_b32 s11, vcc_lo, exec_lo
	s_or_b32 s3, s3, s11
	s_or_b32 exec_lo, exec_lo, s10
	s_and_saveexec_b32 s10, s3
	s_cbranch_execnz .LBB14_1482
	s_branch .LBB14_1483
.LBB14_1500:
	s_mov_b32 s1, -1
                                        ; implicit-def: $vgpr7
	s_branch .LBB14_1505
.LBB14_1501:
	s_mov_b32 s1, -1
                                        ; implicit-def: $vgpr7
.LBB14_1502:
	s_and_b32 vcc_lo, exec_lo, s1
	s_cbranch_vccz .LBB14_1504
; %bb.1503:
	global_load_ubyte v7, v[0:1], off
	s_waitcnt vmcnt(0)
	v_lshlrev_b32_e32 v7, 24, v7
	v_and_b32_e32 v16, 0x7f000000, v7
	v_ffbh_u32_e32 v17, v16
	v_add_nc_u32_e32 v19, 0x1000000, v16
	v_cmp_ne_u32_e32 vcc_lo, 0, v16
	v_min_u32_e32 v17, 32, v17
	v_sub_nc_u32_e64 v17, v17, 4 clamp
	v_lshlrev_b32_e32 v18, v17, v16
	v_lshlrev_b32_e32 v17, 23, v17
	v_lshrrev_b32_e32 v18, 4, v18
	v_sub_nc_u32_e32 v17, v18, v17
	v_ashrrev_i32_e32 v18, 8, v19
	v_add_nc_u32_e32 v17, 0x3c000000, v17
	v_and_or_b32 v17, 0x7f800000, v18, v17
	v_cndmask_b32_e32 v16, 0, v17, vcc_lo
	v_and_or_b32 v7, 0x80000000, v7, v16
.LBB14_1504:
	s_mov_b32 s1, 0
.LBB14_1505:
	s_andn2_b32 vcc_lo, exec_lo, s1
	s_cbranch_vccnz .LBB14_1507
; %bb.1506:
	global_load_ubyte v7, v[0:1], off
	s_waitcnt vmcnt(0)
	v_lshlrev_b32_e32 v16, 25, v7
	v_lshlrev_b16 v7, 8, v7
	v_lshrrev_b32_e32 v17, 4, v16
	v_and_or_b32 v18, 0x7f00, v7, 0.5
	v_cmp_gt_u32_e32 vcc_lo, 0x8000000, v16
	v_bfe_i32 v7, v7, 0, 16
	v_or_b32_e32 v17, 0x70000000, v17
	v_add_f32_e32 v18, -0.5, v18
	v_mul_f32_e32 v17, 0x7800000, v17
	v_cndmask_b32_e32 v16, v17, v18, vcc_lo
	v_and_or_b32 v7, 0x80000000, v7, v16
.LBB14_1507:
	s_mov_b32 s1, 0
	s_mov_b32 s3, -1
.LBB14_1508:
	s_andn2_b32 vcc_lo, exec_lo, s1
	s_mov_b32 s1, 0
	s_cbranch_vccnz .LBB14_1519
; %bb.1509:
	s_cmp_gt_i32 s6, 14
	s_cbranch_scc0 .LBB14_1512
; %bb.1510:
	s_cmp_eq_u32 s6, 15
	s_cbranch_scc0 .LBB14_1515
; %bb.1511:
	global_load_ushort v7, v[0:1], off
	s_mov_b32 s0, 0
	s_mov_b32 s3, -1
	s_waitcnt vmcnt(0)
	v_lshlrev_b32_e32 v7, 16, v7
	s_branch .LBB14_1517
.LBB14_1512:
	s_mov_b32 s1, -1
	s_branch .LBB14_1516
.LBB14_1513:
	s_or_saveexec_b32 s3, s3
	v_mov_b32_e32 v7, 0x7f800001
	s_xor_b32 exec_lo, exec_lo, s3
	s_cbranch_execz .LBB14_1494
.LBB14_1514:
	v_cmp_ne_u16_e32 vcc_lo, 0, v16
	v_mov_b32_e32 v7, 0
	s_andn2_b32 s1, s1, exec_lo
	s_and_b32 s10, vcc_lo, exec_lo
	s_or_b32 s1, s1, s10
	s_or_b32 exec_lo, exec_lo, s3
	s_and_saveexec_b32 s3, s1
	s_cbranch_execnz .LBB14_1495
	s_branch .LBB14_1496
.LBB14_1515:
	s_mov_b32 s0, -1
.LBB14_1516:
                                        ; implicit-def: $vgpr7
.LBB14_1517:
	s_and_b32 vcc_lo, exec_lo, s1
	s_mov_b32 s1, 0
	s_cbranch_vccz .LBB14_1519
; %bb.1518:
	s_cmp_lg_u32 s6, 11
	s_mov_b32 s1, -1
	s_cselect_b32 s0, -1, 0
.LBB14_1519:
	s_and_b32 vcc_lo, exec_lo, s0
	s_cbranch_vccnz .LBB14_2052
; %bb.1520:
	s_andn2_b32 vcc_lo, exec_lo, s1
	s_cbranch_vccnz .LBB14_1522
.LBB14_1521:
	global_load_ubyte v7, v[0:1], off
	s_mov_b32 s3, -1
	s_waitcnt vmcnt(0)
	v_cmp_ne_u16_e32 vcc_lo, 0, v7
	v_cndmask_b32_e64 v7, 0, 1.0, vcc_lo
.LBB14_1522:
	s_mov_b32 s0, 0
.LBB14_1523:
	s_and_b32 vcc_lo, exec_lo, s0
	s_cbranch_vccz .LBB14_1572
; %bb.1524:
	s_cmp_lt_i32 s6, 5
	s_cbranch_scc1 .LBB14_1529
; %bb.1525:
	s_cmp_lt_i32 s6, 8
	s_cbranch_scc1 .LBB14_1530
; %bb.1526:
	s_cmp_lt_i32 s6, 9
	s_cbranch_scc1 .LBB14_1531
; %bb.1527:
	s_cmp_gt_i32 s6, 9
	s_cbranch_scc0 .LBB14_1532
; %bb.1528:
	global_load_dwordx2 v[16:17], v[0:1], off
	s_mov_b32 s0, 0
	s_waitcnt vmcnt(0)
	v_cvt_f32_f64_e32 v7, v[16:17]
	s_branch .LBB14_1533
.LBB14_1529:
	s_mov_b32 s0, -1
                                        ; implicit-def: $vgpr7
	s_branch .LBB14_1551
.LBB14_1530:
	s_mov_b32 s0, -1
                                        ; implicit-def: $vgpr7
	s_branch .LBB14_1539
.LBB14_1531:
	s_mov_b32 s0, -1
                                        ; implicit-def: $vgpr7
	s_branch .LBB14_1536
.LBB14_1532:
	s_mov_b32 s0, -1
                                        ; implicit-def: $vgpr7
.LBB14_1533:
	s_andn2_b32 vcc_lo, exec_lo, s0
	s_cbranch_vccnz .LBB14_1535
; %bb.1534:
	global_load_dword v7, v[0:1], off
.LBB14_1535:
	s_mov_b32 s0, 0
.LBB14_1536:
	s_andn2_b32 vcc_lo, exec_lo, s0
	s_cbranch_vccnz .LBB14_1538
; %bb.1537:
	global_load_dword v7, v[0:1], off
	s_waitcnt vmcnt(0)
	v_cvt_f32_f16_e32 v7, v7
.LBB14_1538:
	s_mov_b32 s0, 0
.LBB14_1539:
	s_andn2_b32 vcc_lo, exec_lo, s0
	s_cbranch_vccnz .LBB14_1550
; %bb.1540:
	s_cmp_lt_i32 s6, 6
	s_cbranch_scc1 .LBB14_1543
; %bb.1541:
	s_cmp_gt_i32 s6, 6
	s_cbranch_scc0 .LBB14_1544
; %bb.1542:
	global_load_dwordx2 v[16:17], v[0:1], off
	s_mov_b32 s0, 0
	s_waitcnt vmcnt(0)
	v_cvt_f32_f64_e32 v7, v[16:17]
	s_branch .LBB14_1545
.LBB14_1543:
	s_mov_b32 s0, -1
                                        ; implicit-def: $vgpr7
	s_branch .LBB14_1548
.LBB14_1544:
	s_mov_b32 s0, -1
                                        ; implicit-def: $vgpr7
.LBB14_1545:
	s_andn2_b32 vcc_lo, exec_lo, s0
	s_cbranch_vccnz .LBB14_1547
; %bb.1546:
	global_load_dword v7, v[0:1], off
.LBB14_1547:
	s_mov_b32 s0, 0
.LBB14_1548:
	s_andn2_b32 vcc_lo, exec_lo, s0
	s_cbranch_vccnz .LBB14_1550
; %bb.1549:
	global_load_ushort v7, v[0:1], off
	s_waitcnt vmcnt(0)
	v_cvt_f32_f16_e32 v7, v7
.LBB14_1550:
	s_mov_b32 s0, 0
.LBB14_1551:
	s_andn2_b32 vcc_lo, exec_lo, s0
	s_cbranch_vccnz .LBB14_1571
; %bb.1552:
	s_cmp_lt_i32 s6, 2
	s_cbranch_scc1 .LBB14_1556
; %bb.1553:
	s_cmp_lt_i32 s6, 3
	s_cbranch_scc1 .LBB14_1557
; %bb.1554:
	s_cmp_gt_i32 s6, 3
	s_cbranch_scc0 .LBB14_1558
; %bb.1555:
	global_load_dwordx2 v[16:17], v[0:1], off
	s_mov_b32 s0, 0
	s_waitcnt vmcnt(0)
	v_xor_b32_e32 v7, v16, v17
	v_ffbh_i32_e32 v18, v17
	v_ashrrev_i32_e32 v7, 31, v7
	v_add_nc_u32_e32 v18, -1, v18
	v_add_nc_u32_e32 v7, 32, v7
	v_min_u32_e32 v7, v18, v7
	v_lshlrev_b64 v[16:17], v7, v[16:17]
	v_sub_nc_u32_e32 v7, 32, v7
	v_min_u32_e32 v16, 1, v16
	v_or_b32_e32 v16, v17, v16
	v_cvt_f32_i32_e32 v16, v16
	v_ldexp_f32 v7, v16, v7
	s_branch .LBB14_1559
.LBB14_1556:
	s_mov_b32 s0, -1
                                        ; implicit-def: $vgpr7
	s_branch .LBB14_1565
.LBB14_1557:
	s_mov_b32 s0, -1
                                        ; implicit-def: $vgpr7
	s_branch .LBB14_1562
.LBB14_1558:
	s_mov_b32 s0, -1
                                        ; implicit-def: $vgpr7
.LBB14_1559:
	s_andn2_b32 vcc_lo, exec_lo, s0
	s_cbranch_vccnz .LBB14_1561
; %bb.1560:
	global_load_dword v7, v[0:1], off
	s_waitcnt vmcnt(0)
	v_cvt_f32_i32_e32 v7, v7
.LBB14_1561:
	s_mov_b32 s0, 0
.LBB14_1562:
	s_andn2_b32 vcc_lo, exec_lo, s0
	s_cbranch_vccnz .LBB14_1564
; %bb.1563:
	global_load_sshort v7, v[0:1], off
	s_waitcnt vmcnt(0)
	v_cvt_f32_i32_e32 v7, v7
.LBB14_1564:
	s_mov_b32 s0, 0
.LBB14_1565:
	s_andn2_b32 vcc_lo, exec_lo, s0
	s_cbranch_vccnz .LBB14_1571
; %bb.1566:
	s_cmp_gt_i32 s6, 0
	s_mov_b32 s0, 0
	s_cbranch_scc0 .LBB14_1568
; %bb.1567:
	global_load_sbyte v7, v[0:1], off
	s_waitcnt vmcnt(0)
	v_cvt_f32_i32_e32 v7, v7
	s_branch .LBB14_1569
.LBB14_1568:
	s_mov_b32 s0, -1
                                        ; implicit-def: $vgpr7
.LBB14_1569:
	s_andn2_b32 vcc_lo, exec_lo, s0
	s_cbranch_vccnz .LBB14_1571
; %bb.1570:
	global_load_ubyte v0, v[0:1], off
	s_waitcnt vmcnt(0)
	v_cvt_f32_ubyte0_e32 v7, v0
.LBB14_1571:
	s_mov_b32 s3, -1
.LBB14_1572:
	s_andn2_b32 vcc_lo, exec_lo, s3
	s_cbranch_vccnz .LBB14_2007
; %bb.1573:
	s_waitcnt vmcnt(0)
	v_and_b32_e32 v16, 0x7fffffff, v7
                                        ; implicit-def: $vgpr18
                                        ; implicit-def: $vgpr17
	s_mov_b32 s1, exec_lo
	v_cmpx_ngt_f32_e64 0x48000000, |v7|
	s_xor_b32 s3, exec_lo, s1
	s_cbranch_execz .LBB14_1575
; %bb.1574:
	s_mov_b32 s0, 0x7fffff
	v_mov_b32_e32 v18, 0
	v_and_or_b32 v25, v16, s0, 0x800000
	v_mad_u64_u32 v[0:1], null, 0xfe5163ab, v25, 0
	v_mov_b32_e32 v17, v1
	v_lshrrev_b32_e32 v1, 23, v16
	v_mad_u64_u32 v[19:20], null, 0x3c439041, v25, v[17:18]
	v_add_nc_u32_e32 v1, 0xffffff88, v1
	v_cmp_lt_u32_e32 vcc_lo, 63, v1
	v_mov_b32_e32 v17, v20
	v_cndmask_b32_e64 v24, 0, 0xffffffc0, vcc_lo
	v_mad_u64_u32 v[20:21], null, 0xdb629599, v25, v[17:18]
	v_add_nc_u32_e32 v1, v24, v1
	v_mov_b32_e32 v17, v21
	v_cmp_lt_u32_e64 s0, 31, v1
	v_cndmask_b32_e32 v0, v20, v0, vcc_lo
	v_mad_u64_u32 v[21:22], null, 0xf534ddc0, v25, v[17:18]
	v_cndmask_b32_e64 v26, 0, 0xffffffe0, s0
	v_add_nc_u32_e32 v1, v26, v1
	v_mov_b32_e32 v17, v22
	v_cndmask_b32_e32 v19, v21, v19, vcc_lo
	v_cmp_lt_u32_e64 s1, 31, v1
	v_mad_u64_u32 v[22:23], null, 0xfc2757d1, v25, v[17:18]
	v_cndmask_b32_e64 v0, v19, v0, s0
	v_mov_b32_e32 v17, v23
	v_mad_u64_u32 v[23:24], null, 0x4e441529, v25, v[17:18]
	v_mov_b32_e32 v17, v24
	v_cndmask_b32_e64 v24, 0, 0xffffffe0, s1
	v_mad_u64_u32 v[17:18], null, 0xa2f9836e, v25, v[17:18]
	v_cndmask_b32_e32 v25, v23, v21, vcc_lo
	v_add_nc_u32_e32 v1, v24, v1
	v_cndmask_b32_e32 v17, v17, v22, vcc_lo
	v_cndmask_b32_e32 v18, v18, v23, vcc_lo
	;; [unrolled: 1-line block ×3, first 2 shown]
	v_sub_nc_u32_e32 v23, 32, v1
	v_cmp_eq_u32_e32 vcc_lo, 0, v1
	v_cndmask_b32_e64 v21, v17, v25, s0
	v_cndmask_b32_e64 v17, v18, v17, s0
	;; [unrolled: 1-line block ×8, first 2 shown]
	v_alignbit_b32 v24, v17, v21, v23
	v_alignbit_b32 v20, v21, v18, v23
	;; [unrolled: 1-line block ×3, first 2 shown]
	v_cndmask_b32_e32 v1, v24, v17, vcc_lo
	v_cndmask_b32_e32 v17, v20, v21, vcc_lo
	;; [unrolled: 1-line block ×3, first 2 shown]
	v_bfe_u32 v19, v1, 29, 1
	v_alignbit_b32 v20, v1, v17, 30
	v_alignbit_b32 v17, v17, v18, 30
	;; [unrolled: 1-line block ×3, first 2 shown]
	v_sub_nc_u32_e32 v21, 0, v19
	v_xor_b32_e32 v20, v20, v21
	v_xor_b32_e32 v17, v17, v21
	;; [unrolled: 1-line block ×3, first 2 shown]
	v_lshrrev_b32_e32 v21, 29, v1
	v_ffbh_u32_e32 v22, v20
	v_min_u32_e32 v22, 32, v22
	v_sub_nc_u32_e32 v18, 31, v22
	v_lshlrev_b32_e32 v23, 23, v22
	v_alignbit_b32 v20, v20, v17, v18
	v_alignbit_b32 v0, v17, v0, v18
	v_lshlrev_b32_e32 v17, 31, v21
	v_alignbit_b32 v18, v20, v0, 9
	v_or_b32_e32 v21, 0.5, v17
	v_lshrrev_b32_e32 v20, 9, v20
	v_or_b32_e32 v17, 0x33000000, v17
	v_ffbh_u32_e32 v24, v18
	v_sub_nc_u32_e32 v21, v21, v23
	v_min_u32_e32 v23, 32, v24
	v_or_b32_e32 v20, v20, v21
	v_not_b32_e32 v21, v23
	v_mul_f32_e32 v24, 0x3fc90fda, v20
	v_add_lshl_u32 v22, v23, v22, 23
	v_alignbit_b32 v0, v18, v0, v21
	v_fma_f32 v18, 0x3fc90fda, v20, -v24
	v_sub_nc_u32_e32 v17, v17, v22
	v_lshrrev_b32_e32 v0, 9, v0
	v_fmamk_f32 v18, v20, 0x33a22168, v18
	v_or_b32_e32 v0, v17, v0
	v_fmac_f32_e32 v18, 0x3fc90fda, v0
	v_lshrrev_b32_e32 v0, 30, v1
	v_add_f32_e32 v17, v24, v18
	v_add_nc_u32_e32 v18, v19, v0
.LBB14_1575:
	s_andn2_saveexec_b32 s0, s3
; %bb.1576:
	v_mul_f32_e64 v0, 0x3f22f983, |v7|
	v_rndne_f32_e32 v0, v0
	v_fma_f32 v1, 0xbfc90fda, v0, |v7|
	v_cvt_i32_f32_e32 v18, v0
	v_fmamk_f32 v1, v0, 0xb3a22168, v1
	v_fmamk_f32 v17, v0, 0xa7c234c4, v1
; %bb.1577:
	s_or_b32 exec_lo, exec_lo, s0
	v_mul_f32_e32 v0, v8, v8
	s_mov_b32 s0, 0xb94c1982
	s_mov_b32 s1, 0x37d75334
	v_and_b32_e32 v20, 1, v9
	v_mul_lo_u32 v4, s2, v4
	v_fmaak_f32 v1, s0, v0, 0x3c0881c4
	v_fmaak_f32 v19, s1, v0, 0xbab64f3b
	v_lshlrev_b32_e32 v9, 30, v9
	v_cmp_eq_u32_e32 vcc_lo, 0, v20
	s_and_b32 s1, s4, 0xff
	v_fmaak_f32 v1, v0, v1, 0xbe2aaa9d
	v_fmaak_f32 v19, v0, v19, 0x3d2aabf7
	s_mov_b32 s6, 0
	s_cmp_lt_i32 s1, 11
	s_mov_b32 s0, -1
	v_mul_f32_e32 v1, v0, v1
	v_fmaak_f32 v19, v0, v19, 0xbf000004
	v_fmac_f32_e32 v8, v8, v1
	v_fma_f32 v0, v0, v19, 1.0
	v_xor_b32_e32 v1, v3, v2
	v_and_b32_e32 v3, 0x80000000, v9
	v_cndmask_b32_e32 v0, v0, v8, vcc_lo
	v_ashrrev_i32_e32 v8, 31, v4
	v_xor3_b32 v3, v1, v3, v0
	v_add_co_u32 v0, vcc_lo, s8, v4
	v_add_co_ci_u32_e64 v1, null, s9, v8, vcc_lo
	v_cmp_class_f32_e64 vcc_lo, v2, 0x1f8
	v_cndmask_b32_e32 v2, 0x7fc00000, v3, vcc_lo
	s_cbranch_scc1 .LBB14_1656
; %bb.1578:
	s_and_b32 s3, 0xffff, s1
	s_mov_b32 s10, -1
	s_mov_b32 s4, 0
	s_cmp_gt_i32 s3, 25
	s_mov_b32 s0, 0
	s_cbranch_scc0 .LBB14_1611
; %bb.1579:
	s_cmp_gt_i32 s3, 28
	s_cbranch_scc0 .LBB14_1594
; %bb.1580:
	s_cmp_gt_i32 s3, 43
	;; [unrolled: 3-line block ×3, first 2 shown]
	s_cbranch_scc0 .LBB14_1584
; %bb.1582:
	s_mov_b32 s0, -1
	s_mov_b32 s10, 0
	s_cmp_eq_u32 s3, 46
	s_cbranch_scc0 .LBB14_1584
; %bb.1583:
	v_bfe_u32 v3, v2, 16, 1
	v_cmp_o_f32_e32 vcc_lo, v2, v2
	v_mov_b32_e32 v8, 0x7fc0
	s_mov_b32 s0, 0
	s_mov_b32 s6, -1
	v_add3_u32 v3, v2, v3, 0x7fff
	v_cndmask_b32_sdwa v3, v8, v3, vcc_lo dst_sel:DWORD dst_unused:UNUSED_PAD src0_sel:DWORD src1_sel:WORD_1
	global_store_dword v[0:1], v3, off
.LBB14_1584:
	s_and_b32 vcc_lo, exec_lo, s10
	s_cbranch_vccz .LBB14_1589
; %bb.1585:
	s_cmp_eq_u32 s3, 44
	s_mov_b32 s0, -1
	s_cbranch_scc0 .LBB14_1589
; %bb.1586:
	v_bfe_u32 v8, v2, 23, 8
	v_mov_b32_e32 v3, 0xff
	s_mov_b32 s6, exec_lo
	v_cmpx_ne_u32_e32 0xff, v8
	s_cbranch_execz .LBB14_1588
; %bb.1587:
	v_and_b32_e32 v3, 0x400000, v2
	v_and_or_b32 v8, 0x3fffff, v2, v8
	v_cmp_ne_u32_e32 vcc_lo, 0, v3
	v_cmp_ne_u32_e64 s0, 0, v8
	v_lshrrev_b32_e32 v3, 23, v2
	s_and_b32 s0, vcc_lo, s0
	v_cndmask_b32_e64 v8, 0, 1, s0
	v_add_nc_u32_e32 v3, v3, v8
.LBB14_1588:
	s_or_b32 exec_lo, exec_lo, s6
	s_mov_b32 s0, 0
	s_mov_b32 s6, -1
	global_store_byte v[0:1], v3, off
.LBB14_1589:
	s_mov_b32 s10, 0
.LBB14_1590:
	s_and_b32 vcc_lo, exec_lo, s10
	s_cbranch_vccz .LBB14_1593
; %bb.1591:
	s_cmp_eq_u32 s3, 29
	s_mov_b32 s0, -1
	s_cbranch_scc0 .LBB14_1593
; %bb.1592:
	v_trunc_f32_e32 v3, v2
	s_mov_b32 s0, 0
	s_mov_b32 s6, -1
	v_mul_f32_e32 v8, 0x2f800000, v3
	v_floor_f32_e32 v8, v8
	v_fmamk_f32 v3, v8, 0xcf800000, v3
	v_cvt_u32_f32_e32 v9, v8
	v_cvt_u32_f32_e32 v8, v3
	global_store_dwordx2 v[0:1], v[8:9], off
.LBB14_1593:
	s_mov_b32 s10, 0
.LBB14_1594:
	s_and_b32 vcc_lo, exec_lo, s10
	s_cbranch_vccz .LBB14_1610
; %bb.1595:
	s_cmp_lt_i32 s3, 27
	s_mov_b32 s6, -1
	s_cbranch_scc1 .LBB14_1601
; %bb.1596:
	v_cvt_u32_f32_e32 v3, v2
	s_cmp_gt_i32 s3, 27
	s_cbranch_scc0 .LBB14_1598
; %bb.1597:
	s_mov_b32 s6, 0
	global_store_dword v[0:1], v3, off
.LBB14_1598:
	s_andn2_b32 vcc_lo, exec_lo, s6
	s_cbranch_vccnz .LBB14_1600
; %bb.1599:
	global_store_short v[0:1], v3, off
.LBB14_1600:
	s_mov_b32 s6, 0
.LBB14_1601:
	s_andn2_b32 vcc_lo, exec_lo, s6
	s_cbranch_vccnz .LBB14_1609
; %bb.1602:
	v_and_b32_e32 v3, 0x7fffffff, v2
	v_mov_b32_e32 v8, 0x80
	s_mov_b32 s6, exec_lo
	v_cmpx_gt_u32_e32 0x43800000, v3
	s_cbranch_execz .LBB14_1608
; %bb.1603:
	v_cmp_lt_u32_e32 vcc_lo, 0x3bffffff, v3
	s_mov_b32 s10, 0
                                        ; implicit-def: $vgpr3
	s_and_saveexec_b32 s11, vcc_lo
	s_xor_b32 s11, exec_lo, s11
	s_cbranch_execz .LBB14_2053
; %bb.1604:
	v_bfe_u32 v3, v2, 20, 1
	s_mov_b32 s10, exec_lo
	v_add3_u32 v3, v2, v3, 0x487ffff
	v_lshrrev_b32_e32 v3, 20, v3
	s_andn2_saveexec_b32 s11, s11
	s_cbranch_execnz .LBB14_2054
.LBB14_1605:
	s_or_b32 exec_lo, exec_lo, s11
	v_mov_b32_e32 v8, 0
	s_and_saveexec_b32 s11, s10
.LBB14_1606:
	v_lshrrev_b32_e32 v8, 24, v2
	v_and_or_b32 v8, 0x80, v8, v3
.LBB14_1607:
	s_or_b32 exec_lo, exec_lo, s11
.LBB14_1608:
	s_or_b32 exec_lo, exec_lo, s6
	global_store_byte v[0:1], v8, off
.LBB14_1609:
	s_mov_b32 s6, -1
.LBB14_1610:
	s_mov_b32 s10, 0
.LBB14_1611:
	s_and_b32 vcc_lo, exec_lo, s10
	s_cbranch_vccz .LBB14_1651
; %bb.1612:
	s_cmp_gt_i32 s3, 22
	s_mov_b32 s4, -1
	s_cbranch_scc0 .LBB14_1644
; %bb.1613:
	s_cmp_lt_i32 s3, 24
	s_cbranch_scc1 .LBB14_1633
; %bb.1614:
	s_cmp_gt_i32 s3, 24
	s_cbranch_scc0 .LBB14_1622
; %bb.1615:
	v_and_b32_e32 v3, 0x7fffffff, v2
	v_mov_b32_e32 v8, 0x80
	s_mov_b32 s4, exec_lo
	v_cmpx_gt_u32_e32 0x47800000, v3
	s_cbranch_execz .LBB14_1621
; %bb.1616:
	v_cmp_lt_u32_e32 vcc_lo, 0x37ffffff, v3
	s_mov_b32 s6, 0
                                        ; implicit-def: $vgpr3
	s_and_saveexec_b32 s10, vcc_lo
	s_xor_b32 s10, exec_lo, s10
	s_cbranch_execz .LBB14_2056
; %bb.1617:
	v_bfe_u32 v3, v2, 21, 1
	s_mov_b32 s6, exec_lo
	v_add3_u32 v3, v2, v3, 0x88fffff
	v_lshrrev_b32_e32 v3, 21, v3
	s_andn2_saveexec_b32 s10, s10
	s_cbranch_execnz .LBB14_2057
.LBB14_1618:
	s_or_b32 exec_lo, exec_lo, s10
	v_mov_b32_e32 v8, 0
	s_and_saveexec_b32 s10, s6
.LBB14_1619:
	v_lshrrev_b32_e32 v8, 24, v2
	v_and_or_b32 v8, 0x80, v8, v3
.LBB14_1620:
	s_or_b32 exec_lo, exec_lo, s10
.LBB14_1621:
	s_or_b32 exec_lo, exec_lo, s4
	s_mov_b32 s4, 0
	global_store_byte v[0:1], v8, off
.LBB14_1622:
	s_and_b32 vcc_lo, exec_lo, s4
	s_cbranch_vccz .LBB14_1632
; %bb.1623:
	v_and_b32_e32 v8, 0x7fffffff, v2
	s_mov_b32 s4, exec_lo
                                        ; implicit-def: $vgpr3
	v_cmpx_gt_u32_e32 0x43f00000, v8
	s_xor_b32 s4, exec_lo, s4
	s_cbranch_execz .LBB14_1629
; %bb.1624:
	s_mov_b32 s6, exec_lo
                                        ; implicit-def: $vgpr3
	v_cmpx_lt_u32_e32 0x3c7fffff, v8
	s_xor_b32 s6, exec_lo, s6
; %bb.1625:
	v_bfe_u32 v3, v2, 20, 1
	v_add3_u32 v3, v2, v3, 0x407ffff
	v_and_b32_e32 v8, 0xff00000, v3
	v_lshrrev_b32_e32 v3, 20, v3
	v_cmp_ne_u32_e32 vcc_lo, 0x7f00000, v8
	v_cndmask_b32_e32 v3, 0x7e, v3, vcc_lo
; %bb.1626:
	s_andn2_saveexec_b32 s6, s6
; %bb.1627:
	v_add_f32_e64 v3, 0x46800000, |v2|
; %bb.1628:
	s_or_b32 exec_lo, exec_lo, s6
                                        ; implicit-def: $vgpr8
.LBB14_1629:
	s_andn2_saveexec_b32 s4, s4
; %bb.1630:
	v_mov_b32_e32 v3, 0x7f
	v_cmp_lt_u32_e32 vcc_lo, 0x7f800000, v8
	v_cndmask_b32_e32 v3, 0x7e, v3, vcc_lo
; %bb.1631:
	s_or_b32 exec_lo, exec_lo, s4
	v_lshrrev_b32_e32 v8, 24, v2
	v_and_or_b32 v3, 0x80, v8, v3
	global_store_byte v[0:1], v3, off
.LBB14_1632:
	s_mov_b32 s4, 0
.LBB14_1633:
	s_andn2_b32 vcc_lo, exec_lo, s4
	s_cbranch_vccnz .LBB14_1643
; %bb.1634:
	v_and_b32_e32 v8, 0x7fffffff, v2
	s_mov_b32 s4, exec_lo
                                        ; implicit-def: $vgpr3
	v_cmpx_gt_u32_e32 0x47800000, v8
	s_xor_b32 s4, exec_lo, s4
	s_cbranch_execz .LBB14_1640
; %bb.1635:
	s_mov_b32 s6, exec_lo
                                        ; implicit-def: $vgpr3
	v_cmpx_lt_u32_e32 0x387fffff, v8
	s_xor_b32 s6, exec_lo, s6
; %bb.1636:
	v_bfe_u32 v3, v2, 21, 1
	v_add3_u32 v3, v2, v3, 0x80fffff
	v_lshrrev_b32_e32 v3, 21, v3
; %bb.1637:
	s_andn2_saveexec_b32 s6, s6
; %bb.1638:
	v_add_f32_e64 v3, 0x43000000, |v2|
; %bb.1639:
	s_or_b32 exec_lo, exec_lo, s6
                                        ; implicit-def: $vgpr8
.LBB14_1640:
	s_andn2_saveexec_b32 s4, s4
; %bb.1641:
	v_mov_b32_e32 v3, 0x7f
	v_cmp_lt_u32_e32 vcc_lo, 0x7f800000, v8
	v_cndmask_b32_e32 v3, 0x7c, v3, vcc_lo
; %bb.1642:
	s_or_b32 exec_lo, exec_lo, s4
	v_lshrrev_b32_e32 v8, 24, v2
	v_and_or_b32 v3, 0x80, v8, v3
	global_store_byte v[0:1], v3, off
.LBB14_1643:
	s_mov_b32 s4, 0
	s_mov_b32 s6, -1
.LBB14_1644:
	s_andn2_b32 vcc_lo, exec_lo, s4
	s_mov_b32 s4, 0
	s_cbranch_vccnz .LBB14_1651
; %bb.1645:
	s_cmp_gt_i32 s3, 14
	s_mov_b32 s4, -1
	s_cbranch_scc0 .LBB14_1649
; %bb.1646:
	s_cmp_eq_u32 s3, 15
	s_mov_b32 s0, -1
	s_cbranch_scc0 .LBB14_1648
; %bb.1647:
	v_bfe_u32 v3, v2, 16, 1
	v_cmp_o_f32_e32 vcc_lo, v2, v2
	v_mov_b32_e32 v8, 0x7fc0
	s_mov_b32 s0, 0
	s_mov_b32 s6, -1
	v_add3_u32 v3, v2, v3, 0x7fff
	v_cndmask_b32_sdwa v3, v8, v3, vcc_lo dst_sel:DWORD dst_unused:UNUSED_PAD src0_sel:DWORD src1_sel:WORD_1
	global_store_short v[0:1], v3, off
.LBB14_1648:
	s_mov_b32 s4, 0
.LBB14_1649:
	s_and_b32 vcc_lo, exec_lo, s4
	s_mov_b32 s4, 0
	s_cbranch_vccz .LBB14_1651
; %bb.1650:
	s_cmp_lg_u32 s3, 11
	s_mov_b32 s4, -1
	s_cselect_b32 s0, -1, 0
.LBB14_1651:
	s_and_b32 vcc_lo, exec_lo, s0
	s_cbranch_vccnz .LBB14_2055
; %bb.1652:
	s_andn2_b32 vcc_lo, exec_lo, s4
	s_cbranch_vccnz .LBB14_1654
.LBB14_1653:
	v_cmp_neq_f32_e32 vcc_lo, 0, v2
	s_mov_b32 s6, -1
	v_cndmask_b32_e64 v3, 0, 1, vcc_lo
	global_store_byte v[0:1], v3, off
.LBB14_1654:
.LBB14_1655:
	s_andn2_b32 vcc_lo, exec_lo, s6
	s_cbranch_vccz .LBB14_1695
	s_branch .LBB14_2007
.LBB14_1656:
	s_and_b32 vcc_lo, exec_lo, s0
	s_cbranch_vccz .LBB14_1655
; %bb.1657:
	s_and_b32 s0, 0xffff, s1
	s_mov_b32 s3, -1
	s_cmp_lt_i32 s0, 5
	s_cbranch_scc1 .LBB14_1678
; %bb.1658:
	s_cmp_lt_i32 s0, 8
	s_cbranch_scc1 .LBB14_1668
; %bb.1659:
	;; [unrolled: 3-line block ×3, first 2 shown]
	s_cmp_gt_i32 s0, 9
	s_cbranch_scc0 .LBB14_1662
; %bb.1661:
	v_cvt_f64_f32_e32 v[19:20], v2
	v_mov_b32_e32 v21, 0
	s_mov_b32 s3, 0
	v_mov_b32_e32 v22, v21
	global_store_dwordx4 v[0:1], v[19:22], off
.LBB14_1662:
	s_andn2_b32 vcc_lo, exec_lo, s3
	s_cbranch_vccnz .LBB14_1664
; %bb.1663:
	v_mov_b32_e32 v3, 0
	global_store_dwordx2 v[0:1], v[2:3], off
.LBB14_1664:
	s_mov_b32 s3, 0
.LBB14_1665:
	s_andn2_b32 vcc_lo, exec_lo, s3
	s_cbranch_vccnz .LBB14_1667
; %bb.1666:
	v_cvt_f16_f32_e32 v3, v2
	v_and_b32_e32 v3, 0xffff, v3
	global_store_dword v[0:1], v3, off
.LBB14_1667:
	s_mov_b32 s3, 0
.LBB14_1668:
	s_andn2_b32 vcc_lo, exec_lo, s3
	s_cbranch_vccnz .LBB14_1677
; %bb.1669:
	s_cmp_lt_i32 s0, 6
	s_mov_b32 s3, -1
	s_cbranch_scc1 .LBB14_1675
; %bb.1670:
	s_cmp_gt_i32 s0, 6
	s_cbranch_scc0 .LBB14_1672
; %bb.1671:
	v_cvt_f64_f32_e32 v[8:9], v2
	s_mov_b32 s3, 0
	global_store_dwordx2 v[0:1], v[8:9], off
.LBB14_1672:
	s_andn2_b32 vcc_lo, exec_lo, s3
	s_cbranch_vccnz .LBB14_1674
; %bb.1673:
	global_store_dword v[0:1], v2, off
.LBB14_1674:
	s_mov_b32 s3, 0
.LBB14_1675:
	s_andn2_b32 vcc_lo, exec_lo, s3
	s_cbranch_vccnz .LBB14_1677
; %bb.1676:
	v_cvt_f16_f32_e32 v3, v2
	global_store_short v[0:1], v3, off
.LBB14_1677:
	s_mov_b32 s3, 0
.LBB14_1678:
	s_andn2_b32 vcc_lo, exec_lo, s3
	s_cbranch_vccnz .LBB14_1694
; %bb.1679:
	s_cmp_lt_i32 s0, 2
	s_mov_b32 s3, -1
	s_cbranch_scc1 .LBB14_1689
; %bb.1680:
	s_cmp_lt_i32 s0, 3
	s_cbranch_scc1 .LBB14_1686
; %bb.1681:
	s_cmp_gt_i32 s0, 3
	s_cbranch_scc0 .LBB14_1683
; %bb.1682:
	v_trunc_f32_e32 v3, v2
	s_mov_b32 s3, 0
	v_mul_f32_e64 v8, 0x2f800000, |v3|
	v_floor_f32_e32 v8, v8
	v_fma_f32 v9, 0xcf800000, v8, |v3|
	v_ashrrev_i32_e32 v3, 31, v3
	v_cvt_u32_f32_e32 v8, v8
	v_cvt_u32_f32_e32 v9, v9
	v_xor_b32_e32 v19, v8, v3
	v_xor_b32_e32 v9, v9, v3
	v_sub_co_u32 v8, vcc_lo, v9, v3
	v_sub_co_ci_u32_e64 v9, null, v19, v3, vcc_lo
	global_store_dwordx2 v[0:1], v[8:9], off
.LBB14_1683:
	s_andn2_b32 vcc_lo, exec_lo, s3
	s_cbranch_vccnz .LBB14_1685
; %bb.1684:
	v_cvt_i32_f32_e32 v3, v2
	global_store_dword v[0:1], v3, off
.LBB14_1685:
	s_mov_b32 s3, 0
.LBB14_1686:
	s_andn2_b32 vcc_lo, exec_lo, s3
	s_cbranch_vccnz .LBB14_1688
; %bb.1687:
	v_cvt_i32_f32_e32 v3, v2
	global_store_short v[0:1], v3, off
.LBB14_1688:
	s_mov_b32 s3, 0
.LBB14_1689:
	s_andn2_b32 vcc_lo, exec_lo, s3
	s_cbranch_vccnz .LBB14_1694
; %bb.1690:
	s_cmp_gt_i32 s0, 0
	s_mov_b32 s0, -1
	s_cbranch_scc0 .LBB14_1692
; %bb.1691:
	v_cvt_i32_f32_e32 v3, v2
	s_mov_b32 s0, 0
	global_store_byte v[0:1], v3, off
.LBB14_1692:
	s_andn2_b32 vcc_lo, exec_lo, s0
	s_cbranch_vccnz .LBB14_1694
; %bb.1693:
	v_trunc_f32_e32 v2, v2
	v_mul_f32_e64 v3, 0x2f800000, |v2|
	v_floor_f32_e32 v3, v3
	v_fma_f32 v3, 0xcf800000, v3, |v2|
	v_ashrrev_i32_e32 v2, 31, v2
	v_cvt_u32_f32_e32 v3, v3
	v_xor_b32_e32 v3, v3, v2
	v_sub_nc_u32_e32 v2, v3, v2
	global_store_byte v[0:1], v2, off
.LBB14_1694:
.LBB14_1695:
	v_mul_f32_e32 v0, v11, v11
	s_mov_b32 s0, 0xb94c1982
	s_mov_b32 s3, 0x37d75334
	v_and_b32_e32 v3, 1, v12
	v_lshlrev_b32_e32 v8, 30, v12
	v_fmaak_f32 v1, s0, v0, 0x3c0881c4
	v_fmaak_f32 v2, s3, v0, 0xbab64f3b
	s_lshl_b32 s2, s2, 7
	v_cmp_eq_u32_e32 vcc_lo, 0, v3
	v_add_nc_u32_e32 v4, s2, v4
	v_fmaak_f32 v1, v0, v1, 0xbe2aaa9d
	v_fmaak_f32 v2, v0, v2, 0x3d2aabf7
	s_mov_b32 s6, 0
	s_cmp_lt_i32 s1, 11
	s_mov_b32 s0, -1
	v_mul_f32_e32 v1, v0, v1
	v_fmaak_f32 v2, v0, v2, 0xbf000004
	v_fmac_f32_e32 v11, v11, v1
	v_fma_f32 v0, v0, v2, 1.0
	v_xor_b32_e32 v1, v10, v5
	v_and_b32_e32 v2, 0x80000000, v8
	v_cndmask_b32_e32 v0, v0, v11, vcc_lo
	v_cmp_class_f32_e64 vcc_lo, v5, 0x1f8
	v_xor3_b32 v0, v1, v2, v0
	v_ashrrev_i32_e32 v1, 31, v4
	v_cndmask_b32_e32 v2, 0x7fc00000, v0, vcc_lo
	v_add_co_u32 v0, vcc_lo, s8, v4
	v_add_co_ci_u32_e64 v1, null, s9, v1, vcc_lo
	s_cbranch_scc1 .LBB14_1774
; %bb.1696:
	s_and_b32 s3, 0xffff, s1
	s_mov_b32 s10, -1
	s_mov_b32 s4, 0
	s_cmp_gt_i32 s3, 25
	s_mov_b32 s0, 0
	s_cbranch_scc0 .LBB14_1729
; %bb.1697:
	s_cmp_gt_i32 s3, 28
	s_cbranch_scc0 .LBB14_1712
; %bb.1698:
	s_cmp_gt_i32 s3, 43
	;; [unrolled: 3-line block ×3, first 2 shown]
	s_cbranch_scc0 .LBB14_1702
; %bb.1700:
	s_mov_b32 s0, -1
	s_mov_b32 s10, 0
	s_cmp_eq_u32 s3, 46
	s_cbranch_scc0 .LBB14_1702
; %bb.1701:
	v_bfe_u32 v3, v2, 16, 1
	v_cmp_o_f32_e32 vcc_lo, v2, v2
	v_mov_b32_e32 v5, 0x7fc0
	s_mov_b32 s0, 0
	s_mov_b32 s6, -1
	v_add3_u32 v3, v2, v3, 0x7fff
	v_cndmask_b32_sdwa v3, v5, v3, vcc_lo dst_sel:DWORD dst_unused:UNUSED_PAD src0_sel:DWORD src1_sel:WORD_1
	global_store_dword v[0:1], v3, off
.LBB14_1702:
	s_and_b32 vcc_lo, exec_lo, s10
	s_cbranch_vccz .LBB14_1707
; %bb.1703:
	s_cmp_eq_u32 s3, 44
	s_mov_b32 s0, -1
	s_cbranch_scc0 .LBB14_1707
; %bb.1704:
	v_bfe_u32 v5, v2, 23, 8
	v_mov_b32_e32 v3, 0xff
	s_mov_b32 s6, exec_lo
	v_cmpx_ne_u32_e32 0xff, v5
	s_cbranch_execz .LBB14_1706
; %bb.1705:
	v_and_b32_e32 v3, 0x400000, v2
	v_and_or_b32 v5, 0x3fffff, v2, v5
	v_cmp_ne_u32_e32 vcc_lo, 0, v3
	v_cmp_ne_u32_e64 s0, 0, v5
	v_lshrrev_b32_e32 v3, 23, v2
	s_and_b32 s0, vcc_lo, s0
	v_cndmask_b32_e64 v5, 0, 1, s0
	v_add_nc_u32_e32 v3, v3, v5
.LBB14_1706:
	s_or_b32 exec_lo, exec_lo, s6
	s_mov_b32 s0, 0
	s_mov_b32 s6, -1
	global_store_byte v[0:1], v3, off
.LBB14_1707:
	s_mov_b32 s10, 0
.LBB14_1708:
	s_and_b32 vcc_lo, exec_lo, s10
	s_cbranch_vccz .LBB14_1711
; %bb.1709:
	s_cmp_eq_u32 s3, 29
	s_mov_b32 s0, -1
	s_cbranch_scc0 .LBB14_1711
; %bb.1710:
	v_trunc_f32_e32 v3, v2
	s_mov_b32 s0, 0
	s_mov_b32 s6, -1
	v_mul_f32_e32 v5, 0x2f800000, v3
	v_floor_f32_e32 v5, v5
	v_fmamk_f32 v3, v5, 0xcf800000, v3
	v_cvt_u32_f32_e32 v9, v5
	v_cvt_u32_f32_e32 v8, v3
	global_store_dwordx2 v[0:1], v[8:9], off
.LBB14_1711:
	s_mov_b32 s10, 0
.LBB14_1712:
	s_and_b32 vcc_lo, exec_lo, s10
	s_cbranch_vccz .LBB14_1728
; %bb.1713:
	s_cmp_lt_i32 s3, 27
	s_mov_b32 s6, -1
	s_cbranch_scc1 .LBB14_1719
; %bb.1714:
	v_cvt_u32_f32_e32 v3, v2
	s_cmp_gt_i32 s3, 27
	s_cbranch_scc0 .LBB14_1716
; %bb.1715:
	s_mov_b32 s6, 0
	global_store_dword v[0:1], v3, off
.LBB14_1716:
	s_andn2_b32 vcc_lo, exec_lo, s6
	s_cbranch_vccnz .LBB14_1718
; %bb.1717:
	global_store_short v[0:1], v3, off
.LBB14_1718:
	s_mov_b32 s6, 0
.LBB14_1719:
	s_andn2_b32 vcc_lo, exec_lo, s6
	s_cbranch_vccnz .LBB14_1727
; %bb.1720:
	v_and_b32_e32 v3, 0x7fffffff, v2
	v_mov_b32_e32 v5, 0x80
	s_mov_b32 s6, exec_lo
	v_cmpx_gt_u32_e32 0x43800000, v3
	s_cbranch_execz .LBB14_1726
; %bb.1721:
	v_cmp_lt_u32_e32 vcc_lo, 0x3bffffff, v3
	s_mov_b32 s10, 0
                                        ; implicit-def: $vgpr3
	s_and_saveexec_b32 s11, vcc_lo
	s_xor_b32 s11, exec_lo, s11
	s_cbranch_execz .LBB14_2058
; %bb.1722:
	v_bfe_u32 v3, v2, 20, 1
	s_mov_b32 s10, exec_lo
	v_add3_u32 v3, v2, v3, 0x487ffff
	v_lshrrev_b32_e32 v3, 20, v3
	s_andn2_saveexec_b32 s11, s11
	s_cbranch_execnz .LBB14_2059
.LBB14_1723:
	s_or_b32 exec_lo, exec_lo, s11
	v_mov_b32_e32 v5, 0
	s_and_saveexec_b32 s11, s10
.LBB14_1724:
	v_lshrrev_b32_e32 v5, 24, v2
	v_and_or_b32 v5, 0x80, v5, v3
.LBB14_1725:
	s_or_b32 exec_lo, exec_lo, s11
.LBB14_1726:
	s_or_b32 exec_lo, exec_lo, s6
	global_store_byte v[0:1], v5, off
.LBB14_1727:
	s_mov_b32 s6, -1
.LBB14_1728:
	s_mov_b32 s10, 0
.LBB14_1729:
	s_and_b32 vcc_lo, exec_lo, s10
	s_cbranch_vccz .LBB14_1769
; %bb.1730:
	s_cmp_gt_i32 s3, 22
	s_mov_b32 s4, -1
	s_cbranch_scc0 .LBB14_1762
; %bb.1731:
	s_cmp_lt_i32 s3, 24
	s_cbranch_scc1 .LBB14_1751
; %bb.1732:
	s_cmp_gt_i32 s3, 24
	s_cbranch_scc0 .LBB14_1740
; %bb.1733:
	v_and_b32_e32 v3, 0x7fffffff, v2
	v_mov_b32_e32 v5, 0x80
	s_mov_b32 s4, exec_lo
	v_cmpx_gt_u32_e32 0x47800000, v3
	s_cbranch_execz .LBB14_1739
; %bb.1734:
	v_cmp_lt_u32_e32 vcc_lo, 0x37ffffff, v3
	s_mov_b32 s6, 0
                                        ; implicit-def: $vgpr3
	s_and_saveexec_b32 s10, vcc_lo
	s_xor_b32 s10, exec_lo, s10
	s_cbranch_execz .LBB14_2061
; %bb.1735:
	v_bfe_u32 v3, v2, 21, 1
	s_mov_b32 s6, exec_lo
	v_add3_u32 v3, v2, v3, 0x88fffff
	v_lshrrev_b32_e32 v3, 21, v3
	s_andn2_saveexec_b32 s10, s10
	s_cbranch_execnz .LBB14_2062
.LBB14_1736:
	s_or_b32 exec_lo, exec_lo, s10
	v_mov_b32_e32 v5, 0
	s_and_saveexec_b32 s10, s6
.LBB14_1737:
	v_lshrrev_b32_e32 v5, 24, v2
	v_and_or_b32 v5, 0x80, v5, v3
.LBB14_1738:
	s_or_b32 exec_lo, exec_lo, s10
.LBB14_1739:
	s_or_b32 exec_lo, exec_lo, s4
	s_mov_b32 s4, 0
	global_store_byte v[0:1], v5, off
.LBB14_1740:
	s_and_b32 vcc_lo, exec_lo, s4
	s_cbranch_vccz .LBB14_1750
; %bb.1741:
	v_and_b32_e32 v5, 0x7fffffff, v2
	s_mov_b32 s4, exec_lo
                                        ; implicit-def: $vgpr3
	v_cmpx_gt_u32_e32 0x43f00000, v5
	s_xor_b32 s4, exec_lo, s4
	s_cbranch_execz .LBB14_1747
; %bb.1742:
	s_mov_b32 s6, exec_lo
                                        ; implicit-def: $vgpr3
	v_cmpx_lt_u32_e32 0x3c7fffff, v5
	s_xor_b32 s6, exec_lo, s6
; %bb.1743:
	v_bfe_u32 v3, v2, 20, 1
	v_add3_u32 v3, v2, v3, 0x407ffff
	v_and_b32_e32 v5, 0xff00000, v3
	v_lshrrev_b32_e32 v3, 20, v3
	v_cmp_ne_u32_e32 vcc_lo, 0x7f00000, v5
	v_cndmask_b32_e32 v3, 0x7e, v3, vcc_lo
; %bb.1744:
	s_andn2_saveexec_b32 s6, s6
; %bb.1745:
	v_add_f32_e64 v3, 0x46800000, |v2|
; %bb.1746:
	s_or_b32 exec_lo, exec_lo, s6
                                        ; implicit-def: $vgpr5
.LBB14_1747:
	s_andn2_saveexec_b32 s4, s4
; %bb.1748:
	v_mov_b32_e32 v3, 0x7f
	v_cmp_lt_u32_e32 vcc_lo, 0x7f800000, v5
	v_cndmask_b32_e32 v3, 0x7e, v3, vcc_lo
; %bb.1749:
	s_or_b32 exec_lo, exec_lo, s4
	v_lshrrev_b32_e32 v5, 24, v2
	v_and_or_b32 v3, 0x80, v5, v3
	global_store_byte v[0:1], v3, off
.LBB14_1750:
	s_mov_b32 s4, 0
.LBB14_1751:
	s_andn2_b32 vcc_lo, exec_lo, s4
	s_cbranch_vccnz .LBB14_1761
; %bb.1752:
	v_and_b32_e32 v5, 0x7fffffff, v2
	s_mov_b32 s4, exec_lo
                                        ; implicit-def: $vgpr3
	v_cmpx_gt_u32_e32 0x47800000, v5
	s_xor_b32 s4, exec_lo, s4
	s_cbranch_execz .LBB14_1758
; %bb.1753:
	s_mov_b32 s6, exec_lo
                                        ; implicit-def: $vgpr3
	v_cmpx_lt_u32_e32 0x387fffff, v5
	s_xor_b32 s6, exec_lo, s6
; %bb.1754:
	v_bfe_u32 v3, v2, 21, 1
	v_add3_u32 v3, v2, v3, 0x80fffff
	v_lshrrev_b32_e32 v3, 21, v3
; %bb.1755:
	s_andn2_saveexec_b32 s6, s6
; %bb.1756:
	v_add_f32_e64 v3, 0x43000000, |v2|
; %bb.1757:
	s_or_b32 exec_lo, exec_lo, s6
                                        ; implicit-def: $vgpr5
.LBB14_1758:
	s_andn2_saveexec_b32 s4, s4
; %bb.1759:
	v_mov_b32_e32 v3, 0x7f
	v_cmp_lt_u32_e32 vcc_lo, 0x7f800000, v5
	v_cndmask_b32_e32 v3, 0x7c, v3, vcc_lo
; %bb.1760:
	s_or_b32 exec_lo, exec_lo, s4
	v_lshrrev_b32_e32 v5, 24, v2
	v_and_or_b32 v3, 0x80, v5, v3
	global_store_byte v[0:1], v3, off
.LBB14_1761:
	s_mov_b32 s4, 0
	s_mov_b32 s6, -1
.LBB14_1762:
	s_andn2_b32 vcc_lo, exec_lo, s4
	s_mov_b32 s4, 0
	s_cbranch_vccnz .LBB14_1769
; %bb.1763:
	s_cmp_gt_i32 s3, 14
	s_mov_b32 s4, -1
	s_cbranch_scc0 .LBB14_1767
; %bb.1764:
	s_cmp_eq_u32 s3, 15
	s_mov_b32 s0, -1
	s_cbranch_scc0 .LBB14_1766
; %bb.1765:
	v_bfe_u32 v3, v2, 16, 1
	v_cmp_o_f32_e32 vcc_lo, v2, v2
	v_mov_b32_e32 v5, 0x7fc0
	s_mov_b32 s0, 0
	s_mov_b32 s6, -1
	v_add3_u32 v3, v2, v3, 0x7fff
	v_cndmask_b32_sdwa v3, v5, v3, vcc_lo dst_sel:DWORD dst_unused:UNUSED_PAD src0_sel:DWORD src1_sel:WORD_1
	global_store_short v[0:1], v3, off
.LBB14_1766:
	s_mov_b32 s4, 0
.LBB14_1767:
	s_and_b32 vcc_lo, exec_lo, s4
	s_mov_b32 s4, 0
	s_cbranch_vccz .LBB14_1769
; %bb.1768:
	s_cmp_lg_u32 s3, 11
	s_mov_b32 s4, -1
	s_cselect_b32 s0, -1, 0
.LBB14_1769:
	s_and_b32 vcc_lo, exec_lo, s0
	s_cbranch_vccnz .LBB14_2060
; %bb.1770:
	s_andn2_b32 vcc_lo, exec_lo, s4
	s_cbranch_vccnz .LBB14_1772
.LBB14_1771:
	v_cmp_neq_f32_e32 vcc_lo, 0, v2
	s_mov_b32 s6, -1
	v_cndmask_b32_e64 v3, 0, 1, vcc_lo
	global_store_byte v[0:1], v3, off
.LBB14_1772:
.LBB14_1773:
	s_andn2_b32 vcc_lo, exec_lo, s6
	s_cbranch_vccz .LBB14_1813
	s_branch .LBB14_2007
.LBB14_1774:
	s_and_b32 vcc_lo, exec_lo, s0
	s_cbranch_vccz .LBB14_1773
; %bb.1775:
	s_and_b32 s0, 0xffff, s1
	s_mov_b32 s3, -1
	s_cmp_lt_i32 s0, 5
	s_cbranch_scc1 .LBB14_1796
; %bb.1776:
	s_cmp_lt_i32 s0, 8
	s_cbranch_scc1 .LBB14_1786
; %bb.1777:
	;; [unrolled: 3-line block ×3, first 2 shown]
	s_cmp_gt_i32 s0, 9
	s_cbranch_scc0 .LBB14_1780
; %bb.1779:
	v_cvt_f64_f32_e32 v[8:9], v2
	v_mov_b32_e32 v10, 0
	s_mov_b32 s3, 0
	v_mov_b32_e32 v11, v10
	global_store_dwordx4 v[0:1], v[8:11], off
.LBB14_1780:
	s_andn2_b32 vcc_lo, exec_lo, s3
	s_cbranch_vccnz .LBB14_1782
; %bb.1781:
	v_mov_b32_e32 v3, 0
	global_store_dwordx2 v[0:1], v[2:3], off
.LBB14_1782:
	s_mov_b32 s3, 0
.LBB14_1783:
	s_andn2_b32 vcc_lo, exec_lo, s3
	s_cbranch_vccnz .LBB14_1785
; %bb.1784:
	v_cvt_f16_f32_e32 v3, v2
	v_and_b32_e32 v3, 0xffff, v3
	global_store_dword v[0:1], v3, off
.LBB14_1785:
	s_mov_b32 s3, 0
.LBB14_1786:
	s_andn2_b32 vcc_lo, exec_lo, s3
	s_cbranch_vccnz .LBB14_1795
; %bb.1787:
	s_cmp_lt_i32 s0, 6
	s_mov_b32 s3, -1
	s_cbranch_scc1 .LBB14_1793
; %bb.1788:
	s_cmp_gt_i32 s0, 6
	s_cbranch_scc0 .LBB14_1790
; %bb.1789:
	v_cvt_f64_f32_e32 v[8:9], v2
	s_mov_b32 s3, 0
	global_store_dwordx2 v[0:1], v[8:9], off
.LBB14_1790:
	s_andn2_b32 vcc_lo, exec_lo, s3
	s_cbranch_vccnz .LBB14_1792
; %bb.1791:
	global_store_dword v[0:1], v2, off
.LBB14_1792:
	s_mov_b32 s3, 0
.LBB14_1793:
	s_andn2_b32 vcc_lo, exec_lo, s3
	s_cbranch_vccnz .LBB14_1795
; %bb.1794:
	v_cvt_f16_f32_e32 v3, v2
	global_store_short v[0:1], v3, off
.LBB14_1795:
	s_mov_b32 s3, 0
.LBB14_1796:
	s_andn2_b32 vcc_lo, exec_lo, s3
	s_cbranch_vccnz .LBB14_1812
; %bb.1797:
	s_cmp_lt_i32 s0, 2
	s_mov_b32 s3, -1
	s_cbranch_scc1 .LBB14_1807
; %bb.1798:
	s_cmp_lt_i32 s0, 3
	s_cbranch_scc1 .LBB14_1804
; %bb.1799:
	s_cmp_gt_i32 s0, 3
	s_cbranch_scc0 .LBB14_1801
; %bb.1800:
	v_trunc_f32_e32 v3, v2
	s_mov_b32 s3, 0
	v_mul_f32_e64 v5, 0x2f800000, |v3|
	v_floor_f32_e32 v5, v5
	v_fma_f32 v8, 0xcf800000, v5, |v3|
	v_ashrrev_i32_e32 v3, 31, v3
	v_cvt_u32_f32_e32 v5, v5
	v_cvt_u32_f32_e32 v8, v8
	v_xor_b32_e32 v5, v5, v3
	v_xor_b32_e32 v8, v8, v3
	v_sub_co_u32 v8, vcc_lo, v8, v3
	v_sub_co_ci_u32_e64 v9, null, v5, v3, vcc_lo
	global_store_dwordx2 v[0:1], v[8:9], off
.LBB14_1801:
	s_andn2_b32 vcc_lo, exec_lo, s3
	s_cbranch_vccnz .LBB14_1803
; %bb.1802:
	v_cvt_i32_f32_e32 v3, v2
	global_store_dword v[0:1], v3, off
.LBB14_1803:
	s_mov_b32 s3, 0
.LBB14_1804:
	s_andn2_b32 vcc_lo, exec_lo, s3
	s_cbranch_vccnz .LBB14_1806
; %bb.1805:
	v_cvt_i32_f32_e32 v3, v2
	global_store_short v[0:1], v3, off
.LBB14_1806:
	s_mov_b32 s3, 0
.LBB14_1807:
	s_andn2_b32 vcc_lo, exec_lo, s3
	s_cbranch_vccnz .LBB14_1812
; %bb.1808:
	s_cmp_gt_i32 s0, 0
	s_mov_b32 s0, -1
	s_cbranch_scc0 .LBB14_1810
; %bb.1809:
	v_cvt_i32_f32_e32 v3, v2
	s_mov_b32 s0, 0
	global_store_byte v[0:1], v3, off
.LBB14_1810:
	s_andn2_b32 vcc_lo, exec_lo, s0
	s_cbranch_vccnz .LBB14_1812
; %bb.1811:
	v_trunc_f32_e32 v2, v2
	v_mul_f32_e64 v3, 0x2f800000, |v2|
	v_floor_f32_e32 v3, v3
	v_fma_f32 v3, 0xcf800000, v3, |v2|
	v_ashrrev_i32_e32 v2, 31, v2
	v_cvt_u32_f32_e32 v3, v3
	v_xor_b32_e32 v3, v3, v2
	v_sub_nc_u32_e32 v2, v3, v2
	global_store_byte v[0:1], v2, off
.LBB14_1812:
.LBB14_1813:
	v_mul_f32_e32 v0, v14, v14
	s_mov_b32 s0, 0xb94c1982
	s_mov_b32 s3, 0x37d75334
	v_and_b32_e32 v3, 1, v15
	v_lshlrev_b32_e32 v5, 30, v15
	v_fmaak_f32 v1, s0, v0, 0x3c0881c4
	v_fmaak_f32 v2, s3, v0, 0xbab64f3b
	v_add_nc_u32_e32 v4, s2, v4
	v_cmp_eq_u32_e32 vcc_lo, 0, v3
	s_mov_b32 s6, 0
	v_fmaak_f32 v1, v0, v1, 0xbe2aaa9d
	v_fmaak_f32 v2, v0, v2, 0x3d2aabf7
	s_cmp_lt_i32 s1, 11
	s_mov_b32 s0, -1
	v_mul_f32_e32 v1, v0, v1
	v_fmaak_f32 v2, v0, v2, 0xbf000004
	v_fmac_f32_e32 v14, v14, v1
	v_fma_f32 v0, v0, v2, 1.0
	v_xor_b32_e32 v1, v13, v6
	v_and_b32_e32 v2, 0x80000000, v5
	v_cndmask_b32_e32 v0, v0, v14, vcc_lo
	v_cmp_class_f32_e64 vcc_lo, v6, 0x1f8
	v_xor3_b32 v0, v1, v2, v0
	v_ashrrev_i32_e32 v1, 31, v4
	v_cndmask_b32_e32 v2, 0x7fc00000, v0, vcc_lo
	v_add_co_u32 v0, vcc_lo, s8, v4
	v_add_co_ci_u32_e64 v1, null, s9, v1, vcc_lo
	s_cbranch_scc1 .LBB14_1968
; %bb.1814:
	s_and_b32 s3, 0xffff, s1
	s_mov_b32 s10, -1
	s_mov_b32 s4, 0
	s_cmp_gt_i32 s3, 25
	s_mov_b32 s0, 0
	s_cbranch_scc0 .LBB14_1847
; %bb.1815:
	s_cmp_gt_i32 s3, 28
	s_cbranch_scc0 .LBB14_1830
; %bb.1816:
	s_cmp_gt_i32 s3, 43
	;; [unrolled: 3-line block ×3, first 2 shown]
	s_cbranch_scc0 .LBB14_1820
; %bb.1818:
	s_mov_b32 s0, -1
	s_mov_b32 s10, 0
	s_cmp_eq_u32 s3, 46
	s_cbranch_scc0 .LBB14_1820
; %bb.1819:
	v_bfe_u32 v3, v2, 16, 1
	v_cmp_o_f32_e32 vcc_lo, v2, v2
	v_mov_b32_e32 v5, 0x7fc0
	s_mov_b32 s0, 0
	s_mov_b32 s6, -1
	v_add3_u32 v3, v2, v3, 0x7fff
	v_cndmask_b32_sdwa v3, v5, v3, vcc_lo dst_sel:DWORD dst_unused:UNUSED_PAD src0_sel:DWORD src1_sel:WORD_1
	global_store_dword v[0:1], v3, off
.LBB14_1820:
	s_and_b32 vcc_lo, exec_lo, s10
	s_cbranch_vccz .LBB14_1825
; %bb.1821:
	s_cmp_eq_u32 s3, 44
	s_mov_b32 s0, -1
	s_cbranch_scc0 .LBB14_1825
; %bb.1822:
	v_bfe_u32 v5, v2, 23, 8
	v_mov_b32_e32 v3, 0xff
	s_mov_b32 s6, exec_lo
	v_cmpx_ne_u32_e32 0xff, v5
	s_cbranch_execz .LBB14_1824
; %bb.1823:
	v_and_b32_e32 v3, 0x400000, v2
	v_and_or_b32 v5, 0x3fffff, v2, v5
	v_cmp_ne_u32_e32 vcc_lo, 0, v3
	v_cmp_ne_u32_e64 s0, 0, v5
	v_lshrrev_b32_e32 v3, 23, v2
	s_and_b32 s0, vcc_lo, s0
	v_cndmask_b32_e64 v5, 0, 1, s0
	v_add_nc_u32_e32 v3, v3, v5
.LBB14_1824:
	s_or_b32 exec_lo, exec_lo, s6
	s_mov_b32 s0, 0
	s_mov_b32 s6, -1
	global_store_byte v[0:1], v3, off
.LBB14_1825:
	s_mov_b32 s10, 0
.LBB14_1826:
	s_and_b32 vcc_lo, exec_lo, s10
	s_cbranch_vccz .LBB14_1829
; %bb.1827:
	s_cmp_eq_u32 s3, 29
	s_mov_b32 s0, -1
	s_cbranch_scc0 .LBB14_1829
; %bb.1828:
	v_trunc_f32_e32 v3, v2
	s_mov_b32 s0, 0
	s_mov_b32 s6, -1
	v_mul_f32_e32 v5, 0x2f800000, v3
	v_floor_f32_e32 v5, v5
	v_fmamk_f32 v3, v5, 0xcf800000, v3
	v_cvt_u32_f32_e32 v6, v5
	v_cvt_u32_f32_e32 v5, v3
	global_store_dwordx2 v[0:1], v[5:6], off
.LBB14_1829:
	s_mov_b32 s10, 0
.LBB14_1830:
	s_and_b32 vcc_lo, exec_lo, s10
	s_cbranch_vccz .LBB14_1846
; %bb.1831:
	s_cmp_lt_i32 s3, 27
	s_mov_b32 s6, -1
	s_cbranch_scc1 .LBB14_1837
; %bb.1832:
	v_cvt_u32_f32_e32 v3, v2
	s_cmp_gt_i32 s3, 27
	s_cbranch_scc0 .LBB14_1834
; %bb.1833:
	s_mov_b32 s6, 0
	global_store_dword v[0:1], v3, off
.LBB14_1834:
	s_andn2_b32 vcc_lo, exec_lo, s6
	s_cbranch_vccnz .LBB14_1836
; %bb.1835:
	global_store_short v[0:1], v3, off
.LBB14_1836:
	s_mov_b32 s6, 0
.LBB14_1837:
	s_andn2_b32 vcc_lo, exec_lo, s6
	s_cbranch_vccnz .LBB14_1845
; %bb.1838:
	v_and_b32_e32 v3, 0x7fffffff, v2
	v_mov_b32_e32 v5, 0x80
	s_mov_b32 s6, exec_lo
	v_cmpx_gt_u32_e32 0x43800000, v3
	s_cbranch_execz .LBB14_1844
; %bb.1839:
	v_cmp_lt_u32_e32 vcc_lo, 0x3bffffff, v3
	s_mov_b32 s10, 0
                                        ; implicit-def: $vgpr3
	s_and_saveexec_b32 s11, vcc_lo
	s_xor_b32 s11, exec_lo, s11
	s_cbranch_execz .LBB14_2063
; %bb.1840:
	v_bfe_u32 v3, v2, 20, 1
	s_mov_b32 s10, exec_lo
	v_add3_u32 v3, v2, v3, 0x487ffff
	v_lshrrev_b32_e32 v3, 20, v3
	s_andn2_saveexec_b32 s11, s11
	s_cbranch_execnz .LBB14_2064
.LBB14_1841:
	s_or_b32 exec_lo, exec_lo, s11
	v_mov_b32_e32 v5, 0
	s_and_saveexec_b32 s11, s10
.LBB14_1842:
	v_lshrrev_b32_e32 v5, 24, v2
	v_and_or_b32 v5, 0x80, v5, v3
.LBB14_1843:
	s_or_b32 exec_lo, exec_lo, s11
.LBB14_1844:
	s_or_b32 exec_lo, exec_lo, s6
	global_store_byte v[0:1], v5, off
.LBB14_1845:
	s_mov_b32 s6, -1
.LBB14_1846:
	s_mov_b32 s10, 0
.LBB14_1847:
	s_and_b32 vcc_lo, exec_lo, s10
	s_cbranch_vccz .LBB14_1887
; %bb.1848:
	s_cmp_gt_i32 s3, 22
	s_mov_b32 s4, -1
	s_cbranch_scc0 .LBB14_1880
; %bb.1849:
	s_cmp_lt_i32 s3, 24
	s_cbranch_scc1 .LBB14_1869
; %bb.1850:
	s_cmp_gt_i32 s3, 24
	s_cbranch_scc0 .LBB14_1858
; %bb.1851:
	v_and_b32_e32 v3, 0x7fffffff, v2
	v_mov_b32_e32 v5, 0x80
	s_mov_b32 s4, exec_lo
	v_cmpx_gt_u32_e32 0x47800000, v3
	s_cbranch_execz .LBB14_1857
; %bb.1852:
	v_cmp_lt_u32_e32 vcc_lo, 0x37ffffff, v3
	s_mov_b32 s6, 0
                                        ; implicit-def: $vgpr3
	s_and_saveexec_b32 s10, vcc_lo
	s_xor_b32 s10, exec_lo, s10
	s_cbranch_execz .LBB14_2066
; %bb.1853:
	v_bfe_u32 v3, v2, 21, 1
	s_mov_b32 s6, exec_lo
	v_add3_u32 v3, v2, v3, 0x88fffff
	v_lshrrev_b32_e32 v3, 21, v3
	s_andn2_saveexec_b32 s10, s10
	s_cbranch_execnz .LBB14_2067
.LBB14_1854:
	s_or_b32 exec_lo, exec_lo, s10
	v_mov_b32_e32 v5, 0
	s_and_saveexec_b32 s10, s6
.LBB14_1855:
	v_lshrrev_b32_e32 v5, 24, v2
	v_and_or_b32 v5, 0x80, v5, v3
.LBB14_1856:
	s_or_b32 exec_lo, exec_lo, s10
.LBB14_1857:
	s_or_b32 exec_lo, exec_lo, s4
	s_mov_b32 s4, 0
	global_store_byte v[0:1], v5, off
.LBB14_1858:
	s_and_b32 vcc_lo, exec_lo, s4
	s_cbranch_vccz .LBB14_1868
; %bb.1859:
	v_and_b32_e32 v5, 0x7fffffff, v2
	s_mov_b32 s4, exec_lo
                                        ; implicit-def: $vgpr3
	v_cmpx_gt_u32_e32 0x43f00000, v5
	s_xor_b32 s4, exec_lo, s4
	s_cbranch_execz .LBB14_1865
; %bb.1860:
	s_mov_b32 s6, exec_lo
                                        ; implicit-def: $vgpr3
	v_cmpx_lt_u32_e32 0x3c7fffff, v5
	s_xor_b32 s6, exec_lo, s6
; %bb.1861:
	v_bfe_u32 v3, v2, 20, 1
	v_add3_u32 v3, v2, v3, 0x407ffff
	v_and_b32_e32 v5, 0xff00000, v3
	v_lshrrev_b32_e32 v3, 20, v3
	v_cmp_ne_u32_e32 vcc_lo, 0x7f00000, v5
	v_cndmask_b32_e32 v3, 0x7e, v3, vcc_lo
; %bb.1862:
	s_andn2_saveexec_b32 s6, s6
; %bb.1863:
	v_add_f32_e64 v3, 0x46800000, |v2|
; %bb.1864:
	s_or_b32 exec_lo, exec_lo, s6
                                        ; implicit-def: $vgpr5
.LBB14_1865:
	s_andn2_saveexec_b32 s4, s4
; %bb.1866:
	v_mov_b32_e32 v3, 0x7f
	v_cmp_lt_u32_e32 vcc_lo, 0x7f800000, v5
	v_cndmask_b32_e32 v3, 0x7e, v3, vcc_lo
; %bb.1867:
	s_or_b32 exec_lo, exec_lo, s4
	v_lshrrev_b32_e32 v5, 24, v2
	v_and_or_b32 v3, 0x80, v5, v3
	global_store_byte v[0:1], v3, off
.LBB14_1868:
	s_mov_b32 s4, 0
.LBB14_1869:
	s_andn2_b32 vcc_lo, exec_lo, s4
	s_cbranch_vccnz .LBB14_1879
; %bb.1870:
	v_and_b32_e32 v5, 0x7fffffff, v2
	s_mov_b32 s4, exec_lo
                                        ; implicit-def: $vgpr3
	v_cmpx_gt_u32_e32 0x47800000, v5
	s_xor_b32 s4, exec_lo, s4
	s_cbranch_execz .LBB14_1876
; %bb.1871:
	s_mov_b32 s6, exec_lo
                                        ; implicit-def: $vgpr3
	v_cmpx_lt_u32_e32 0x387fffff, v5
	s_xor_b32 s6, exec_lo, s6
; %bb.1872:
	v_bfe_u32 v3, v2, 21, 1
	v_add3_u32 v3, v2, v3, 0x80fffff
	v_lshrrev_b32_e32 v3, 21, v3
; %bb.1873:
	s_andn2_saveexec_b32 s6, s6
; %bb.1874:
	v_add_f32_e64 v3, 0x43000000, |v2|
; %bb.1875:
	s_or_b32 exec_lo, exec_lo, s6
                                        ; implicit-def: $vgpr5
.LBB14_1876:
	s_andn2_saveexec_b32 s4, s4
; %bb.1877:
	v_mov_b32_e32 v3, 0x7f
	v_cmp_lt_u32_e32 vcc_lo, 0x7f800000, v5
	v_cndmask_b32_e32 v3, 0x7c, v3, vcc_lo
; %bb.1878:
	s_or_b32 exec_lo, exec_lo, s4
	v_lshrrev_b32_e32 v5, 24, v2
	v_and_or_b32 v3, 0x80, v5, v3
	global_store_byte v[0:1], v3, off
.LBB14_1879:
	s_mov_b32 s4, 0
	s_mov_b32 s6, -1
.LBB14_1880:
	s_andn2_b32 vcc_lo, exec_lo, s4
	s_mov_b32 s4, 0
	s_cbranch_vccnz .LBB14_1887
; %bb.1881:
	s_cmp_gt_i32 s3, 14
	s_mov_b32 s4, -1
	s_cbranch_scc0 .LBB14_1885
; %bb.1882:
	s_cmp_eq_u32 s3, 15
	s_mov_b32 s0, -1
	s_cbranch_scc0 .LBB14_1884
; %bb.1883:
	v_bfe_u32 v3, v2, 16, 1
	v_cmp_o_f32_e32 vcc_lo, v2, v2
	v_mov_b32_e32 v5, 0x7fc0
	s_mov_b32 s0, 0
	s_mov_b32 s6, -1
	v_add3_u32 v3, v2, v3, 0x7fff
	v_cndmask_b32_sdwa v3, v5, v3, vcc_lo dst_sel:DWORD dst_unused:UNUSED_PAD src0_sel:DWORD src1_sel:WORD_1
	global_store_short v[0:1], v3, off
.LBB14_1884:
	s_mov_b32 s4, 0
.LBB14_1885:
	s_and_b32 vcc_lo, exec_lo, s4
	s_mov_b32 s4, 0
	s_cbranch_vccz .LBB14_1887
; %bb.1886:
	s_cmp_lg_u32 s3, 11
	s_mov_b32 s4, -1
	s_cselect_b32 s0, -1, 0
.LBB14_1887:
	s_and_b32 vcc_lo, exec_lo, s0
	s_cbranch_vccnz .LBB14_2065
; %bb.1888:
	s_andn2_b32 vcc_lo, exec_lo, s4
	s_cbranch_vccnz .LBB14_1890
.LBB14_1889:
	v_cmp_neq_f32_e32 vcc_lo, 0, v2
	s_mov_b32 s6, -1
	v_cndmask_b32_e64 v3, 0, 1, vcc_lo
	global_store_byte v[0:1], v3, off
.LBB14_1890:
.LBB14_1891:
	s_andn2_b32 vcc_lo, exec_lo, s6
	s_cbranch_vccnz .LBB14_2007
.LBB14_1892:
	v_mul_f32_e32 v0, v17, v17
	s_mov_b32 s0, 0xb94c1982
	s_mov_b32 s3, 0x37d75334
	v_and_b32_e32 v3, 1, v18
	v_lshlrev_b32_e32 v5, 30, v18
	v_fmaak_f32 v1, s0, v0, 0x3c0881c4
	v_fmaak_f32 v2, s3, v0, 0xbab64f3b
	s_mov_b32 s3, 0
	v_cmp_eq_u32_e32 vcc_lo, 0, v3
	v_add_nc_u32_e32 v3, s2, v4
	v_fmaak_f32 v1, v0, v1, 0xbe2aaa9d
	v_fmaak_f32 v2, v0, v2, 0x3d2aabf7
	s_cmp_lt_i32 s1, 11
	s_mov_b32 s0, -1
	v_mul_f32_e32 v1, v0, v1
	v_fmaak_f32 v2, v0, v2, 0xbf000004
	v_fmac_f32_e32 v17, v17, v1
	v_fma_f32 v0, v0, v2, 1.0
	v_xor_b32_e32 v1, v16, v7
	v_and_b32_e32 v2, 0x80000000, v5
	v_cndmask_b32_e32 v0, v0, v17, vcc_lo
	v_cmp_class_f32_e64 vcc_lo, v7, 0x1f8
	v_xor3_b32 v0, v1, v2, v0
	v_ashrrev_i32_e32 v1, 31, v3
	v_cndmask_b32_e32 v2, 0x7fc00000, v0, vcc_lo
	v_add_co_u32 v0, vcc_lo, s8, v3
	v_add_co_ci_u32_e64 v1, null, s9, v1, vcc_lo
	s_cbranch_scc1 .LBB14_2008
; %bb.1893:
	s_and_b32 s2, 0xffff, s1
	s_mov_b32 s4, -1
	s_cmp_gt_i32 s2, 25
	s_mov_b32 s0, 0
	s_cbranch_scc0 .LBB14_1926
; %bb.1894:
	s_cmp_gt_i32 s2, 28
	s_cbranch_scc0 .LBB14_1910
; %bb.1895:
	s_cmp_gt_i32 s2, 43
	;; [unrolled: 3-line block ×3, first 2 shown]
	s_cbranch_scc0 .LBB14_1900
; %bb.1897:
	s_cmp_eq_u32 s2, 46
	s_mov_b32 s0, -1
	s_cbranch_scc0 .LBB14_1899
; %bb.1898:
	v_bfe_u32 v3, v2, 16, 1
	v_cmp_o_f32_e32 vcc_lo, v2, v2
	v_mov_b32_e32 v4, 0x7fc0
	s_mov_b32 s0, 0
	v_add3_u32 v3, v2, v3, 0x7fff
	v_cndmask_b32_sdwa v3, v4, v3, vcc_lo dst_sel:DWORD dst_unused:UNUSED_PAD src0_sel:DWORD src1_sel:WORD_1
	global_store_dword v[0:1], v3, off
.LBB14_1899:
	s_mov_b32 s4, 0
.LBB14_1900:
	s_and_b32 vcc_lo, exec_lo, s4
	s_cbranch_vccz .LBB14_1905
; %bb.1901:
	s_cmp_eq_u32 s2, 44
	s_mov_b32 s0, -1
	s_cbranch_scc0 .LBB14_1905
; %bb.1902:
	v_bfe_u32 v4, v2, 23, 8
	v_mov_b32_e32 v3, 0xff
	s_mov_b32 s4, exec_lo
	v_cmpx_ne_u32_e32 0xff, v4
	s_cbranch_execz .LBB14_1904
; %bb.1903:
	v_and_b32_e32 v3, 0x400000, v2
	v_and_or_b32 v4, 0x3fffff, v2, v4
	v_cmp_ne_u32_e32 vcc_lo, 0, v3
	v_cmp_ne_u32_e64 s0, 0, v4
	v_lshrrev_b32_e32 v3, 23, v2
	s_and_b32 s0, vcc_lo, s0
	v_cndmask_b32_e64 v4, 0, 1, s0
	v_add_nc_u32_e32 v3, v3, v4
.LBB14_1904:
	s_or_b32 exec_lo, exec_lo, s4
	s_mov_b32 s0, 0
	global_store_byte v[0:1], v3, off
.LBB14_1905:
	s_mov_b32 s4, 0
.LBB14_1906:
	s_and_b32 vcc_lo, exec_lo, s4
	s_cbranch_vccz .LBB14_1909
; %bb.1907:
	s_cmp_eq_u32 s2, 29
	s_mov_b32 s0, -1
	s_cbranch_scc0 .LBB14_1909
; %bb.1908:
	v_trunc_f32_e32 v3, v2
	s_mov_b32 s0, 0
	v_mul_f32_e32 v4, 0x2f800000, v3
	v_floor_f32_e32 v4, v4
	v_fmamk_f32 v3, v4, 0xcf800000, v3
	v_cvt_u32_f32_e32 v4, v4
	v_cvt_u32_f32_e32 v3, v3
	global_store_dwordx2 v[0:1], v[3:4], off
.LBB14_1909:
	s_mov_b32 s4, 0
.LBB14_1910:
	s_and_b32 vcc_lo, exec_lo, s4
	s_cbranch_vccz .LBB14_1925
; %bb.1911:
	s_cmp_lt_i32 s2, 27
	s_mov_b32 s4, -1
	s_cbranch_scc1 .LBB14_1917
; %bb.1912:
	v_cvt_u32_f32_e32 v3, v2
	s_cmp_gt_i32 s2, 27
	s_cbranch_scc0 .LBB14_1914
; %bb.1913:
	s_mov_b32 s4, 0
	global_store_dword v[0:1], v3, off
.LBB14_1914:
	s_andn2_b32 vcc_lo, exec_lo, s4
	s_cbranch_vccnz .LBB14_1916
; %bb.1915:
	global_store_short v[0:1], v3, off
.LBB14_1916:
	s_mov_b32 s4, 0
.LBB14_1917:
	s_andn2_b32 vcc_lo, exec_lo, s4
	s_cbranch_vccnz .LBB14_1925
; %bb.1918:
	v_and_b32_e32 v3, 0x7fffffff, v2
	v_mov_b32_e32 v4, 0x80
	s_mov_b32 s4, exec_lo
	v_cmpx_gt_u32_e32 0x43800000, v3
	s_cbranch_execz .LBB14_1924
; %bb.1919:
	v_cmp_lt_u32_e32 vcc_lo, 0x3bffffff, v3
	s_mov_b32 s6, 0
                                        ; implicit-def: $vgpr3
	s_and_saveexec_b32 s8, vcc_lo
	s_xor_b32 s8, exec_lo, s8
	s_cbranch_execz .LBB14_2068
; %bb.1920:
	v_bfe_u32 v3, v2, 20, 1
	s_mov_b32 s6, exec_lo
	v_add3_u32 v3, v2, v3, 0x487ffff
	v_lshrrev_b32_e32 v3, 20, v3
	s_andn2_saveexec_b32 s8, s8
	s_cbranch_execnz .LBB14_2069
.LBB14_1921:
	s_or_b32 exec_lo, exec_lo, s8
	v_mov_b32_e32 v4, 0
	s_and_saveexec_b32 s8, s6
.LBB14_1922:
	v_lshrrev_b32_e32 v4, 24, v2
	v_and_or_b32 v4, 0x80, v4, v3
.LBB14_1923:
	s_or_b32 exec_lo, exec_lo, s8
.LBB14_1924:
	s_or_b32 exec_lo, exec_lo, s4
	global_store_byte v[0:1], v4, off
.LBB14_1925:
	s_mov_b32 s4, 0
.LBB14_1926:
	s_and_b32 vcc_lo, exec_lo, s4
	s_cbranch_vccz .LBB14_1966
; %bb.1927:
	s_cmp_gt_i32 s2, 22
	s_mov_b32 s3, -1
	s_cbranch_scc0 .LBB14_1959
; %bb.1928:
	s_cmp_lt_i32 s2, 24
	s_cbranch_scc1 .LBB14_1948
; %bb.1929:
	s_cmp_gt_i32 s2, 24
	s_cbranch_scc0 .LBB14_1937
; %bb.1930:
	v_and_b32_e32 v3, 0x7fffffff, v2
	v_mov_b32_e32 v4, 0x80
	s_mov_b32 s3, exec_lo
	v_cmpx_gt_u32_e32 0x47800000, v3
	s_cbranch_execz .LBB14_1936
; %bb.1931:
	v_cmp_lt_u32_e32 vcc_lo, 0x37ffffff, v3
	s_mov_b32 s4, 0
                                        ; implicit-def: $vgpr3
	s_and_saveexec_b32 s6, vcc_lo
	s_xor_b32 s6, exec_lo, s6
	s_cbranch_execz .LBB14_2071
; %bb.1932:
	v_bfe_u32 v3, v2, 21, 1
	s_mov_b32 s4, exec_lo
	v_add3_u32 v3, v2, v3, 0x88fffff
	v_lshrrev_b32_e32 v3, 21, v3
	s_andn2_saveexec_b32 s6, s6
	s_cbranch_execnz .LBB14_2072
.LBB14_1933:
	s_or_b32 exec_lo, exec_lo, s6
	v_mov_b32_e32 v4, 0
	s_and_saveexec_b32 s6, s4
.LBB14_1934:
	v_lshrrev_b32_e32 v4, 24, v2
	v_and_or_b32 v4, 0x80, v4, v3
.LBB14_1935:
	s_or_b32 exec_lo, exec_lo, s6
.LBB14_1936:
	s_or_b32 exec_lo, exec_lo, s3
	s_mov_b32 s3, 0
	global_store_byte v[0:1], v4, off
.LBB14_1937:
	s_and_b32 vcc_lo, exec_lo, s3
	s_cbranch_vccz .LBB14_1947
; %bb.1938:
	v_and_b32_e32 v4, 0x7fffffff, v2
	s_mov_b32 s3, exec_lo
                                        ; implicit-def: $vgpr3
	v_cmpx_gt_u32_e32 0x43f00000, v4
	s_xor_b32 s3, exec_lo, s3
	s_cbranch_execz .LBB14_1944
; %bb.1939:
	s_mov_b32 s4, exec_lo
                                        ; implicit-def: $vgpr3
	v_cmpx_lt_u32_e32 0x3c7fffff, v4
	s_xor_b32 s4, exec_lo, s4
; %bb.1940:
	v_bfe_u32 v3, v2, 20, 1
	v_add3_u32 v3, v2, v3, 0x407ffff
	v_and_b32_e32 v4, 0xff00000, v3
	v_lshrrev_b32_e32 v3, 20, v3
	v_cmp_ne_u32_e32 vcc_lo, 0x7f00000, v4
	v_cndmask_b32_e32 v3, 0x7e, v3, vcc_lo
; %bb.1941:
	s_andn2_saveexec_b32 s4, s4
; %bb.1942:
	v_add_f32_e64 v3, 0x46800000, |v2|
; %bb.1943:
	s_or_b32 exec_lo, exec_lo, s4
                                        ; implicit-def: $vgpr4
.LBB14_1944:
	s_andn2_saveexec_b32 s3, s3
; %bb.1945:
	v_mov_b32_e32 v3, 0x7f
	v_cmp_lt_u32_e32 vcc_lo, 0x7f800000, v4
	v_cndmask_b32_e32 v3, 0x7e, v3, vcc_lo
; %bb.1946:
	s_or_b32 exec_lo, exec_lo, s3
	v_lshrrev_b32_e32 v4, 24, v2
	v_and_or_b32 v3, 0x80, v4, v3
	global_store_byte v[0:1], v3, off
.LBB14_1947:
	s_mov_b32 s3, 0
.LBB14_1948:
	s_andn2_b32 vcc_lo, exec_lo, s3
	s_cbranch_vccnz .LBB14_1958
; %bb.1949:
	v_and_b32_e32 v4, 0x7fffffff, v2
	s_mov_b32 s3, exec_lo
                                        ; implicit-def: $vgpr3
	v_cmpx_gt_u32_e32 0x47800000, v4
	s_xor_b32 s3, exec_lo, s3
	s_cbranch_execz .LBB14_1955
; %bb.1950:
	s_mov_b32 s4, exec_lo
                                        ; implicit-def: $vgpr3
	v_cmpx_lt_u32_e32 0x387fffff, v4
	s_xor_b32 s4, exec_lo, s4
; %bb.1951:
	v_bfe_u32 v3, v2, 21, 1
	v_add3_u32 v3, v2, v3, 0x80fffff
	v_lshrrev_b32_e32 v3, 21, v3
; %bb.1952:
	s_andn2_saveexec_b32 s4, s4
; %bb.1953:
	v_add_f32_e64 v3, 0x43000000, |v2|
; %bb.1954:
	s_or_b32 exec_lo, exec_lo, s4
                                        ; implicit-def: $vgpr4
.LBB14_1955:
	s_andn2_saveexec_b32 s3, s3
; %bb.1956:
	v_mov_b32_e32 v3, 0x7f
	v_cmp_lt_u32_e32 vcc_lo, 0x7f800000, v4
	v_cndmask_b32_e32 v3, 0x7c, v3, vcc_lo
; %bb.1957:
	s_or_b32 exec_lo, exec_lo, s3
	v_lshrrev_b32_e32 v4, 24, v2
	v_and_or_b32 v3, 0x80, v4, v3
	global_store_byte v[0:1], v3, off
.LBB14_1958:
	s_mov_b32 s3, 0
.LBB14_1959:
	s_andn2_b32 vcc_lo, exec_lo, s3
	s_mov_b32 s3, 0
	s_cbranch_vccnz .LBB14_1966
; %bb.1960:
	s_cmp_gt_i32 s2, 14
	s_mov_b32 s3, -1
	s_cbranch_scc0 .LBB14_1964
; %bb.1961:
	s_cmp_eq_u32 s2, 15
	s_mov_b32 s0, -1
	s_cbranch_scc0 .LBB14_1963
; %bb.1962:
	v_bfe_u32 v3, v2, 16, 1
	v_cmp_o_f32_e32 vcc_lo, v2, v2
	v_mov_b32_e32 v4, 0x7fc0
	s_mov_b32 s0, 0
	v_add3_u32 v3, v2, v3, 0x7fff
	v_cndmask_b32_sdwa v3, v4, v3, vcc_lo dst_sel:DWORD dst_unused:UNUSED_PAD src0_sel:DWORD src1_sel:WORD_1
	global_store_short v[0:1], v3, off
.LBB14_1963:
	s_mov_b32 s3, 0
.LBB14_1964:
	s_and_b32 vcc_lo, exec_lo, s3
	s_mov_b32 s3, 0
	s_cbranch_vccz .LBB14_1966
; %bb.1965:
	s_cmp_lg_u32 s2, 11
	s_mov_b32 s3, -1
	s_cselect_b32 s0, -1, 0
.LBB14_1966:
	s_and_b32 vcc_lo, exec_lo, s0
	s_cbranch_vccnz .LBB14_2070
.LBB14_1967:
	s_mov_b32 s0, 0
	s_branch .LBB14_2008
.LBB14_1968:
	s_and_b32 vcc_lo, exec_lo, s0
	s_cbranch_vccz .LBB14_1891
; %bb.1969:
	s_and_b32 s0, 0xffff, s1
	s_mov_b32 s3, -1
	s_cmp_lt_i32 s0, 5
	s_cbranch_scc1 .LBB14_1990
; %bb.1970:
	s_cmp_lt_i32 s0, 8
	s_cbranch_scc1 .LBB14_1980
; %bb.1971:
	;; [unrolled: 3-line block ×3, first 2 shown]
	s_cmp_gt_i32 s0, 9
	s_cbranch_scc0 .LBB14_1974
; %bb.1973:
	v_cvt_f64_f32_e32 v[8:9], v2
	v_mov_b32_e32 v10, 0
	s_mov_b32 s3, 0
	v_mov_b32_e32 v11, v10
	global_store_dwordx4 v[0:1], v[8:11], off
.LBB14_1974:
	s_andn2_b32 vcc_lo, exec_lo, s3
	s_cbranch_vccnz .LBB14_1976
; %bb.1975:
	v_mov_b32_e32 v3, 0
	global_store_dwordx2 v[0:1], v[2:3], off
.LBB14_1976:
	s_mov_b32 s3, 0
.LBB14_1977:
	s_andn2_b32 vcc_lo, exec_lo, s3
	s_cbranch_vccnz .LBB14_1979
; %bb.1978:
	v_cvt_f16_f32_e32 v3, v2
	v_and_b32_e32 v3, 0xffff, v3
	global_store_dword v[0:1], v3, off
.LBB14_1979:
	s_mov_b32 s3, 0
.LBB14_1980:
	s_andn2_b32 vcc_lo, exec_lo, s3
	s_cbranch_vccnz .LBB14_1989
; %bb.1981:
	s_cmp_lt_i32 s0, 6
	s_mov_b32 s3, -1
	s_cbranch_scc1 .LBB14_1987
; %bb.1982:
	s_cmp_gt_i32 s0, 6
	s_cbranch_scc0 .LBB14_1984
; %bb.1983:
	v_cvt_f64_f32_e32 v[5:6], v2
	s_mov_b32 s3, 0
	global_store_dwordx2 v[0:1], v[5:6], off
.LBB14_1984:
	s_andn2_b32 vcc_lo, exec_lo, s3
	s_cbranch_vccnz .LBB14_1986
; %bb.1985:
	global_store_dword v[0:1], v2, off
.LBB14_1986:
	s_mov_b32 s3, 0
.LBB14_1987:
	s_andn2_b32 vcc_lo, exec_lo, s3
	s_cbranch_vccnz .LBB14_1989
; %bb.1988:
	v_cvt_f16_f32_e32 v3, v2
	global_store_short v[0:1], v3, off
.LBB14_1989:
	s_mov_b32 s3, 0
.LBB14_1990:
	s_andn2_b32 vcc_lo, exec_lo, s3
	s_cbranch_vccnz .LBB14_2006
; %bb.1991:
	s_cmp_lt_i32 s0, 2
	s_mov_b32 s3, -1
	s_cbranch_scc1 .LBB14_2001
; %bb.1992:
	s_cmp_lt_i32 s0, 3
	s_cbranch_scc1 .LBB14_1998
; %bb.1993:
	s_cmp_gt_i32 s0, 3
	s_cbranch_scc0 .LBB14_1995
; %bb.1994:
	v_trunc_f32_e32 v3, v2
	s_mov_b32 s3, 0
	v_mul_f32_e64 v5, 0x2f800000, |v3|
	v_floor_f32_e32 v5, v5
	v_fma_f32 v6, 0xcf800000, v5, |v3|
	v_ashrrev_i32_e32 v3, 31, v3
	v_cvt_u32_f32_e32 v5, v5
	v_cvt_u32_f32_e32 v6, v6
	v_xor_b32_e32 v8, v5, v3
	v_xor_b32_e32 v6, v6, v3
	v_sub_co_u32 v5, vcc_lo, v6, v3
	v_sub_co_ci_u32_e64 v6, null, v8, v3, vcc_lo
	global_store_dwordx2 v[0:1], v[5:6], off
.LBB14_1995:
	s_andn2_b32 vcc_lo, exec_lo, s3
	s_cbranch_vccnz .LBB14_1997
; %bb.1996:
	v_cvt_i32_f32_e32 v3, v2
	global_store_dword v[0:1], v3, off
.LBB14_1997:
	s_mov_b32 s3, 0
.LBB14_1998:
	s_andn2_b32 vcc_lo, exec_lo, s3
	s_cbranch_vccnz .LBB14_2000
; %bb.1999:
	v_cvt_i32_f32_e32 v3, v2
	global_store_short v[0:1], v3, off
.LBB14_2000:
	s_mov_b32 s3, 0
.LBB14_2001:
	s_andn2_b32 vcc_lo, exec_lo, s3
	s_cbranch_vccnz .LBB14_2006
; %bb.2002:
	s_cmp_gt_i32 s0, 0
	s_mov_b32 s0, -1
	s_cbranch_scc0 .LBB14_2004
; %bb.2003:
	v_cvt_i32_f32_e32 v3, v2
	s_mov_b32 s0, 0
	global_store_byte v[0:1], v3, off
.LBB14_2004:
	s_andn2_b32 vcc_lo, exec_lo, s0
	s_cbranch_vccnz .LBB14_2006
; %bb.2005:
	v_trunc_f32_e32 v2, v2
	v_mul_f32_e64 v3, 0x2f800000, |v2|
	v_floor_f32_e32 v3, v3
	v_fma_f32 v3, 0xcf800000, v3, |v2|
	v_ashrrev_i32_e32 v2, 31, v2
	v_cvt_u32_f32_e32 v3, v3
	v_xor_b32_e32 v3, v3, v2
	v_sub_nc_u32_e32 v2, v3, v2
	global_store_byte v[0:1], v2, off
.LBB14_2006:
	s_branch .LBB14_1892
.LBB14_2007:
	s_mov_b32 s0, 0
	s_mov_b32 s3, 0
                                        ; implicit-def: $sgpr1
                                        ; implicit-def: $vgpr0_vgpr1
                                        ; implicit-def: $vgpr2
.LBB14_2008:
	s_andn2_b32 s2, s12, exec_lo
	s_and_b32 s4, s5, exec_lo
	s_and_b32 s0, s0, exec_lo
	;; [unrolled: 1-line block ×3, first 2 shown]
	s_or_b32 s12, s2, s4
.LBB14_2009:
	s_or_b32 exec_lo, exec_lo, s7
	s_and_saveexec_b32 s2, s12
	s_cbranch_execz .LBB14_2012
; %bb.2010:
	; divergent unreachable
	s_or_b32 exec_lo, exec_lo, s2
	s_and_saveexec_b32 s2, s5
	s_xor_b32 s2, exec_lo, s2
	s_cbranch_execnz .LBB14_2013
.LBB14_2011:
	s_or_b32 exec_lo, exec_lo, s2
	s_and_saveexec_b32 s2, s0
	s_cbranch_execnz .LBB14_2014
	s_branch .LBB14_2051
.LBB14_2012:
	s_or_b32 exec_lo, exec_lo, s2
	s_and_saveexec_b32 s2, s5
	s_xor_b32 s2, exec_lo, s2
	s_cbranch_execz .LBB14_2011
.LBB14_2013:
	s_waitcnt vmcnt(0)
	v_cmp_neq_f32_e32 vcc_lo, 0, v2
	v_cndmask_b32_e64 v3, 0, 1, vcc_lo
	global_store_byte v[0:1], v3, off
	s_or_b32 exec_lo, exec_lo, s2
	s_and_saveexec_b32 s2, s0
	s_cbranch_execz .LBB14_2051
.LBB14_2014:
	s_sext_i32_i16 s2, s1
	s_mov_b32 s0, -1
	s_cmp_lt_i32 s2, 5
	s_cbranch_scc1 .LBB14_2035
; %bb.2015:
	s_cmp_lt_i32 s2, 8
	s_cbranch_scc1 .LBB14_2025
; %bb.2016:
	;; [unrolled: 3-line block ×3, first 2 shown]
	s_cmp_gt_i32 s2, 9
	s_cbranch_scc0 .LBB14_2019
; %bb.2018:
	s_waitcnt vmcnt(0)
	v_cvt_f64_f32_e32 v[3:4], v2
	v_mov_b32_e32 v5, 0
	s_mov_b32 s0, 0
	v_mov_b32_e32 v6, v5
	global_store_dwordx4 v[0:1], v[3:6], off
.LBB14_2019:
	s_andn2_b32 vcc_lo, exec_lo, s0
	s_cbranch_vccnz .LBB14_2021
; %bb.2020:
	s_waitcnt vmcnt(0)
	v_mov_b32_e32 v3, 0
	global_store_dwordx2 v[0:1], v[2:3], off
.LBB14_2021:
	s_mov_b32 s0, 0
.LBB14_2022:
	s_andn2_b32 vcc_lo, exec_lo, s0
	s_cbranch_vccnz .LBB14_2024
; %bb.2023:
	s_waitcnt vmcnt(0)
	v_cvt_f16_f32_e32 v3, v2
	v_and_b32_e32 v3, 0xffff, v3
	global_store_dword v[0:1], v3, off
.LBB14_2024:
	s_mov_b32 s0, 0
.LBB14_2025:
	s_andn2_b32 vcc_lo, exec_lo, s0
	s_cbranch_vccnz .LBB14_2034
; %bb.2026:
	s_sext_i32_i16 s2, s1
	s_mov_b32 s0, -1
	s_cmp_lt_i32 s2, 6
	s_cbranch_scc1 .LBB14_2032
; %bb.2027:
	s_cmp_gt_i32 s2, 6
	s_cbranch_scc0 .LBB14_2029
; %bb.2028:
	s_waitcnt vmcnt(0)
	v_cvt_f64_f32_e32 v[3:4], v2
	s_mov_b32 s0, 0
	global_store_dwordx2 v[0:1], v[3:4], off
.LBB14_2029:
	s_andn2_b32 vcc_lo, exec_lo, s0
	s_cbranch_vccnz .LBB14_2031
; %bb.2030:
	s_waitcnt vmcnt(0)
	global_store_dword v[0:1], v2, off
.LBB14_2031:
	s_mov_b32 s0, 0
.LBB14_2032:
	s_andn2_b32 vcc_lo, exec_lo, s0
	s_cbranch_vccnz .LBB14_2034
; %bb.2033:
	s_waitcnt vmcnt(0)
	v_cvt_f16_f32_e32 v3, v2
	global_store_short v[0:1], v3, off
.LBB14_2034:
	s_mov_b32 s0, 0
.LBB14_2035:
	s_andn2_b32 vcc_lo, exec_lo, s0
	s_cbranch_vccnz .LBB14_2051
; %bb.2036:
	s_sext_i32_i16 s2, s1
	s_mov_b32 s0, -1
	s_cmp_lt_i32 s2, 2
	s_cbranch_scc1 .LBB14_2046
; %bb.2037:
	s_cmp_lt_i32 s2, 3
	s_cbranch_scc1 .LBB14_2043
; %bb.2038:
	s_cmp_gt_i32 s2, 3
	s_cbranch_scc0 .LBB14_2040
; %bb.2039:
	s_waitcnt vmcnt(0)
	v_trunc_f32_e32 v3, v2
	s_mov_b32 s0, 0
	v_mul_f32_e64 v4, 0x2f800000, |v3|
	v_ashrrev_i32_e32 v6, 31, v3
	v_floor_f32_e32 v4, v4
	v_fma_f32 v5, 0xcf800000, v4, |v3|
	v_cvt_u32_f32_e32 v4, v4
	v_cvt_u32_f32_e32 v3, v5
	v_xor_b32_e32 v4, v4, v6
	v_xor_b32_e32 v3, v3, v6
	v_sub_co_u32 v3, vcc_lo, v3, v6
	v_sub_co_ci_u32_e64 v4, null, v4, v6, vcc_lo
	global_store_dwordx2 v[0:1], v[3:4], off
.LBB14_2040:
	s_andn2_b32 vcc_lo, exec_lo, s0
	s_cbranch_vccnz .LBB14_2042
; %bb.2041:
	s_waitcnt vmcnt(0)
	v_cvt_i32_f32_e32 v3, v2
	global_store_dword v[0:1], v3, off
.LBB14_2042:
	s_mov_b32 s0, 0
.LBB14_2043:
	s_andn2_b32 vcc_lo, exec_lo, s0
	s_cbranch_vccnz .LBB14_2045
; %bb.2044:
	s_waitcnt vmcnt(0)
	v_cvt_i32_f32_e32 v3, v2
	global_store_short v[0:1], v3, off
.LBB14_2045:
	s_mov_b32 s0, 0
.LBB14_2046:
	s_andn2_b32 vcc_lo, exec_lo, s0
	s_cbranch_vccnz .LBB14_2051
; %bb.2047:
	s_sext_i32_i16 s0, s1
	s_cmp_gt_i32 s0, 0
	s_mov_b32 s0, -1
	s_cbranch_scc0 .LBB14_2049
; %bb.2048:
	s_waitcnt vmcnt(0)
	v_cvt_i32_f32_e32 v3, v2
	s_mov_b32 s0, 0
	global_store_byte v[0:1], v3, off
.LBB14_2049:
	s_andn2_b32 vcc_lo, exec_lo, s0
	s_cbranch_vccnz .LBB14_2051
; %bb.2050:
	s_waitcnt vmcnt(0)
	v_trunc_f32_e32 v2, v2
	v_mul_f32_e64 v3, 0x2f800000, |v2|
	v_floor_f32_e32 v3, v3
	v_fma_f32 v3, 0xcf800000, v3, |v2|
	v_ashrrev_i32_e32 v2, 31, v2
	v_cvt_u32_f32_e32 v3, v3
	v_xor_b32_e32 v3, v3, v2
	v_sub_nc_u32_e32 v2, v3, v2
	global_store_byte v[0:1], v2, off
	s_endpgm
.LBB14_2051:
	s_endpgm
.LBB14_2052:
	s_or_b32 s5, s5, exec_lo
	s_trap 2
	s_cbranch_execz .LBB14_1521
	s_branch .LBB14_1522
.LBB14_2053:
	s_andn2_saveexec_b32 s11, s11
	s_cbranch_execz .LBB14_1605
.LBB14_2054:
	v_add_f32_e64 v3, 0x46000000, |v2|
	s_andn2_b32 s10, s10, exec_lo
	v_and_b32_e32 v3, 0xff, v3
	v_cmp_ne_u32_e32 vcc_lo, 0, v3
	s_and_b32 s13, vcc_lo, exec_lo
	s_or_b32 s10, s10, s13
	s_or_b32 exec_lo, exec_lo, s11
	v_mov_b32_e32 v8, 0
	s_and_saveexec_b32 s11, s10
	s_cbranch_execnz .LBB14_1606
	s_branch .LBB14_1607
.LBB14_2055:
	s_or_b32 s5, s5, exec_lo
	s_trap 2
	s_cbranch_execz .LBB14_1653
	s_branch .LBB14_1654
.LBB14_2056:
	s_andn2_saveexec_b32 s10, s10
	s_cbranch_execz .LBB14_1618
.LBB14_2057:
	v_add_f32_e64 v3, 0x42800000, |v2|
	s_andn2_b32 s6, s6, exec_lo
	v_and_b32_e32 v3, 0xff, v3
	v_cmp_ne_u32_e32 vcc_lo, 0, v3
	s_and_b32 s11, vcc_lo, exec_lo
	s_or_b32 s6, s6, s11
	s_or_b32 exec_lo, exec_lo, s10
	v_mov_b32_e32 v8, 0
	s_and_saveexec_b32 s10, s6
	s_cbranch_execnz .LBB14_1619
	s_branch .LBB14_1620
.LBB14_2058:
	s_andn2_saveexec_b32 s11, s11
	s_cbranch_execz .LBB14_1723
.LBB14_2059:
	v_add_f32_e64 v3, 0x46000000, |v2|
	s_andn2_b32 s10, s10, exec_lo
	v_and_b32_e32 v3, 0xff, v3
	v_cmp_ne_u32_e32 vcc_lo, 0, v3
	s_and_b32 s13, vcc_lo, exec_lo
	s_or_b32 s10, s10, s13
	s_or_b32 exec_lo, exec_lo, s11
	v_mov_b32_e32 v5, 0
	s_and_saveexec_b32 s11, s10
	s_cbranch_execnz .LBB14_1724
	s_branch .LBB14_1725
.LBB14_2060:
	s_or_b32 s5, s5, exec_lo
	s_trap 2
	s_cbranch_execz .LBB14_1771
	s_branch .LBB14_1772
.LBB14_2061:
	s_andn2_saveexec_b32 s10, s10
	s_cbranch_execz .LBB14_1736
.LBB14_2062:
	v_add_f32_e64 v3, 0x42800000, |v2|
	s_andn2_b32 s6, s6, exec_lo
	v_and_b32_e32 v3, 0xff, v3
	v_cmp_ne_u32_e32 vcc_lo, 0, v3
	s_and_b32 s11, vcc_lo, exec_lo
	s_or_b32 s6, s6, s11
	s_or_b32 exec_lo, exec_lo, s10
	v_mov_b32_e32 v5, 0
	s_and_saveexec_b32 s10, s6
	s_cbranch_execnz .LBB14_1737
	s_branch .LBB14_1738
.LBB14_2063:
	s_andn2_saveexec_b32 s11, s11
	s_cbranch_execz .LBB14_1841
.LBB14_2064:
	v_add_f32_e64 v3, 0x46000000, |v2|
	s_andn2_b32 s10, s10, exec_lo
	v_and_b32_e32 v3, 0xff, v3
	v_cmp_ne_u32_e32 vcc_lo, 0, v3
	s_and_b32 s13, vcc_lo, exec_lo
	s_or_b32 s10, s10, s13
	s_or_b32 exec_lo, exec_lo, s11
	v_mov_b32_e32 v5, 0
	s_and_saveexec_b32 s11, s10
	s_cbranch_execnz .LBB14_1842
	s_branch .LBB14_1843
.LBB14_2065:
	s_or_b32 s5, s5, exec_lo
	s_trap 2
	s_cbranch_execz .LBB14_1889
	s_branch .LBB14_1890
.LBB14_2066:
	s_andn2_saveexec_b32 s10, s10
	s_cbranch_execz .LBB14_1854
.LBB14_2067:
	v_add_f32_e64 v3, 0x42800000, |v2|
	s_andn2_b32 s6, s6, exec_lo
	v_and_b32_e32 v3, 0xff, v3
	v_cmp_ne_u32_e32 vcc_lo, 0, v3
	s_and_b32 s11, vcc_lo, exec_lo
	s_or_b32 s6, s6, s11
	s_or_b32 exec_lo, exec_lo, s10
	v_mov_b32_e32 v5, 0
	s_and_saveexec_b32 s10, s6
	s_cbranch_execnz .LBB14_1855
	s_branch .LBB14_1856
.LBB14_2068:
	s_andn2_saveexec_b32 s8, s8
	s_cbranch_execz .LBB14_1921
.LBB14_2069:
	v_add_f32_e64 v3, 0x46000000, |v2|
	s_andn2_b32 s6, s6, exec_lo
	v_and_b32_e32 v3, 0xff, v3
	v_cmp_ne_u32_e32 vcc_lo, 0, v3
	s_and_b32 s9, vcc_lo, exec_lo
	s_or_b32 s6, s6, s9
	s_or_b32 exec_lo, exec_lo, s8
	v_mov_b32_e32 v4, 0
	s_and_saveexec_b32 s8, s6
	s_cbranch_execnz .LBB14_1922
	s_branch .LBB14_1923
.LBB14_2070:
	s_mov_b32 s3, 0
	s_or_b32 s5, s5, exec_lo
	s_trap 2
	s_branch .LBB14_1967
.LBB14_2071:
	s_andn2_saveexec_b32 s6, s6
	s_cbranch_execz .LBB14_1933
.LBB14_2072:
	v_add_f32_e64 v3, 0x42800000, |v2|
	s_andn2_b32 s4, s4, exec_lo
	v_and_b32_e32 v3, 0xff, v3
	v_cmp_ne_u32_e32 vcc_lo, 0, v3
	s_and_b32 s8, vcc_lo, exec_lo
	s_or_b32 s4, s4, s8
	s_or_b32 exec_lo, exec_lo, s6
	v_mov_b32_e32 v4, 0
	s_and_saveexec_b32 s6, s4
	s_cbranch_execnz .LBB14_1934
	s_branch .LBB14_1935
	.section	.rodata,"a",@progbits
	.p2align	6, 0x0
	.amdhsa_kernel _ZN2at6native32elementwise_kernel_manual_unrollILi128ELi4EZNS0_15gpu_kernel_implIZZZNS0_15sin_kernel_cudaERNS_18TensorIteratorBaseEENKUlvE0_clEvENKUlvE0_clEvEUlfE_EEvS4_RKT_EUlibE_EEviT1_
		.amdhsa_group_segment_fixed_size 0
		.amdhsa_private_segment_fixed_size 0
		.amdhsa_kernarg_size 40
		.amdhsa_user_sgpr_count 6
		.amdhsa_user_sgpr_private_segment_buffer 1
		.amdhsa_user_sgpr_dispatch_ptr 0
		.amdhsa_user_sgpr_queue_ptr 0
		.amdhsa_user_sgpr_kernarg_segment_ptr 1
		.amdhsa_user_sgpr_dispatch_id 0
		.amdhsa_user_sgpr_flat_scratch_init 0
		.amdhsa_user_sgpr_private_segment_size 0
		.amdhsa_wavefront_size32 1
		.amdhsa_uses_dynamic_stack 0
		.amdhsa_system_sgpr_private_segment_wavefront_offset 0
		.amdhsa_system_sgpr_workgroup_id_x 1
		.amdhsa_system_sgpr_workgroup_id_y 0
		.amdhsa_system_sgpr_workgroup_id_z 0
		.amdhsa_system_sgpr_workgroup_info 0
		.amdhsa_system_vgpr_workitem_id 0
		.amdhsa_next_free_vgpr 27
		.amdhsa_next_free_sgpr 26
		.amdhsa_reserve_vcc 1
		.amdhsa_reserve_flat_scratch 0
		.amdhsa_float_round_mode_32 0
		.amdhsa_float_round_mode_16_64 0
		.amdhsa_float_denorm_mode_32 3
		.amdhsa_float_denorm_mode_16_64 3
		.amdhsa_dx10_clamp 1
		.amdhsa_ieee_mode 1
		.amdhsa_fp16_overflow 0
		.amdhsa_workgroup_processor_mode 1
		.amdhsa_memory_ordered 1
		.amdhsa_forward_progress 1
		.amdhsa_shared_vgpr_count 0
		.amdhsa_exception_fp_ieee_invalid_op 0
		.amdhsa_exception_fp_denorm_src 0
		.amdhsa_exception_fp_ieee_div_zero 0
		.amdhsa_exception_fp_ieee_overflow 0
		.amdhsa_exception_fp_ieee_underflow 0
		.amdhsa_exception_fp_ieee_inexact 0
		.amdhsa_exception_int_div_zero 0
	.end_amdhsa_kernel
	.section	.text._ZN2at6native32elementwise_kernel_manual_unrollILi128ELi4EZNS0_15gpu_kernel_implIZZZNS0_15sin_kernel_cudaERNS_18TensorIteratorBaseEENKUlvE0_clEvENKUlvE0_clEvEUlfE_EEvS4_RKT_EUlibE_EEviT1_,"axG",@progbits,_ZN2at6native32elementwise_kernel_manual_unrollILi128ELi4EZNS0_15gpu_kernel_implIZZZNS0_15sin_kernel_cudaERNS_18TensorIteratorBaseEENKUlvE0_clEvENKUlvE0_clEvEUlfE_EEvS4_RKT_EUlibE_EEviT1_,comdat
.Lfunc_end14:
	.size	_ZN2at6native32elementwise_kernel_manual_unrollILi128ELi4EZNS0_15gpu_kernel_implIZZZNS0_15sin_kernel_cudaERNS_18TensorIteratorBaseEENKUlvE0_clEvENKUlvE0_clEvEUlfE_EEvS4_RKT_EUlibE_EEviT1_, .Lfunc_end14-_ZN2at6native32elementwise_kernel_manual_unrollILi128ELi4EZNS0_15gpu_kernel_implIZZZNS0_15sin_kernel_cudaERNS_18TensorIteratorBaseEENKUlvE0_clEvENKUlvE0_clEvEUlfE_EEvS4_RKT_EUlibE_EEviT1_
                                        ; -- End function
	.set _ZN2at6native32elementwise_kernel_manual_unrollILi128ELi4EZNS0_15gpu_kernel_implIZZZNS0_15sin_kernel_cudaERNS_18TensorIteratorBaseEENKUlvE0_clEvENKUlvE0_clEvEUlfE_EEvS4_RKT_EUlibE_EEviT1_.num_vgpr, 27
	.set _ZN2at6native32elementwise_kernel_manual_unrollILi128ELi4EZNS0_15gpu_kernel_implIZZZNS0_15sin_kernel_cudaERNS_18TensorIteratorBaseEENKUlvE0_clEvENKUlvE0_clEvEUlfE_EEvS4_RKT_EUlibE_EEviT1_.num_agpr, 0
	.set _ZN2at6native32elementwise_kernel_manual_unrollILi128ELi4EZNS0_15gpu_kernel_implIZZZNS0_15sin_kernel_cudaERNS_18TensorIteratorBaseEENKUlvE0_clEvENKUlvE0_clEvEUlfE_EEvS4_RKT_EUlibE_EEviT1_.numbered_sgpr, 26
	.set _ZN2at6native32elementwise_kernel_manual_unrollILi128ELi4EZNS0_15gpu_kernel_implIZZZNS0_15sin_kernel_cudaERNS_18TensorIteratorBaseEENKUlvE0_clEvENKUlvE0_clEvEUlfE_EEvS4_RKT_EUlibE_EEviT1_.num_named_barrier, 0
	.set _ZN2at6native32elementwise_kernel_manual_unrollILi128ELi4EZNS0_15gpu_kernel_implIZZZNS0_15sin_kernel_cudaERNS_18TensorIteratorBaseEENKUlvE0_clEvENKUlvE0_clEvEUlfE_EEvS4_RKT_EUlibE_EEviT1_.private_seg_size, 0
	.set _ZN2at6native32elementwise_kernel_manual_unrollILi128ELi4EZNS0_15gpu_kernel_implIZZZNS0_15sin_kernel_cudaERNS_18TensorIteratorBaseEENKUlvE0_clEvENKUlvE0_clEvEUlfE_EEvS4_RKT_EUlibE_EEviT1_.uses_vcc, 1
	.set _ZN2at6native32elementwise_kernel_manual_unrollILi128ELi4EZNS0_15gpu_kernel_implIZZZNS0_15sin_kernel_cudaERNS_18TensorIteratorBaseEENKUlvE0_clEvENKUlvE0_clEvEUlfE_EEvS4_RKT_EUlibE_EEviT1_.uses_flat_scratch, 0
	.set _ZN2at6native32elementwise_kernel_manual_unrollILi128ELi4EZNS0_15gpu_kernel_implIZZZNS0_15sin_kernel_cudaERNS_18TensorIteratorBaseEENKUlvE0_clEvENKUlvE0_clEvEUlfE_EEvS4_RKT_EUlibE_EEviT1_.has_dyn_sized_stack, 0
	.set _ZN2at6native32elementwise_kernel_manual_unrollILi128ELi4EZNS0_15gpu_kernel_implIZZZNS0_15sin_kernel_cudaERNS_18TensorIteratorBaseEENKUlvE0_clEvENKUlvE0_clEvEUlfE_EEvS4_RKT_EUlibE_EEviT1_.has_recursion, 0
	.set _ZN2at6native32elementwise_kernel_manual_unrollILi128ELi4EZNS0_15gpu_kernel_implIZZZNS0_15sin_kernel_cudaERNS_18TensorIteratorBaseEENKUlvE0_clEvENKUlvE0_clEvEUlfE_EEvS4_RKT_EUlibE_EEviT1_.has_indirect_call, 0
	.section	.AMDGPU.csdata,"",@progbits
; Kernel info:
; codeLenInByte = 37500
; TotalNumSgprs: 28
; NumVgprs: 27
; ScratchSize: 0
; MemoryBound: 1
; FloatMode: 240
; IeeeMode: 1
; LDSByteSize: 0 bytes/workgroup (compile time only)
; SGPRBlocks: 0
; VGPRBlocks: 3
; NumSGPRsForWavesPerEU: 28
; NumVGPRsForWavesPerEU: 27
; Occupancy: 16
; WaveLimiterHint : 0
; COMPUTE_PGM_RSRC2:SCRATCH_EN: 0
; COMPUTE_PGM_RSRC2:USER_SGPR: 6
; COMPUTE_PGM_RSRC2:TRAP_HANDLER: 0
; COMPUTE_PGM_RSRC2:TGID_X_EN: 1
; COMPUTE_PGM_RSRC2:TGID_Y_EN: 0
; COMPUTE_PGM_RSRC2:TGID_Z_EN: 0
; COMPUTE_PGM_RSRC2:TIDIG_COMP_CNT: 0
	.section	.text._ZN2at6native32elementwise_kernel_manual_unrollILi128ELi4EZNS0_15gpu_kernel_implIZZZNS0_15sin_kernel_cudaERNS_18TensorIteratorBaseEENKUlvE0_clEvENKUlvE0_clEvEUlfE_EEvS4_RKT_EUlibE0_EEviT1_,"axG",@progbits,_ZN2at6native32elementwise_kernel_manual_unrollILi128ELi4EZNS0_15gpu_kernel_implIZZZNS0_15sin_kernel_cudaERNS_18TensorIteratorBaseEENKUlvE0_clEvENKUlvE0_clEvEUlfE_EEvS4_RKT_EUlibE0_EEviT1_,comdat
	.globl	_ZN2at6native32elementwise_kernel_manual_unrollILi128ELi4EZNS0_15gpu_kernel_implIZZZNS0_15sin_kernel_cudaERNS_18TensorIteratorBaseEENKUlvE0_clEvENKUlvE0_clEvEUlfE_EEvS4_RKT_EUlibE0_EEviT1_ ; -- Begin function _ZN2at6native32elementwise_kernel_manual_unrollILi128ELi4EZNS0_15gpu_kernel_implIZZZNS0_15sin_kernel_cudaERNS_18TensorIteratorBaseEENKUlvE0_clEvENKUlvE0_clEvEUlfE_EEvS4_RKT_EUlibE0_EEviT1_
	.p2align	8
	.type	_ZN2at6native32elementwise_kernel_manual_unrollILi128ELi4EZNS0_15gpu_kernel_implIZZZNS0_15sin_kernel_cudaERNS_18TensorIteratorBaseEENKUlvE0_clEvENKUlvE0_clEvEUlfE_EEvS4_RKT_EUlibE0_EEviT1_,@function
_ZN2at6native32elementwise_kernel_manual_unrollILi128ELi4EZNS0_15gpu_kernel_implIZZZNS0_15sin_kernel_cudaERNS_18TensorIteratorBaseEENKUlvE0_clEvENKUlvE0_clEvEUlfE_EEvS4_RKT_EUlibE0_EEviT1_: ; @_ZN2at6native32elementwise_kernel_manual_unrollILi128ELi4EZNS0_15gpu_kernel_implIZZZNS0_15sin_kernel_cudaERNS_18TensorIteratorBaseEENKUlvE0_clEvENKUlvE0_clEvEUlfE_EEvS4_RKT_EUlibE0_EEviT1_
; %bb.0:
	s_clause 0x1
	s_load_dword s24, s[4:5], 0x8
	s_load_dword s33, s[4:5], 0x0
	v_lshl_or_b32 v8, s6, 9, v0
	s_add_u32 s2, s4, 8
	s_addc_u32 s3, s5, 0
	s_mov_b32 s1, -1
	s_mov_b32 s26, 0
	v_or_b32_e32 v15, 0x180, v8
	s_mov_b32 s12, 0
	s_mov_b32 s0, exec_lo
	s_waitcnt lgkmcnt(0)
	s_add_i32 s25, s24, -1
	s_cmp_gt_u32 s25, 1
	s_cselect_b32 s27, -1, 0
	v_cmpx_le_i32_e64 s33, v15
	s_xor_b32 s28, exec_lo, s0
	s_cbranch_execz .LBB15_1102
; %bb.1:
	v_mov_b32_e32 v0, 0
	s_clause 0x3
	s_load_dwordx4 s[16:19], s[2:3], 0x4
	s_load_dwordx2 s[6:7], s[2:3], 0x14
	s_load_dwordx4 s[12:15], s[2:3], 0xc4
	s_load_dwordx4 s[8:11], s[2:3], 0x148
	s_cmp_lg_u32 s24, 0
	s_mov_b32 s39, 0
	s_cselect_b32 s34, -1, 0
	global_load_ushort v0, v0, s[2:3] offset:345
	s_add_u32 s20, s2, 0xc4
	s_addc_u32 s21, s3, 0
	s_min_u32 s35, s25, 15
	s_cmp_gt_u32 s24, 1
	s_mov_b32 s37, 0
	s_cselect_b32 s31, -1, 0
	s_mov_b32 s36, 0
	s_mov_b32 s38, exec_lo
	s_waitcnt vmcnt(0)
	v_readfirstlane_b32 s29, v0
	s_and_b32 s0, 0xffff, s29
	s_lshr_b32 s30, s0, 8
	v_cmpx_gt_i32_e64 s33, v8
	s_cbranch_execz .LBB15_270
; %bb.2:
	s_andn2_b32 vcc_lo, exec_lo, s27
	s_cbranch_vccnz .LBB15_7
; %bb.3:
	s_andn2_b32 vcc_lo, exec_lo, s34
	s_cbranch_vccnz .LBB15_8
; %bb.4:
	s_add_i32 s37, s35, 1
	s_cmp_eq_u32 s25, 2
	s_cbranch_scc1 .LBB15_9
; %bb.5:
	v_mov_b32_e32 v2, 0
	v_mov_b32_e32 v0, 0
	;; [unrolled: 1-line block ×3, first 2 shown]
	s_and_b32 s36, s37, 28
	s_mov_b32 s40, 0
	s_mov_b64 s[0:1], s[2:3]
	s_mov_b64 s[22:23], s[20:21]
.LBB15_6:                               ; =>This Inner Loop Header: Depth=1
	s_clause 0x1
	s_load_dwordx8 s[44:51], s[0:1], 0x4
	s_load_dwordx4 s[60:63], s[0:1], 0x24
	s_load_dwordx8 s[52:59], s[22:23], 0x0
	s_add_u32 s0, s0, 48
	s_addc_u32 s1, s1, 0
	s_add_i32 s40, s40, 4
	s_add_u32 s22, s22, 32
	s_addc_u32 s23, s23, 0
	s_cmp_lg_u32 s36, s40
	s_waitcnt lgkmcnt(0)
	v_mul_hi_u32 v3, s45, v1
	v_add_nc_u32_e32 v3, v1, v3
	v_lshrrev_b32_e32 v3, s46, v3
	v_mul_hi_u32 v4, s48, v3
	v_mul_lo_u32 v6, v3, s44
	v_add_nc_u32_e32 v4, v3, v4
	v_sub_nc_u32_e32 v1, v1, v6
	v_lshrrev_b32_e32 v4, s49, v4
	v_mul_lo_u32 v6, v1, s52
	v_mul_lo_u32 v9, v1, s53
	v_mul_hi_u32 v5, s51, v4
	v_add_nc_u32_e32 v5, v4, v5
	v_lshrrev_b32_e32 v5, s60, v5
	v_mul_hi_u32 v7, s62, v5
	v_mul_lo_u32 v10, v5, s50
	v_add_nc_u32_e32 v1, v5, v7
	v_mul_lo_u32 v7, v4, s47
	v_sub_nc_u32_e32 v4, v4, v10
	v_lshrrev_b32_e32 v1, s63, v1
	v_mul_lo_u32 v10, v4, s56
	v_mul_lo_u32 v4, v4, s57
	v_sub_nc_u32_e32 v3, v3, v7
	v_mul_lo_u32 v11, v1, s61
	v_mul_lo_u32 v7, v3, s54
	;; [unrolled: 1-line block ×3, first 2 shown]
	v_sub_nc_u32_e32 v5, v5, v11
	v_add3_u32 v0, v6, v0, v7
	v_mul_lo_u32 v11, v5, s58
	v_mul_lo_u32 v5, v5, s59
	v_add3_u32 v2, v9, v2, v3
	v_add3_u32 v0, v10, v0, v11
	;; [unrolled: 1-line block ×3, first 2 shown]
	s_cbranch_scc1 .LBB15_6
	s_branch .LBB15_10
.LBB15_7:
                                        ; implicit-def: $vgpr0
                                        ; implicit-def: $vgpr2
	s_branch .LBB15_14
.LBB15_8:
	v_mov_b32_e32 v0, 0
	v_mov_b32_e32 v2, 0
	s_branch .LBB15_13
.LBB15_9:
	v_mov_b32_e32 v0, 0
	v_mov_b32_e32 v2, 0
	;; [unrolled: 1-line block ×3, first 2 shown]
.LBB15_10:
	s_and_b32 s37, s37, 3
	s_cmp_eq_u32 s37, 0
	s_cbranch_scc1 .LBB15_13
; %bb.11:
	s_lshl_b32 s0, s36, 3
	s_mul_i32 s22, s36, 12
	s_add_u32 s0, s2, s0
	s_addc_u32 s1, s3, 0
	s_add_u32 s0, s0, 0xc4
	s_addc_u32 s1, s1, 0
	;; [unrolled: 2-line block ×3, first 2 shown]
	.p2align	6
.LBB15_12:                              ; =>This Inner Loop Header: Depth=1
	s_clause 0x1
	s_load_dwordx2 s[40:41], s[22:23], 0x4
	s_load_dword s36, s[22:23], 0xc
	s_load_dwordx2 s[42:43], s[0:1], 0x0
	s_add_u32 s22, s22, 12
	s_addc_u32 s23, s23, 0
	s_add_u32 s0, s0, 8
	s_addc_u32 s1, s1, 0
	s_add_i32 s37, s37, -1
	s_cmp_lg_u32 s37, 0
	s_waitcnt lgkmcnt(0)
	v_mul_hi_u32 v3, s41, v1
	v_add_nc_u32_e32 v3, v1, v3
	v_lshrrev_b32_e32 v4, s36, v3
	v_mul_lo_u32 v3, v4, s40
	v_sub_nc_u32_e32 v3, v1, v3
	v_mad_u64_u32 v[0:1], null, v3, s42, v[0:1]
	v_mad_u64_u32 v[2:3], null, v3, s43, v[2:3]
	v_mov_b32_e32 v1, v4
	s_cbranch_scc1 .LBB15_12
.LBB15_13:
	s_cbranch_execnz .LBB15_16
.LBB15_14:
	s_waitcnt lgkmcnt(0)
	v_mul_hi_u32 v0, s17, v8
	s_andn2_b32 vcc_lo, exec_lo, s31
	v_add_nc_u32_e32 v0, v8, v0
	v_lshrrev_b32_e32 v1, s18, v0
	v_mul_lo_u32 v0, v1, s16
	v_sub_nc_u32_e32 v2, v8, v0
	v_mul_lo_u32 v0, v2, s12
	v_mul_lo_u32 v2, v2, s13
	s_cbranch_vccnz .LBB15_16
; %bb.15:
	v_mul_hi_u32 v3, s6, v1
	v_add_nc_u32_e32 v3, v1, v3
	v_lshrrev_b32_e32 v3, s7, v3
	v_mul_lo_u32 v3, v3, s19
	v_sub_nc_u32_e32 v3, v1, v3
	v_mad_u64_u32 v[0:1], null, v3, s14, v[0:1]
	v_mad_u64_u32 v[2:3], null, v3, s15, v[2:3]
.LBB15_16:
	s_waitcnt lgkmcnt(0)
	v_add_co_u32 v1, s0, s10, v2
	v_add_co_ci_u32_e64 v2, null, s11, 0, s0
	s_and_b32 s0, 0xffff, s30
	s_cmp_lt_i32 s0, 11
	s_cbranch_scc1 .LBB15_23
; %bb.17:
	s_cmp_gt_i32 s0, 25
	s_cbranch_scc0 .LBB15_75
; %bb.18:
	s_cmp_gt_i32 s0, 28
	s_cbranch_scc0 .LBB15_76
	;; [unrolled: 3-line block ×4, first 2 shown]
; %bb.21:
	s_cmp_eq_u32 s0, 46
	s_mov_b32 s23, 0
	s_cbranch_scc0 .LBB15_82
; %bb.22:
	global_load_dword v3, v[1:2], off
	s_mov_b32 s1, -1
	s_mov_b32 s22, 0
	s_waitcnt vmcnt(0)
	v_lshlrev_b32_e32 v3, 16, v3
	s_branch .LBB15_84
.LBB15_23:
	s_mov_b32 s22, 0
	s_mov_b32 s1, 0
                                        ; implicit-def: $vgpr3
	s_cbranch_execnz .LBB15_220
.LBB15_24:
	s_andn2_b32 vcc_lo, exec_lo, s1
	s_cbranch_vccnz .LBB15_267
.LBB15_25:
	s_waitcnt vmcnt(0)
	v_and_b32_e32 v1, 0x7fffffff, v3
                                        ; implicit-def: $vgpr4
                                        ; implicit-def: $vgpr2
	s_mov_b32 s1, exec_lo
	v_cmpx_ngt_f32_e64 0x48000000, |v3|
	s_xor_b32 s23, exec_lo, s1
	s_cbranch_execz .LBB15_27
; %bb.26:
	s_mov_b32 s0, 0x7fffff
	v_mov_b32_e32 v6, 0
	v_and_or_b32 v2, v1, s0, 0x800000
	v_lshrrev_b32_e32 v7, 23, v1
	v_mad_u64_u32 v[4:5], null, 0xfe5163ab, v2, 0
	v_add_nc_u32_e32 v7, 0xffffff88, v7
	v_cmp_lt_u32_e32 vcc_lo, 63, v7
	v_mad_u64_u32 v[9:10], null, 0x3c439041, v2, v[5:6]
	v_cndmask_b32_e64 v14, 0, 0xffffffc0, vcc_lo
	v_mov_b32_e32 v5, v10
	v_add_nc_u32_e32 v7, v14, v7
	v_mad_u64_u32 v[10:11], null, 0xdb629599, v2, v[5:6]
	v_cmp_lt_u32_e64 s0, 31, v7
	v_cndmask_b32_e64 v15, 0, 0xffffffe0, s0
	v_mov_b32_e32 v5, v11
	v_cndmask_b32_e32 v4, v10, v4, vcc_lo
	v_add_nc_u32_e32 v7, v15, v7
	v_mad_u64_u32 v[11:12], null, 0xf534ddc0, v2, v[5:6]
	v_cmp_lt_u32_e64 s1, 31, v7
	v_mov_b32_e32 v5, v12
	v_mad_u64_u32 v[12:13], null, 0xfc2757d1, v2, v[5:6]
	v_mov_b32_e32 v5, v13
	v_mad_u64_u32 v[13:14], null, 0x4e441529, v2, v[5:6]
	v_mov_b32_e32 v5, v14
	v_cndmask_b32_e32 v14, v13, v11, vcc_lo
	v_mad_u64_u32 v[5:6], null, 0xa2f9836e, v2, v[5:6]
	v_cndmask_b32_e64 v2, 0, 0xffffffe0, s1
	v_add_nc_u32_e32 v2, v2, v7
	v_cndmask_b32_e32 v5, v5, v12, vcc_lo
	v_cndmask_b32_e32 v6, v6, v13, vcc_lo
	v_cndmask_b32_e32 v12, v12, v10, vcc_lo
	v_cndmask_b32_e32 v7, v11, v9, vcc_lo
	v_sub_nc_u32_e32 v11, 32, v2
	v_cndmask_b32_e64 v9, v5, v14, s0
	v_cndmask_b32_e64 v5, v6, v5, s0
	;; [unrolled: 1-line block ×4, first 2 shown]
	v_cmp_eq_u32_e32 vcc_lo, 0, v2
	v_cndmask_b32_e64 v4, v7, v4, s0
	v_cndmask_b32_e64 v5, v5, v9, s1
	;; [unrolled: 1-line block ×5, first 2 shown]
	v_alignbit_b32 v13, v5, v9, v11
	v_alignbit_b32 v10, v9, v6, v11
	;; [unrolled: 1-line block ×3, first 2 shown]
	v_cndmask_b32_e32 v2, v13, v5, vcc_lo
	v_cndmask_b32_e32 v5, v10, v9, vcc_lo
	;; [unrolled: 1-line block ×3, first 2 shown]
	v_bfe_u32 v7, v2, 29, 1
	v_alignbit_b32 v9, v2, v5, 30
	v_alignbit_b32 v5, v5, v6, 30
	;; [unrolled: 1-line block ×3, first 2 shown]
	v_sub_nc_u32_e32 v10, 0, v7
	v_xor_b32_e32 v9, v9, v10
	v_xor_b32_e32 v5, v5, v10
	;; [unrolled: 1-line block ×3, first 2 shown]
	v_lshrrev_b32_e32 v10, 29, v2
	v_ffbh_u32_e32 v11, v9
	v_min_u32_e32 v11, 32, v11
	v_sub_nc_u32_e32 v6, 31, v11
	v_lshlrev_b32_e32 v12, 23, v11
	v_alignbit_b32 v9, v9, v5, v6
	v_alignbit_b32 v4, v5, v4, v6
	v_lshlrev_b32_e32 v5, 31, v10
	v_alignbit_b32 v6, v9, v4, 9
	v_or_b32_e32 v10, 0.5, v5
	v_lshrrev_b32_e32 v9, 9, v9
	v_or_b32_e32 v5, 0x33000000, v5
	v_ffbh_u32_e32 v13, v6
	v_sub_nc_u32_e32 v10, v10, v12
	v_min_u32_e32 v12, 32, v13
	v_or_b32_e32 v9, v9, v10
	v_not_b32_e32 v10, v12
	v_mul_f32_e32 v13, 0x3fc90fda, v9
	v_add_lshl_u32 v11, v12, v11, 23
	v_alignbit_b32 v4, v6, v4, v10
	v_fma_f32 v6, 0x3fc90fda, v9, -v13
	v_sub_nc_u32_e32 v5, v5, v11
	v_lshrrev_b32_e32 v4, 9, v4
	v_fmamk_f32 v6, v9, 0x33a22168, v6
	v_or_b32_e32 v4, v5, v4
	v_fmac_f32_e32 v6, 0x3fc90fda, v4
	v_lshrrev_b32_e32 v4, 30, v2
	v_add_f32_e32 v2, v13, v6
	v_add_nc_u32_e32 v4, v7, v4
.LBB15_27:
	s_andn2_saveexec_b32 s0, s23
; %bb.28:
	v_mul_f32_e64 v2, 0x3f22f983, |v3|
	v_rndne_f32_e32 v4, v2
	v_fma_f32 v2, 0xbfc90fda, v4, |v3|
	v_fmamk_f32 v2, v4, 0xb3a22168, v2
	v_fmamk_f32 v2, v4, 0xa7c234c4, v2
	v_cvt_i32_f32_e32 v4, v4
; %bb.29:
	s_or_b32 exec_lo, exec_lo, s0
	v_mul_f32_e32 v5, v2, v2
	s_mov_b32 s0, 0xb94c1982
	s_mov_b32 s1, 0x37d75334
	v_and_b32_e32 v9, 1, v4
	v_lshlrev_b32_e32 v4, 30, v4
	v_fmaak_f32 v6, s0, v5, 0x3c0881c4
	v_fmaak_f32 v7, s1, v5, 0xbab64f3b
	v_xor_b32_e32 v1, v1, v3
	v_cmp_eq_u32_e32 vcc_lo, 0, v9
	v_and_b32_e32 v4, 0x80000000, v4
	v_fmaak_f32 v6, v5, v6, 0xbe2aaa9d
	v_fmaak_f32 v7, v5, v7, 0x3d2aabf7
	v_add_co_u32 v0, s1, s8, v0
	s_mov_b32 s0, 0
	v_mul_f32_e32 v6, v5, v6
	v_fmaak_f32 v7, v5, v7, 0xbf000004
	s_mov_b32 s23, -1
	s_mov_b32 s36, 0
	v_fmac_f32_e32 v2, v2, v6
	v_fma_f32 v5, v5, v7, 1.0
	v_cndmask_b32_e32 v2, v5, v2, vcc_lo
	v_cmp_class_f32_e64 vcc_lo, v3, 0x1f8
	v_xor3_b32 v2, v1, v4, v2
	v_add_co_ci_u32_e64 v1, null, s9, 0, s1
	s_and_b32 s1, s29, 0xff
	v_cndmask_b32_e32 v2, 0x7fc00000, v2, vcc_lo
	s_cmp_lt_i32 s1, 11
	s_cbranch_scc1 .LBB15_36
; %bb.30:
	s_and_b32 s23, 0xffff, s1
	s_cmp_gt_i32 s23, 25
	s_cbranch_scc0 .LBB15_77
; %bb.31:
	s_cmp_gt_i32 s23, 28
	s_cbranch_scc0 .LBB15_79
; %bb.32:
	;; [unrolled: 3-line block ×4, first 2 shown]
	s_mov_b32 s37, 0
	s_mov_b32 s0, -1
	s_cmp_eq_u32 s23, 46
	s_cbranch_scc0 .LBB15_88
; %bb.35:
	v_bfe_u32 v3, v2, 16, 1
	v_cmp_o_f32_e32 vcc_lo, v2, v2
	v_mov_b32_e32 v4, 0x7fc0
	s_mov_b32 s36, -1
	s_mov_b32 s0, 0
	v_add3_u32 v3, v2, v3, 0x7fff
	v_cndmask_b32_sdwa v3, v4, v3, vcc_lo dst_sel:DWORD dst_unused:UNUSED_PAD src0_sel:DWORD src1_sel:WORD_1
	global_store_dword v[0:1], v3, off
	s_branch .LBB15_88
.LBB15_36:
	s_and_b32 vcc_lo, exec_lo, s23
	s_cbranch_vccz .LBB15_157
; %bb.37:
	s_and_b32 s1, 0xffff, s1
	s_mov_b32 s23, -1
	s_cmp_lt_i32 s1, 5
	s_cbranch_scc1 .LBB15_58
; %bb.38:
	s_cmp_lt_i32 s1, 8
	s_cbranch_scc1 .LBB15_48
; %bb.39:
	;; [unrolled: 3-line block ×3, first 2 shown]
	s_cmp_gt_i32 s1, 9
	s_cbranch_scc0 .LBB15_42
; %bb.41:
	v_cvt_f64_f32_e32 v[3:4], v2
	v_mov_b32_e32 v5, 0
	s_mov_b32 s23, 0
	v_mov_b32_e32 v6, v5
	global_store_dwordx4 v[0:1], v[3:6], off
.LBB15_42:
	s_andn2_b32 vcc_lo, exec_lo, s23
	s_cbranch_vccnz .LBB15_44
; %bb.43:
	v_mov_b32_e32 v3, 0
	global_store_dwordx2 v[0:1], v[2:3], off
.LBB15_44:
	s_mov_b32 s23, 0
.LBB15_45:
	s_andn2_b32 vcc_lo, exec_lo, s23
	s_cbranch_vccnz .LBB15_47
; %bb.46:
	v_cvt_f16_f32_e32 v3, v2
	v_and_b32_e32 v3, 0xffff, v3
	global_store_dword v[0:1], v3, off
.LBB15_47:
	s_mov_b32 s23, 0
.LBB15_48:
	s_andn2_b32 vcc_lo, exec_lo, s23
	s_cbranch_vccnz .LBB15_57
; %bb.49:
	s_cmp_lt_i32 s1, 6
	s_mov_b32 s23, -1
	s_cbranch_scc1 .LBB15_55
; %bb.50:
	s_cmp_gt_i32 s1, 6
	s_cbranch_scc0 .LBB15_52
; %bb.51:
	v_cvt_f64_f32_e32 v[3:4], v2
	s_mov_b32 s23, 0
	global_store_dwordx2 v[0:1], v[3:4], off
.LBB15_52:
	s_andn2_b32 vcc_lo, exec_lo, s23
	s_cbranch_vccnz .LBB15_54
; %bb.53:
	global_store_dword v[0:1], v2, off
.LBB15_54:
	s_mov_b32 s23, 0
.LBB15_55:
	s_andn2_b32 vcc_lo, exec_lo, s23
	s_cbranch_vccnz .LBB15_57
; %bb.56:
	v_cvt_f16_f32_e32 v3, v2
	global_store_short v[0:1], v3, off
.LBB15_57:
	s_mov_b32 s23, 0
.LBB15_58:
	s_andn2_b32 vcc_lo, exec_lo, s23
	s_cbranch_vccnz .LBB15_74
; %bb.59:
	s_cmp_lt_i32 s1, 2
	s_mov_b32 s23, -1
	s_cbranch_scc1 .LBB15_69
; %bb.60:
	s_cmp_lt_i32 s1, 3
	s_cbranch_scc1 .LBB15_66
; %bb.61:
	s_cmp_gt_i32 s1, 3
	s_cbranch_scc0 .LBB15_63
; %bb.62:
	v_trunc_f32_e32 v3, v2
	s_mov_b32 s23, 0
	v_mul_f32_e64 v4, 0x2f800000, |v3|
	v_ashrrev_i32_e32 v6, 31, v3
	v_floor_f32_e32 v4, v4
	v_fma_f32 v5, 0xcf800000, v4, |v3|
	v_cvt_u32_f32_e32 v4, v4
	v_cvt_u32_f32_e32 v3, v5
	v_xor_b32_e32 v4, v4, v6
	v_xor_b32_e32 v3, v3, v6
	v_sub_co_u32 v3, vcc_lo, v3, v6
	v_sub_co_ci_u32_e64 v4, null, v4, v6, vcc_lo
	global_store_dwordx2 v[0:1], v[3:4], off
.LBB15_63:
	s_andn2_b32 vcc_lo, exec_lo, s23
	s_cbranch_vccnz .LBB15_65
; %bb.64:
	v_cvt_i32_f32_e32 v3, v2
	global_store_dword v[0:1], v3, off
.LBB15_65:
	s_mov_b32 s23, 0
.LBB15_66:
	s_andn2_b32 vcc_lo, exec_lo, s23
	s_cbranch_vccnz .LBB15_68
; %bb.67:
	v_cvt_i32_f32_e32 v3, v2
	global_store_short v[0:1], v3, off
.LBB15_68:
	s_mov_b32 s23, 0
.LBB15_69:
	s_andn2_b32 vcc_lo, exec_lo, s23
	s_cbranch_vccnz .LBB15_74
; %bb.70:
	s_cmp_gt_i32 s1, 0
	s_mov_b32 s1, -1
	s_cbranch_scc0 .LBB15_72
; %bb.71:
	v_cvt_i32_f32_e32 v3, v2
	s_mov_b32 s1, 0
	global_store_byte v[0:1], v3, off
.LBB15_72:
	s_andn2_b32 vcc_lo, exec_lo, s1
	s_cbranch_vccnz .LBB15_74
; %bb.73:
	v_trunc_f32_e32 v2, v2
	v_mul_f32_e64 v3, 0x2f800000, |v2|
	v_floor_f32_e32 v3, v3
	v_fma_f32 v3, 0xcf800000, v3, |v2|
	v_ashrrev_i32_e32 v2, 31, v2
	v_cvt_u32_f32_e32 v3, v3
	v_xor_b32_e32 v3, v3, v2
	v_sub_nc_u32_e32 v2, v3, v2
	global_store_byte v[0:1], v2, off
.LBB15_74:
	s_branch .LBB15_158
.LBB15_75:
	s_mov_b32 s22, 0
	s_mov_b32 s1, 0
                                        ; implicit-def: $vgpr3
	s_cbranch_execnz .LBB15_185
	s_branch .LBB15_219
.LBB15_76:
	s_mov_b32 s23, -1
	s_mov_b32 s22, 0
	s_mov_b32 s1, 0
                                        ; implicit-def: $vgpr3
	s_branch .LBB15_166
.LBB15_77:
	s_mov_b32 s37, -1
	s_branch .LBB15_115
.LBB15_78:
	s_mov_b32 s23, -1
	s_mov_b32 s22, 0
	s_mov_b32 s1, 0
                                        ; implicit-def: $vgpr3
	s_branch .LBB15_161
.LBB15_79:
	s_mov_b32 s37, -1
	s_branch .LBB15_98
.LBB15_80:
	s_mov_b32 s23, -1
	s_mov_b32 s22, 0
	s_branch .LBB15_83
.LBB15_81:
	s_mov_b32 s37, -1
	s_branch .LBB15_94
.LBB15_82:
	s_mov_b32 s22, -1
.LBB15_83:
	s_mov_b32 s1, 0
                                        ; implicit-def: $vgpr3
.LBB15_84:
	s_and_b32 vcc_lo, exec_lo, s23
	s_cbranch_vccz .LBB15_160
; %bb.85:
	s_cmp_eq_u32 s0, 44
	s_cbranch_scc0 .LBB15_159
; %bb.86:
	global_load_ubyte v3, v[1:2], off
	s_mov_b32 s22, 0
	s_mov_b32 s1, -1
	s_waitcnt vmcnt(0)
	v_lshlrev_b32_e32 v4, 23, v3
	v_cmp_ne_u32_e32 vcc_lo, 0xff, v3
	v_cndmask_b32_e32 v4, 0x7f800001, v4, vcc_lo
	v_cmp_ne_u32_e32 vcc_lo, 0, v3
	v_cndmask_b32_e32 v3, 0x400000, v4, vcc_lo
	s_branch .LBB15_160
.LBB15_87:
	s_mov_b32 s37, -1
.LBB15_88:
	s_and_b32 vcc_lo, exec_lo, s37
	s_cbranch_vccz .LBB15_93
; %bb.89:
	s_cmp_eq_u32 s23, 44
	s_mov_b32 s0, -1
	s_cbranch_scc0 .LBB15_93
; %bb.90:
	v_bfe_u32 v4, v2, 23, 8
	v_mov_b32_e32 v3, 0xff
	s_mov_b32 s36, exec_lo
	v_cmpx_ne_u32_e32 0xff, v4
	s_cbranch_execz .LBB15_92
; %bb.91:
	v_and_b32_e32 v3, 0x400000, v2
	v_and_or_b32 v4, 0x3fffff, v2, v4
	v_cmp_ne_u32_e32 vcc_lo, 0, v3
	v_cmp_ne_u32_e64 s0, 0, v4
	v_lshrrev_b32_e32 v3, 23, v2
	s_and_b32 s0, vcc_lo, s0
	v_cndmask_b32_e64 v4, 0, 1, s0
	v_add_nc_u32_e32 v3, v3, v4
.LBB15_92:
	s_or_b32 exec_lo, exec_lo, s36
	s_mov_b32 s36, -1
	s_mov_b32 s0, 0
	global_store_byte v[0:1], v3, off
.LBB15_93:
	s_mov_b32 s37, 0
.LBB15_94:
	s_and_b32 vcc_lo, exec_lo, s37
	s_cbranch_vccz .LBB15_97
; %bb.95:
	s_cmp_eq_u32 s23, 29
	s_mov_b32 s0, -1
	s_cbranch_scc0 .LBB15_97
; %bb.96:
	v_trunc_f32_e32 v3, v2
	s_mov_b32 s36, -1
	s_mov_b32 s0, 0
	s_mov_b32 s37, 0
	v_mul_f32_e32 v4, 0x2f800000, v3
	v_floor_f32_e32 v4, v4
	v_fmamk_f32 v3, v4, 0xcf800000, v3
	v_cvt_u32_f32_e32 v4, v4
	v_cvt_u32_f32_e32 v3, v3
	global_store_dwordx2 v[0:1], v[3:4], off
	s_branch .LBB15_98
.LBB15_97:
	s_mov_b32 s37, 0
.LBB15_98:
	s_and_b32 vcc_lo, exec_lo, s37
	s_cbranch_vccz .LBB15_114
; %bb.99:
	s_cmp_lt_i32 s23, 27
	s_mov_b32 s36, -1
	s_cbranch_scc1 .LBB15_105
; %bb.100:
	v_cvt_u32_f32_e32 v3, v2
	s_cmp_gt_i32 s23, 27
	s_cbranch_scc0 .LBB15_102
; %bb.101:
	s_mov_b32 s36, 0
	global_store_dword v[0:1], v3, off
.LBB15_102:
	s_andn2_b32 vcc_lo, exec_lo, s36
	s_cbranch_vccnz .LBB15_104
; %bb.103:
	global_store_short v[0:1], v3, off
.LBB15_104:
	s_mov_b32 s36, 0
.LBB15_105:
	s_andn2_b32 vcc_lo, exec_lo, s36
	s_cbranch_vccnz .LBB15_113
; %bb.106:
	v_and_b32_e32 v3, 0x7fffffff, v2
	v_mov_b32_e32 v4, 0x80
	s_mov_b32 s36, exec_lo
	v_cmpx_gt_u32_e32 0x43800000, v3
	s_cbranch_execz .LBB15_112
; %bb.107:
	v_cmp_lt_u32_e32 vcc_lo, 0x3bffffff, v3
	s_mov_b32 s37, 0
                                        ; implicit-def: $vgpr3
	s_and_saveexec_b32 s40, vcc_lo
	s_xor_b32 s40, exec_lo, s40
	s_cbranch_execz .LBB15_354
; %bb.108:
	v_bfe_u32 v3, v2, 20, 1
	s_mov_b32 s37, exec_lo
	v_add3_u32 v3, v2, v3, 0x487ffff
	v_lshrrev_b32_e32 v3, 20, v3
	s_andn2_saveexec_b32 s40, s40
	s_cbranch_execnz .LBB15_355
.LBB15_109:
	s_or_b32 exec_lo, exec_lo, s40
	v_mov_b32_e32 v4, 0
	s_and_saveexec_b32 s40, s37
.LBB15_110:
	v_lshrrev_b32_e32 v4, 24, v2
	v_and_or_b32 v4, 0x80, v4, v3
.LBB15_111:
	s_or_b32 exec_lo, exec_lo, s40
.LBB15_112:
	s_or_b32 exec_lo, exec_lo, s36
	global_store_byte v[0:1], v4, off
.LBB15_113:
	s_mov_b32 s36, -1
.LBB15_114:
	s_mov_b32 s37, 0
.LBB15_115:
	s_and_b32 vcc_lo, exec_lo, s37
	s_cbranch_vccz .LBB15_156
; %bb.116:
	s_cmp_gt_i32 s23, 22
	s_mov_b32 s37, -1
	s_cbranch_scc0 .LBB15_148
; %bb.117:
	s_cmp_lt_i32 s23, 24
	s_mov_b32 s36, -1
	s_cbranch_scc1 .LBB15_137
; %bb.118:
	s_cmp_gt_i32 s23, 24
	s_cbranch_scc0 .LBB15_126
; %bb.119:
	v_and_b32_e32 v3, 0x7fffffff, v2
	v_mov_b32_e32 v4, 0x80
	s_mov_b32 s36, exec_lo
	v_cmpx_gt_u32_e32 0x47800000, v3
	s_cbranch_execz .LBB15_125
; %bb.120:
	v_cmp_lt_u32_e32 vcc_lo, 0x37ffffff, v3
	s_mov_b32 s37, 0
                                        ; implicit-def: $vgpr3
	s_and_saveexec_b32 s40, vcc_lo
	s_xor_b32 s40, exec_lo, s40
	s_cbranch_execz .LBB15_358
; %bb.121:
	v_bfe_u32 v3, v2, 21, 1
	s_mov_b32 s37, exec_lo
	v_add3_u32 v3, v2, v3, 0x88fffff
	v_lshrrev_b32_e32 v3, 21, v3
	s_andn2_saveexec_b32 s40, s40
	s_cbranch_execnz .LBB15_359
.LBB15_122:
	s_or_b32 exec_lo, exec_lo, s40
	v_mov_b32_e32 v4, 0
	s_and_saveexec_b32 s40, s37
.LBB15_123:
	v_lshrrev_b32_e32 v4, 24, v2
	v_and_or_b32 v4, 0x80, v4, v3
.LBB15_124:
	s_or_b32 exec_lo, exec_lo, s40
.LBB15_125:
	s_or_b32 exec_lo, exec_lo, s36
	s_mov_b32 s36, 0
	global_store_byte v[0:1], v4, off
.LBB15_126:
	s_and_b32 vcc_lo, exec_lo, s36
	s_cbranch_vccz .LBB15_136
; %bb.127:
	v_and_b32_e32 v4, 0x7fffffff, v2
	s_mov_b32 s36, exec_lo
                                        ; implicit-def: $vgpr3
	v_cmpx_gt_u32_e32 0x43f00000, v4
	s_xor_b32 s36, exec_lo, s36
	s_cbranch_execz .LBB15_133
; %bb.128:
	s_mov_b32 s37, exec_lo
                                        ; implicit-def: $vgpr3
	v_cmpx_lt_u32_e32 0x3c7fffff, v4
	s_xor_b32 s37, exec_lo, s37
; %bb.129:
	v_bfe_u32 v3, v2, 20, 1
	v_add3_u32 v3, v2, v3, 0x407ffff
	v_and_b32_e32 v4, 0xff00000, v3
	v_lshrrev_b32_e32 v3, 20, v3
	v_cmp_ne_u32_e32 vcc_lo, 0x7f00000, v4
	v_cndmask_b32_e32 v3, 0x7e, v3, vcc_lo
; %bb.130:
	s_andn2_saveexec_b32 s37, s37
; %bb.131:
	v_add_f32_e64 v3, 0x46800000, |v2|
; %bb.132:
	s_or_b32 exec_lo, exec_lo, s37
                                        ; implicit-def: $vgpr4
.LBB15_133:
	s_andn2_saveexec_b32 s36, s36
; %bb.134:
	v_mov_b32_e32 v3, 0x7f
	v_cmp_lt_u32_e32 vcc_lo, 0x7f800000, v4
	v_cndmask_b32_e32 v3, 0x7e, v3, vcc_lo
; %bb.135:
	s_or_b32 exec_lo, exec_lo, s36
	v_lshrrev_b32_e32 v4, 24, v2
	v_and_or_b32 v3, 0x80, v4, v3
	global_store_byte v[0:1], v3, off
.LBB15_136:
	s_mov_b32 s36, 0
.LBB15_137:
	s_andn2_b32 vcc_lo, exec_lo, s36
	s_cbranch_vccnz .LBB15_147
; %bb.138:
	v_and_b32_e32 v4, 0x7fffffff, v2
	s_mov_b32 s36, exec_lo
                                        ; implicit-def: $vgpr3
	v_cmpx_gt_u32_e32 0x47800000, v4
	s_xor_b32 s36, exec_lo, s36
	s_cbranch_execz .LBB15_144
; %bb.139:
	s_mov_b32 s37, exec_lo
                                        ; implicit-def: $vgpr3
	v_cmpx_lt_u32_e32 0x387fffff, v4
	s_xor_b32 s37, exec_lo, s37
; %bb.140:
	v_bfe_u32 v3, v2, 21, 1
	v_add3_u32 v3, v2, v3, 0x80fffff
	v_lshrrev_b32_e32 v3, 21, v3
; %bb.141:
	s_andn2_saveexec_b32 s37, s37
; %bb.142:
	v_add_f32_e64 v3, 0x43000000, |v2|
; %bb.143:
	s_or_b32 exec_lo, exec_lo, s37
                                        ; implicit-def: $vgpr4
.LBB15_144:
	s_andn2_saveexec_b32 s36, s36
; %bb.145:
	v_mov_b32_e32 v3, 0x7f
	v_cmp_lt_u32_e32 vcc_lo, 0x7f800000, v4
	v_cndmask_b32_e32 v3, 0x7c, v3, vcc_lo
; %bb.146:
	s_or_b32 exec_lo, exec_lo, s36
	v_lshrrev_b32_e32 v4, 24, v2
	v_and_or_b32 v3, 0x80, v4, v3
	global_store_byte v[0:1], v3, off
.LBB15_147:
	s_mov_b32 s37, 0
	s_mov_b32 s36, -1
.LBB15_148:
	s_andn2_b32 vcc_lo, exec_lo, s37
	s_cbranch_vccnz .LBB15_156
; %bb.149:
	s_cmp_gt_i32 s23, 14
	s_mov_b32 s37, -1
	s_cbranch_scc0 .LBB15_153
; %bb.150:
	s_cmp_eq_u32 s23, 15
	s_mov_b32 s0, -1
	s_cbranch_scc0 .LBB15_152
; %bb.151:
	v_bfe_u32 v3, v2, 16, 1
	v_cmp_o_f32_e32 vcc_lo, v2, v2
	v_mov_b32_e32 v4, 0x7fc0
	s_mov_b32 s36, -1
	s_mov_b32 s0, 0
	v_add3_u32 v3, v2, v3, 0x7fff
	v_cndmask_b32_sdwa v3, v4, v3, vcc_lo dst_sel:DWORD dst_unused:UNUSED_PAD src0_sel:DWORD src1_sel:WORD_1
	global_store_short v[0:1], v3, off
.LBB15_152:
	s_mov_b32 s37, 0
.LBB15_153:
	s_and_b32 vcc_lo, exec_lo, s37
	s_cbranch_vccz .LBB15_156
; %bb.154:
	s_cmp_eq_u32 s23, 11
	s_mov_b32 s0, -1
	s_cbranch_scc0 .LBB15_156
; %bb.155:
	v_cmp_neq_f32_e32 vcc_lo, 0, v2
	s_mov_b32 s0, 0
	s_mov_b32 s36, -1
	v_cndmask_b32_e64 v3, 0, 1, vcc_lo
	global_store_byte v[0:1], v3, off
.LBB15_156:
.LBB15_157:
	s_andn2_b32 vcc_lo, exec_lo, s36
	s_cbranch_vccnz .LBB15_268
.LBB15_158:
	v_add_nc_u32_e32 v8, 0x80, v8
	s_mov_b32 s1, -1
	s_branch .LBB15_269
.LBB15_159:
	s_mov_b32 s22, -1
                                        ; implicit-def: $vgpr3
.LBB15_160:
	s_mov_b32 s23, 0
.LBB15_161:
	s_and_b32 vcc_lo, exec_lo, s23
	s_cbranch_vccz .LBB15_165
; %bb.162:
	s_cmp_eq_u32 s0, 29
	s_cbranch_scc0 .LBB15_164
; %bb.163:
	global_load_dwordx2 v[3:4], v[1:2], off
	s_mov_b32 s1, -1
	s_mov_b32 s22, 0
	s_mov_b32 s23, 0
	s_waitcnt vmcnt(0)
	v_ffbh_u32_e32 v5, v4
	v_min_u32_e32 v5, 32, v5
	v_lshlrev_b64 v[3:4], v5, v[3:4]
	v_min_u32_e32 v3, 1, v3
	v_or_b32_e32 v3, v4, v3
	v_sub_nc_u32_e32 v4, 32, v5
	v_cvt_f32_u32_e32 v3, v3
	v_ldexp_f32 v3, v3, v4
	s_branch .LBB15_166
.LBB15_164:
	s_mov_b32 s22, -1
                                        ; implicit-def: $vgpr3
.LBB15_165:
	s_mov_b32 s23, 0
.LBB15_166:
	s_and_b32 vcc_lo, exec_lo, s23
	s_cbranch_vccz .LBB15_184
; %bb.167:
	s_cmp_lt_i32 s0, 27
	s_cbranch_scc1 .LBB15_170
; %bb.168:
	s_cmp_gt_i32 s0, 27
	s_cbranch_scc0 .LBB15_171
; %bb.169:
	global_load_dword v3, v[1:2], off
	s_mov_b32 s1, 0
	s_waitcnt vmcnt(0)
	v_cvt_f32_u32_e32 v3, v3
	s_branch .LBB15_172
.LBB15_170:
	s_mov_b32 s1, -1
                                        ; implicit-def: $vgpr3
	s_branch .LBB15_175
.LBB15_171:
	s_mov_b32 s1, -1
                                        ; implicit-def: $vgpr3
.LBB15_172:
	s_andn2_b32 vcc_lo, exec_lo, s1
	s_cbranch_vccnz .LBB15_174
; %bb.173:
	global_load_ushort v3, v[1:2], off
	s_waitcnt vmcnt(0)
	v_cvt_f32_u32_e32 v3, v3
.LBB15_174:
	s_mov_b32 s1, 0
.LBB15_175:
	s_andn2_b32 vcc_lo, exec_lo, s1
	s_cbranch_vccnz .LBB15_183
; %bb.176:
	global_load_ubyte v4, v[1:2], off
	s_mov_b32 s1, 0
	s_mov_b32 s23, exec_lo
	s_waitcnt vmcnt(0)
	v_cmpx_lt_i16_e32 0x7f, v4
	s_xor_b32 s23, exec_lo, s23
	s_cbranch_execz .LBB15_196
; %bb.177:
	s_mov_b32 s1, -1
	s_mov_b32 s36, exec_lo
	v_cmpx_eq_u16_e32 0x80, v4
; %bb.178:
	s_xor_b32 s1, exec_lo, -1
; %bb.179:
	s_or_b32 exec_lo, exec_lo, s36
	s_and_b32 s1, s1, exec_lo
	s_or_saveexec_b32 s23, s23
	v_mov_b32_e32 v3, 0x7f800001
	s_xor_b32 exec_lo, exec_lo, s23
	s_cbranch_execnz .LBB15_197
.LBB15_180:
	s_or_b32 exec_lo, exec_lo, s23
	s_and_saveexec_b32 s23, s1
	s_cbranch_execz .LBB15_182
.LBB15_181:
	v_and_b32_e32 v3, 0xffff, v4
	v_lshlrev_b32_e32 v4, 24, v4
	v_and_b32_e32 v5, 7, v3
	v_bfe_u32 v9, v3, 3, 4
	v_and_b32_e32 v4, 0x80000000, v4
	v_ffbh_u32_e32 v6, v5
	v_cmp_eq_u32_e32 vcc_lo, 0, v9
	v_min_u32_e32 v6, 32, v6
	v_subrev_nc_u32_e32 v7, 28, v6
	v_sub_nc_u32_e32 v6, 29, v6
	v_lshlrev_b32_e32 v3, v7, v3
	v_cndmask_b32_e32 v6, v9, v6, vcc_lo
	v_and_b32_e32 v3, 7, v3
	v_cndmask_b32_e32 v3, v5, v3, vcc_lo
	v_lshl_add_u32 v5, v6, 23, 0x3b800000
	v_lshlrev_b32_e32 v3, 20, v3
	v_or3_b32 v3, v4, v5, v3
.LBB15_182:
	s_or_b32 exec_lo, exec_lo, s23
.LBB15_183:
	s_mov_b32 s1, -1
.LBB15_184:
	s_branch .LBB15_219
.LBB15_185:
	s_cmp_gt_i32 s0, 22
	s_cbranch_scc0 .LBB15_195
; %bb.186:
	s_cmp_lt_i32 s0, 24
	s_cbranch_scc1 .LBB15_198
; %bb.187:
	s_cmp_gt_i32 s0, 24
	s_cbranch_scc0 .LBB15_199
; %bb.188:
	global_load_ubyte v4, v[1:2], off
	s_mov_b32 s1, 0
	s_mov_b32 s23, exec_lo
	s_waitcnt vmcnt(0)
	v_cmpx_lt_i16_e32 0x7f, v4
	s_xor_b32 s23, exec_lo, s23
	s_cbranch_execz .LBB15_211
; %bb.189:
	s_mov_b32 s1, -1
	s_mov_b32 s36, exec_lo
	v_cmpx_eq_u16_e32 0x80, v4
; %bb.190:
	s_xor_b32 s1, exec_lo, -1
; %bb.191:
	s_or_b32 exec_lo, exec_lo, s36
	s_and_b32 s1, s1, exec_lo
	s_or_saveexec_b32 s23, s23
	v_mov_b32_e32 v3, 0x7f800001
	s_xor_b32 exec_lo, exec_lo, s23
	s_cbranch_execnz .LBB15_212
.LBB15_192:
	s_or_b32 exec_lo, exec_lo, s23
	s_and_saveexec_b32 s23, s1
	s_cbranch_execz .LBB15_194
.LBB15_193:
	v_and_b32_e32 v3, 0xffff, v4
	v_lshlrev_b32_e32 v4, 24, v4
	v_and_b32_e32 v5, 3, v3
	v_bfe_u32 v9, v3, 2, 5
	v_and_b32_e32 v4, 0x80000000, v4
	v_ffbh_u32_e32 v6, v5
	v_cmp_eq_u32_e32 vcc_lo, 0, v9
	v_min_u32_e32 v6, 32, v6
	v_subrev_nc_u32_e32 v7, 29, v6
	v_sub_nc_u32_e32 v6, 30, v6
	v_lshlrev_b32_e32 v3, v7, v3
	v_cndmask_b32_e32 v6, v9, v6, vcc_lo
	v_and_b32_e32 v3, 3, v3
	v_cndmask_b32_e32 v3, v5, v3, vcc_lo
	v_lshl_add_u32 v5, v6, 23, 0x37800000
	v_lshlrev_b32_e32 v3, 21, v3
	v_or3_b32 v3, v4, v5, v3
.LBB15_194:
	s_or_b32 exec_lo, exec_lo, s23
	s_mov_b32 s1, 0
	s_branch .LBB15_200
.LBB15_195:
	s_mov_b32 s23, -1
                                        ; implicit-def: $vgpr3
	s_branch .LBB15_206
.LBB15_196:
	s_or_saveexec_b32 s23, s23
	v_mov_b32_e32 v3, 0x7f800001
	s_xor_b32 exec_lo, exec_lo, s23
	s_cbranch_execz .LBB15_180
.LBB15_197:
	v_cmp_ne_u16_e32 vcc_lo, 0, v4
	v_mov_b32_e32 v3, 0
	s_andn2_b32 s1, s1, exec_lo
	s_and_b32 s36, vcc_lo, exec_lo
	s_or_b32 s1, s1, s36
	s_or_b32 exec_lo, exec_lo, s23
	s_and_saveexec_b32 s23, s1
	s_cbranch_execnz .LBB15_181
	s_branch .LBB15_182
.LBB15_198:
	s_mov_b32 s1, -1
                                        ; implicit-def: $vgpr3
	s_branch .LBB15_203
.LBB15_199:
	s_mov_b32 s1, -1
                                        ; implicit-def: $vgpr3
.LBB15_200:
	s_and_b32 vcc_lo, exec_lo, s1
	s_cbranch_vccz .LBB15_202
; %bb.201:
	global_load_ubyte v3, v[1:2], off
	s_waitcnt vmcnt(0)
	v_lshlrev_b32_e32 v3, 24, v3
	v_and_b32_e32 v4, 0x7f000000, v3
	v_ffbh_u32_e32 v5, v4
	v_add_nc_u32_e32 v7, 0x1000000, v4
	v_cmp_ne_u32_e32 vcc_lo, 0, v4
	v_min_u32_e32 v5, 32, v5
	v_sub_nc_u32_e64 v5, v5, 4 clamp
	v_lshlrev_b32_e32 v6, v5, v4
	v_lshlrev_b32_e32 v5, 23, v5
	v_lshrrev_b32_e32 v6, 4, v6
	v_sub_nc_u32_e32 v5, v6, v5
	v_ashrrev_i32_e32 v6, 8, v7
	v_add_nc_u32_e32 v5, 0x3c000000, v5
	v_and_or_b32 v5, 0x7f800000, v6, v5
	v_cndmask_b32_e32 v4, 0, v5, vcc_lo
	v_and_or_b32 v3, 0x80000000, v3, v4
.LBB15_202:
	s_mov_b32 s1, 0
.LBB15_203:
	s_andn2_b32 vcc_lo, exec_lo, s1
	s_cbranch_vccnz .LBB15_205
; %bb.204:
	global_load_ubyte v3, v[1:2], off
	s_waitcnt vmcnt(0)
	v_lshlrev_b32_e32 v4, 25, v3
	v_lshlrev_b16 v3, 8, v3
	v_lshrrev_b32_e32 v5, 4, v4
	v_and_or_b32 v6, 0x7f00, v3, 0.5
	v_cmp_gt_u32_e32 vcc_lo, 0x8000000, v4
	v_bfe_i32 v3, v3, 0, 16
	v_or_b32_e32 v5, 0x70000000, v5
	v_add_f32_e32 v6, -0.5, v6
	v_mul_f32_e32 v5, 0x7800000, v5
	v_cndmask_b32_e32 v4, v5, v6, vcc_lo
	v_and_or_b32 v3, 0x80000000, v3, v4
.LBB15_205:
	s_mov_b32 s23, 0
	s_mov_b32 s1, -1
.LBB15_206:
	s_andn2_b32 vcc_lo, exec_lo, s23
	s_cbranch_vccnz .LBB15_219
; %bb.207:
	s_cmp_gt_i32 s0, 14
	s_cbranch_scc0 .LBB15_210
; %bb.208:
	s_cmp_eq_u32 s0, 15
	s_cbranch_scc0 .LBB15_213
; %bb.209:
	global_load_ushort v3, v[1:2], off
	s_mov_b32 s1, -1
	s_mov_b32 s22, 0
	s_waitcnt vmcnt(0)
	v_lshlrev_b32_e32 v3, 16, v3
	s_branch .LBB15_214
.LBB15_210:
	s_mov_b32 s23, -1
                                        ; implicit-def: $vgpr3
	s_branch .LBB15_215
.LBB15_211:
	s_or_saveexec_b32 s23, s23
	v_mov_b32_e32 v3, 0x7f800001
	s_xor_b32 exec_lo, exec_lo, s23
	s_cbranch_execz .LBB15_192
.LBB15_212:
	v_cmp_ne_u16_e32 vcc_lo, 0, v4
	v_mov_b32_e32 v3, 0
	s_andn2_b32 s1, s1, exec_lo
	s_and_b32 s36, vcc_lo, exec_lo
	s_or_b32 s1, s1, s36
	s_or_b32 exec_lo, exec_lo, s23
	s_and_saveexec_b32 s23, s1
	s_cbranch_execnz .LBB15_193
	s_branch .LBB15_194
.LBB15_213:
	s_mov_b32 s22, -1
                                        ; implicit-def: $vgpr3
.LBB15_214:
	s_mov_b32 s23, 0
.LBB15_215:
	s_and_b32 vcc_lo, exec_lo, s23
	s_cbranch_vccz .LBB15_219
; %bb.216:
	s_cmp_eq_u32 s0, 11
	s_cbranch_scc0 .LBB15_218
; %bb.217:
	global_load_ubyte v3, v[1:2], off
	s_mov_b32 s22, 0
	s_mov_b32 s1, -1
	s_waitcnt vmcnt(0)
	v_cmp_ne_u16_e32 vcc_lo, 0, v3
	v_cndmask_b32_e64 v3, 0, 1.0, vcc_lo
	s_branch .LBB15_219
.LBB15_218:
	s_mov_b32 s22, -1
                                        ; implicit-def: $vgpr3
.LBB15_219:
	s_branch .LBB15_24
.LBB15_220:
	s_cmp_lt_i32 s0, 5
	s_cbranch_scc1 .LBB15_225
; %bb.221:
	s_cmp_lt_i32 s0, 8
	s_cbranch_scc1 .LBB15_226
; %bb.222:
	;; [unrolled: 3-line block ×3, first 2 shown]
	s_cmp_gt_i32 s0, 9
	s_cbranch_scc0 .LBB15_228
; %bb.224:
	global_load_dwordx2 v[3:4], v[1:2], off
	s_mov_b32 s1, 0
	s_waitcnt vmcnt(0)
	v_cvt_f32_f64_e32 v3, v[3:4]
	s_branch .LBB15_229
.LBB15_225:
                                        ; implicit-def: $vgpr3
	s_branch .LBB15_247
.LBB15_226:
	s_mov_b32 s1, -1
                                        ; implicit-def: $vgpr3
	s_branch .LBB15_235
.LBB15_227:
	s_mov_b32 s1, -1
                                        ; implicit-def: $vgpr3
	s_branch .LBB15_232
.LBB15_228:
	s_mov_b32 s1, -1
                                        ; implicit-def: $vgpr3
.LBB15_229:
	s_andn2_b32 vcc_lo, exec_lo, s1
	s_cbranch_vccnz .LBB15_231
; %bb.230:
	global_load_dword v3, v[1:2], off
.LBB15_231:
	s_mov_b32 s1, 0
.LBB15_232:
	s_andn2_b32 vcc_lo, exec_lo, s1
	s_cbranch_vccnz .LBB15_234
; %bb.233:
	global_load_dword v3, v[1:2], off
	s_waitcnt vmcnt(0)
	v_cvt_f32_f16_e32 v3, v3
.LBB15_234:
	s_mov_b32 s1, 0
.LBB15_235:
	s_andn2_b32 vcc_lo, exec_lo, s1
	s_cbranch_vccnz .LBB15_246
; %bb.236:
	s_cmp_lt_i32 s0, 6
	s_cbranch_scc1 .LBB15_239
; %bb.237:
	s_cmp_gt_i32 s0, 6
	s_cbranch_scc0 .LBB15_240
; %bb.238:
	global_load_dwordx2 v[3:4], v[1:2], off
	s_mov_b32 s1, 0
	s_waitcnt vmcnt(0)
	v_cvt_f32_f64_e32 v3, v[3:4]
	s_branch .LBB15_241
.LBB15_239:
	s_mov_b32 s1, -1
                                        ; implicit-def: $vgpr3
	s_branch .LBB15_244
.LBB15_240:
	s_mov_b32 s1, -1
                                        ; implicit-def: $vgpr3
.LBB15_241:
	s_andn2_b32 vcc_lo, exec_lo, s1
	s_cbranch_vccnz .LBB15_243
; %bb.242:
	global_load_dword v3, v[1:2], off
.LBB15_243:
	s_mov_b32 s1, 0
.LBB15_244:
	s_andn2_b32 vcc_lo, exec_lo, s1
	s_cbranch_vccnz .LBB15_246
; %bb.245:
	global_load_ushort v3, v[1:2], off
	s_waitcnt vmcnt(0)
	v_cvt_f32_f16_e32 v3, v3
.LBB15_246:
	s_cbranch_execnz .LBB15_266
.LBB15_247:
	s_cmp_lt_i32 s0, 2
	s_cbranch_scc1 .LBB15_251
; %bb.248:
	s_cmp_lt_i32 s0, 3
	s_cbranch_scc1 .LBB15_252
; %bb.249:
	s_cmp_gt_i32 s0, 3
	s_cbranch_scc0 .LBB15_253
; %bb.250:
	global_load_dwordx2 v[3:4], v[1:2], off
	s_mov_b32 s1, 0
	s_waitcnt vmcnt(0)
	v_xor_b32_e32 v5, v3, v4
	v_ffbh_i32_e32 v6, v4
	v_ashrrev_i32_e32 v5, 31, v5
	v_add_nc_u32_e32 v6, -1, v6
	v_add_nc_u32_e32 v5, 32, v5
	v_min_u32_e32 v5, v6, v5
	v_lshlrev_b64 v[3:4], v5, v[3:4]
	v_min_u32_e32 v3, 1, v3
	v_or_b32_e32 v3, v4, v3
	v_sub_nc_u32_e32 v4, 32, v5
	v_cvt_f32_i32_e32 v3, v3
	v_ldexp_f32 v3, v3, v4
	s_branch .LBB15_254
.LBB15_251:
	s_mov_b32 s1, -1
                                        ; implicit-def: $vgpr3
	s_branch .LBB15_260
.LBB15_252:
	s_mov_b32 s1, -1
                                        ; implicit-def: $vgpr3
	s_branch .LBB15_257
.LBB15_253:
	s_mov_b32 s1, -1
                                        ; implicit-def: $vgpr3
.LBB15_254:
	s_andn2_b32 vcc_lo, exec_lo, s1
	s_cbranch_vccnz .LBB15_256
; %bb.255:
	global_load_dword v3, v[1:2], off
	s_waitcnt vmcnt(0)
	v_cvt_f32_i32_e32 v3, v3
.LBB15_256:
	s_mov_b32 s1, 0
.LBB15_257:
	s_andn2_b32 vcc_lo, exec_lo, s1
	s_cbranch_vccnz .LBB15_259
; %bb.258:
	global_load_sshort v3, v[1:2], off
	s_waitcnt vmcnt(0)
	v_cvt_f32_i32_e32 v3, v3
.LBB15_259:
	s_mov_b32 s1, 0
.LBB15_260:
	s_andn2_b32 vcc_lo, exec_lo, s1
	s_cbranch_vccnz .LBB15_266
; %bb.261:
	s_cmp_gt_i32 s0, 0
	s_mov_b32 s0, 0
	s_cbranch_scc0 .LBB15_263
; %bb.262:
	global_load_sbyte v3, v[1:2], off
	s_waitcnt vmcnt(0)
	v_cvt_f32_i32_e32 v3, v3
	s_branch .LBB15_264
.LBB15_263:
	s_mov_b32 s0, -1
                                        ; implicit-def: $vgpr3
.LBB15_264:
	s_andn2_b32 vcc_lo, exec_lo, s0
	s_cbranch_vccnz .LBB15_266
; %bb.265:
	global_load_ubyte v1, v[1:2], off
	s_waitcnt vmcnt(0)
	v_cvt_f32_ubyte0_e32 v3, v1
.LBB15_266:
	s_branch .LBB15_25
.LBB15_267:
	s_mov_b32 s0, 0
.LBB15_268:
	s_mov_b32 s1, 0
                                        ; implicit-def: $vgpr8
.LBB15_269:
	s_and_b32 s36, s0, exec_lo
	s_and_b32 s37, s22, exec_lo
	s_orn2_b32 s1, s1, exec_lo
.LBB15_270:
	s_or_b32 exec_lo, exec_lo, s38
	s_mov_b32 s22, 0
	s_mov_b32 s0, 0
                                        ; implicit-def: $vgpr1_vgpr2
                                        ; implicit-def: $vgpr0
                                        ; implicit-def: $vgpr4
	s_and_saveexec_b32 s38, s1
	s_cbranch_execz .LBB15_277
; %bb.271:
	s_mov_b32 s0, -1
	s_mov_b32 s39, s37
	s_mov_b32 s40, s36
	s_mov_b32 s41, exec_lo
	v_cmpx_gt_i32_e64 s33, v8
	s_cbranch_execz .LBB15_550
; %bb.272:
	s_andn2_b32 vcc_lo, exec_lo, s27
	s_cbranch_vccnz .LBB15_280
; %bb.273:
	s_andn2_b32 vcc_lo, exec_lo, s34
	s_cbranch_vccnz .LBB15_281
; %bb.274:
	s_add_i32 s40, s35, 1
	s_cmp_eq_u32 s25, 2
	s_cbranch_scc1 .LBB15_282
; %bb.275:
	v_mov_b32_e32 v2, 0
	v_mov_b32_e32 v0, 0
	;; [unrolled: 1-line block ×3, first 2 shown]
	s_and_b32 s39, s40, 28
	s_mov_b32 s42, 0
	s_mov_b64 s[0:1], s[2:3]
	s_mov_b64 s[22:23], s[20:21]
.LBB15_276:                             ; =>This Inner Loop Header: Depth=1
	s_clause 0x1
	s_load_dwordx8 s[44:51], s[0:1], 0x4
	s_load_dwordx4 s[60:63], s[0:1], 0x24
	s_load_dwordx8 s[52:59], s[22:23], 0x0
	s_add_u32 s0, s0, 48
	s_addc_u32 s1, s1, 0
	s_add_i32 s42, s42, 4
	s_add_u32 s22, s22, 32
	s_addc_u32 s23, s23, 0
	s_cmp_eq_u32 s39, s42
	s_waitcnt vmcnt(0) lgkmcnt(0)
	v_mul_hi_u32 v3, s45, v1
	v_add_nc_u32_e32 v3, v1, v3
	v_lshrrev_b32_e32 v3, s46, v3
	v_mul_hi_u32 v4, s48, v3
	v_mul_lo_u32 v6, v3, s44
	v_add_nc_u32_e32 v4, v3, v4
	v_sub_nc_u32_e32 v1, v1, v6
	v_lshrrev_b32_e32 v4, s49, v4
	v_mul_lo_u32 v6, v1, s52
	v_mul_lo_u32 v9, v1, s53
	v_mul_hi_u32 v5, s51, v4
	v_add_nc_u32_e32 v5, v4, v5
	v_lshrrev_b32_e32 v5, s60, v5
	v_mul_hi_u32 v7, s62, v5
	v_mul_lo_u32 v10, v5, s50
	v_add_nc_u32_e32 v1, v5, v7
	v_mul_lo_u32 v7, v4, s47
	v_sub_nc_u32_e32 v4, v4, v10
	v_lshrrev_b32_e32 v1, s63, v1
	v_mul_lo_u32 v10, v4, s56
	v_mul_lo_u32 v4, v4, s57
	v_sub_nc_u32_e32 v3, v3, v7
	v_mul_lo_u32 v11, v1, s61
	v_mul_lo_u32 v7, v3, s54
	;; [unrolled: 1-line block ×3, first 2 shown]
	v_sub_nc_u32_e32 v5, v5, v11
	v_add3_u32 v0, v6, v0, v7
	v_mul_lo_u32 v11, v5, s58
	v_mul_lo_u32 v5, v5, s59
	v_add3_u32 v2, v9, v2, v3
	v_add3_u32 v0, v10, v0, v11
	;; [unrolled: 1-line block ×3, first 2 shown]
	s_cbranch_scc0 .LBB15_276
	s_branch .LBB15_283
.LBB15_277:
	s_or_b32 exec_lo, exec_lo, s38
	s_waitcnt lgkmcnt(0)
	s_mov_b32 s6, 0
	s_and_saveexec_b32 s1, s37
	s_cbranch_execnz .LBB15_931
.LBB15_278:
	s_or_b32 exec_lo, exec_lo, s1
	s_and_saveexec_b32 s1, s39
	s_xor_b32 s1, exec_lo, s1
	s_cbranch_execz .LBB15_932
.LBB15_279:
	global_load_ubyte v3, v[1:2], off
	s_or_b32 s0, s0, exec_lo
	s_waitcnt vmcnt(0)
	v_cmp_ne_u16_e32 vcc_lo, 0, v3
	v_cndmask_b32_e64 v4, 0, 1.0, vcc_lo
	s_or_b32 exec_lo, exec_lo, s1
	s_and_saveexec_b32 s1, s22
	s_cbranch_execz .LBB15_978
	s_branch .LBB15_933
.LBB15_280:
                                        ; implicit-def: $vgpr0
                                        ; implicit-def: $vgpr2
	s_andn2_b32 vcc_lo, exec_lo, s0
	s_cbranch_vccz .LBB15_287
	s_branch .LBB15_289
.LBB15_281:
	v_mov_b32_e32 v0, 0
	v_mov_b32_e32 v2, 0
	s_branch .LBB15_286
.LBB15_282:
	v_mov_b32_e32 v0, 0
	v_mov_b32_e32 v2, 0
	v_mov_b32_e32 v1, v8
	s_mov_b32 s39, 0
.LBB15_283:
	s_and_b32 s40, s40, 3
	s_cmp_eq_u32 s40, 0
	s_cbranch_scc1 .LBB15_286
; %bb.284:
	s_lshl_b32 s0, s39, 3
	s_mul_i32 s22, s39, 12
	s_add_u32 s0, s2, s0
	s_addc_u32 s1, s3, 0
	s_add_u32 s0, s0, 0xc4
	s_addc_u32 s1, s1, 0
	;; [unrolled: 2-line block ×3, first 2 shown]
	.p2align	6
.LBB15_285:                             ; =>This Inner Loop Header: Depth=1
	s_clause 0x1
	s_load_dwordx2 s[42:43], s[22:23], 0x4
	s_load_dword s39, s[22:23], 0xc
	s_load_dwordx2 s[44:45], s[0:1], 0x0
	s_add_u32 s22, s22, 12
	s_addc_u32 s23, s23, 0
	s_add_u32 s0, s0, 8
	s_addc_u32 s1, s1, 0
	s_add_i32 s40, s40, -1
	s_cmp_lg_u32 s40, 0
	s_waitcnt vmcnt(0) lgkmcnt(0)
	v_mul_hi_u32 v3, s43, v1
	v_add_nc_u32_e32 v3, v1, v3
	v_lshrrev_b32_e32 v4, s39, v3
	v_mul_lo_u32 v3, v4, s42
	v_sub_nc_u32_e32 v3, v1, v3
	v_mad_u64_u32 v[0:1], null, v3, s44, v[0:1]
	v_mad_u64_u32 v[2:3], null, v3, s45, v[2:3]
	v_mov_b32_e32 v1, v4
	s_cbranch_scc1 .LBB15_285
.LBB15_286:
	s_cbranch_execnz .LBB15_289
.LBB15_287:
	s_waitcnt lgkmcnt(0)
	v_mul_hi_u32 v0, s17, v8
	s_andn2_b32 vcc_lo, exec_lo, s31
	v_add_nc_u32_e32 v0, v8, v0
	v_lshrrev_b32_e32 v1, s18, v0
	v_mul_lo_u32 v0, v1, s16
	v_sub_nc_u32_e32 v2, v8, v0
	v_mul_lo_u32 v0, v2, s12
	v_mul_lo_u32 v2, v2, s13
	s_cbranch_vccnz .LBB15_289
; %bb.288:
	s_waitcnt vmcnt(0)
	v_mul_hi_u32 v3, s6, v1
	v_add_nc_u32_e32 v3, v1, v3
	v_lshrrev_b32_e32 v3, s7, v3
	v_mul_lo_u32 v3, v3, s19
	v_sub_nc_u32_e32 v3, v1, v3
	v_mad_u64_u32 v[0:1], null, v3, s14, v[0:1]
	v_mad_u64_u32 v[2:3], null, v3, s15, v[2:3]
.LBB15_289:
	s_waitcnt lgkmcnt(0)
	v_add_co_u32 v1, s0, s10, v2
	v_add_co_ci_u32_e64 v2, null, s11, 0, s0
	s_and_b32 s0, 0xffff, s30
	s_cmp_lt_i32 s0, 11
	s_cbranch_scc1 .LBB15_296
; %bb.290:
	s_cmp_gt_i32 s0, 25
	s_cbranch_scc0 .LBB15_349
; %bb.291:
	s_cmp_gt_i32 s0, 28
	s_cbranch_scc0 .LBB15_350
	;; [unrolled: 3-line block ×4, first 2 shown]
; %bb.294:
	s_cmp_eq_u32 s0, 46
	s_mov_b32 s23, 0
	s_cbranch_scc0 .LBB15_360
; %bb.295:
	global_load_dword v3, v[1:2], off
	s_mov_b32 s1, -1
	s_mov_b32 s22, 0
	s_waitcnt vmcnt(0)
	v_lshlrev_b32_e32 v3, 16, v3
	s_branch .LBB15_362
.LBB15_296:
	s_mov_b32 s1, 0
	s_mov_b32 s22, s37
                                        ; implicit-def: $vgpr3
	s_cbranch_execnz .LBB15_499
.LBB15_297:
	s_andn2_b32 vcc_lo, exec_lo, s1
	s_cbranch_vccnz .LBB15_547
.LBB15_298:
	s_waitcnt vmcnt(0)
	v_and_b32_e32 v1, 0x7fffffff, v3
                                        ; implicit-def: $vgpr4
                                        ; implicit-def: $vgpr2
	s_mov_b32 s1, exec_lo
	v_cmpx_ngt_f32_e64 0x48000000, |v3|
	s_xor_b32 s23, exec_lo, s1
	s_cbranch_execz .LBB15_300
; %bb.299:
	s_mov_b32 s0, 0x7fffff
	v_mov_b32_e32 v6, 0
	v_and_or_b32 v2, v1, s0, 0x800000
	v_lshrrev_b32_e32 v7, 23, v1
	v_mad_u64_u32 v[4:5], null, 0xfe5163ab, v2, 0
	v_add_nc_u32_e32 v7, 0xffffff88, v7
	v_cmp_lt_u32_e32 vcc_lo, 63, v7
	v_mad_u64_u32 v[9:10], null, 0x3c439041, v2, v[5:6]
	v_cndmask_b32_e64 v14, 0, 0xffffffc0, vcc_lo
	v_mov_b32_e32 v5, v10
	v_add_nc_u32_e32 v7, v14, v7
	v_mad_u64_u32 v[10:11], null, 0xdb629599, v2, v[5:6]
	v_cmp_lt_u32_e64 s0, 31, v7
	v_cndmask_b32_e64 v15, 0, 0xffffffe0, s0
	v_mov_b32_e32 v5, v11
	v_cndmask_b32_e32 v4, v10, v4, vcc_lo
	v_add_nc_u32_e32 v7, v15, v7
	v_mad_u64_u32 v[11:12], null, 0xf534ddc0, v2, v[5:6]
	v_cmp_lt_u32_e64 s1, 31, v7
	v_mov_b32_e32 v5, v12
	v_mad_u64_u32 v[12:13], null, 0xfc2757d1, v2, v[5:6]
	v_mov_b32_e32 v5, v13
	v_mad_u64_u32 v[13:14], null, 0x4e441529, v2, v[5:6]
	v_mov_b32_e32 v5, v14
	v_cndmask_b32_e32 v14, v13, v11, vcc_lo
	v_mad_u64_u32 v[5:6], null, 0xa2f9836e, v2, v[5:6]
	v_cndmask_b32_e64 v2, 0, 0xffffffe0, s1
	v_add_nc_u32_e32 v2, v2, v7
	v_cndmask_b32_e32 v5, v5, v12, vcc_lo
	v_cndmask_b32_e32 v6, v6, v13, vcc_lo
	;; [unrolled: 1-line block ×4, first 2 shown]
	v_sub_nc_u32_e32 v11, 32, v2
	v_cndmask_b32_e64 v9, v5, v14, s0
	v_cndmask_b32_e64 v5, v6, v5, s0
	;; [unrolled: 1-line block ×4, first 2 shown]
	v_cmp_eq_u32_e32 vcc_lo, 0, v2
	v_cndmask_b32_e64 v4, v7, v4, s0
	v_cndmask_b32_e64 v5, v5, v9, s1
	;; [unrolled: 1-line block ×5, first 2 shown]
	v_alignbit_b32 v13, v5, v9, v11
	v_alignbit_b32 v10, v9, v6, v11
	;; [unrolled: 1-line block ×3, first 2 shown]
	v_cndmask_b32_e32 v2, v13, v5, vcc_lo
	v_cndmask_b32_e32 v5, v10, v9, vcc_lo
	;; [unrolled: 1-line block ×3, first 2 shown]
	v_bfe_u32 v7, v2, 29, 1
	v_alignbit_b32 v9, v2, v5, 30
	v_alignbit_b32 v5, v5, v6, 30
	;; [unrolled: 1-line block ×3, first 2 shown]
	v_sub_nc_u32_e32 v10, 0, v7
	v_xor_b32_e32 v9, v9, v10
	v_xor_b32_e32 v5, v5, v10
	;; [unrolled: 1-line block ×3, first 2 shown]
	v_lshrrev_b32_e32 v10, 29, v2
	v_ffbh_u32_e32 v11, v9
	v_min_u32_e32 v11, 32, v11
	v_sub_nc_u32_e32 v6, 31, v11
	v_lshlrev_b32_e32 v12, 23, v11
	v_alignbit_b32 v9, v9, v5, v6
	v_alignbit_b32 v4, v5, v4, v6
	v_lshlrev_b32_e32 v5, 31, v10
	v_alignbit_b32 v6, v9, v4, 9
	v_or_b32_e32 v10, 0.5, v5
	v_lshrrev_b32_e32 v9, 9, v9
	v_or_b32_e32 v5, 0x33000000, v5
	v_ffbh_u32_e32 v13, v6
	v_sub_nc_u32_e32 v10, v10, v12
	v_min_u32_e32 v12, 32, v13
	v_or_b32_e32 v9, v9, v10
	v_not_b32_e32 v10, v12
	v_mul_f32_e32 v13, 0x3fc90fda, v9
	v_add_lshl_u32 v11, v12, v11, 23
	v_alignbit_b32 v4, v6, v4, v10
	v_fma_f32 v6, 0x3fc90fda, v9, -v13
	v_sub_nc_u32_e32 v5, v5, v11
	v_lshrrev_b32_e32 v4, 9, v4
	v_fmamk_f32 v6, v9, 0x33a22168, v6
	v_or_b32_e32 v4, v5, v4
	v_fmac_f32_e32 v6, 0x3fc90fda, v4
	v_lshrrev_b32_e32 v4, 30, v2
	v_add_f32_e32 v2, v13, v6
	v_add_nc_u32_e32 v4, v7, v4
.LBB15_300:
	s_andn2_saveexec_b32 s0, s23
; %bb.301:
	v_mul_f32_e64 v2, 0x3f22f983, |v3|
	v_rndne_f32_e32 v4, v2
	v_fma_f32 v2, 0xbfc90fda, v4, |v3|
	v_fmamk_f32 v2, v4, 0xb3a22168, v2
	v_fmamk_f32 v2, v4, 0xa7c234c4, v2
	v_cvt_i32_f32_e32 v4, v4
; %bb.302:
	s_or_b32 exec_lo, exec_lo, s0
	v_mul_f32_e32 v5, v2, v2
	s_mov_b32 s0, 0xb94c1982
	s_mov_b32 s1, 0x37d75334
	v_and_b32_e32 v9, 1, v4
	v_lshlrev_b32_e32 v4, 30, v4
	v_fmaak_f32 v6, s0, v5, 0x3c0881c4
	v_fmaak_f32 v7, s1, v5, 0xbab64f3b
	v_xor_b32_e32 v1, v1, v3
	v_cmp_eq_u32_e32 vcc_lo, 0, v9
	v_and_b32_e32 v4, 0x80000000, v4
	v_fmaak_f32 v6, v5, v6, 0xbe2aaa9d
	v_fmaak_f32 v7, v5, v7, 0x3d2aabf7
	v_add_co_u32 v0, s0, s8, v0
	s_and_b32 s1, s29, 0xff
	v_mul_f32_e32 v6, v5, v6
	v_fmaak_f32 v7, v5, v7, 0xbf000004
	s_mov_b32 s39, 0
	s_mov_b32 s23, -1
	s_cmp_lt_i32 s1, 11
	v_fmac_f32_e32 v2, v2, v6
	v_fma_f32 v5, v5, v7, 1.0
	v_cndmask_b32_e32 v2, v5, v2, vcc_lo
	v_cmp_class_f32_e64 vcc_lo, v3, 0x1f8
	v_xor3_b32 v2, v1, v4, v2
	v_add_co_ci_u32_e64 v1, null, s9, 0, s0
	s_mov_b32 s0, s36
	v_cndmask_b32_e32 v2, 0x7fc00000, v2, vcc_lo
	s_cbranch_scc1 .LBB15_309
; %bb.303:
	s_and_b32 s23, 0xffff, s1
	s_cmp_gt_i32 s23, 25
	s_cbranch_scc0 .LBB15_351
; %bb.304:
	s_cmp_gt_i32 s23, 28
	s_cbranch_scc0 .LBB15_353
; %bb.305:
	s_cmp_gt_i32 s23, 43
	s_cbranch_scc0 .LBB15_357
; %bb.306:
	s_cmp_gt_i32 s23, 45
	s_cbranch_scc0 .LBB15_365
; %bb.307:
	s_mov_b32 s40, 0
	s_mov_b32 s0, -1
	s_cmp_eq_u32 s23, 46
	s_cbranch_scc0 .LBB15_366
; %bb.308:
	v_bfe_u32 v3, v2, 16, 1
	v_cmp_o_f32_e32 vcc_lo, v2, v2
	v_mov_b32_e32 v4, 0x7fc0
	s_mov_b32 s39, -1
	s_mov_b32 s0, 0
	v_add3_u32 v3, v2, v3, 0x7fff
	v_cndmask_b32_sdwa v3, v4, v3, vcc_lo dst_sel:DWORD dst_unused:UNUSED_PAD src0_sel:DWORD src1_sel:WORD_1
	global_store_dword v[0:1], v3, off
	s_branch .LBB15_366
.LBB15_309:
	s_and_b32 vcc_lo, exec_lo, s23
	s_cbranch_vccz .LBB15_435
; %bb.310:
	s_and_b32 s1, 0xffff, s1
	s_mov_b32 s23, -1
	s_cmp_lt_i32 s1, 5
	s_cbranch_scc1 .LBB15_331
; %bb.311:
	s_cmp_lt_i32 s1, 8
	s_cbranch_scc1 .LBB15_321
; %bb.312:
	;; [unrolled: 3-line block ×3, first 2 shown]
	s_cmp_gt_i32 s1, 9
	s_cbranch_scc0 .LBB15_315
; %bb.314:
	v_cvt_f64_f32_e32 v[3:4], v2
	v_mov_b32_e32 v5, 0
	s_mov_b32 s23, 0
	v_mov_b32_e32 v6, v5
	global_store_dwordx4 v[0:1], v[3:6], off
.LBB15_315:
	s_andn2_b32 vcc_lo, exec_lo, s23
	s_cbranch_vccnz .LBB15_317
; %bb.316:
	v_mov_b32_e32 v3, 0
	global_store_dwordx2 v[0:1], v[2:3], off
.LBB15_317:
	s_mov_b32 s23, 0
.LBB15_318:
	s_andn2_b32 vcc_lo, exec_lo, s23
	s_cbranch_vccnz .LBB15_320
; %bb.319:
	v_cvt_f16_f32_e32 v3, v2
	v_and_b32_e32 v3, 0xffff, v3
	global_store_dword v[0:1], v3, off
.LBB15_320:
	s_mov_b32 s23, 0
.LBB15_321:
	s_andn2_b32 vcc_lo, exec_lo, s23
	s_cbranch_vccnz .LBB15_330
; %bb.322:
	s_cmp_lt_i32 s1, 6
	s_mov_b32 s23, -1
	s_cbranch_scc1 .LBB15_328
; %bb.323:
	s_cmp_gt_i32 s1, 6
	s_cbranch_scc0 .LBB15_325
; %bb.324:
	v_cvt_f64_f32_e32 v[3:4], v2
	s_mov_b32 s23, 0
	global_store_dwordx2 v[0:1], v[3:4], off
.LBB15_325:
	s_andn2_b32 vcc_lo, exec_lo, s23
	s_cbranch_vccnz .LBB15_327
; %bb.326:
	global_store_dword v[0:1], v2, off
.LBB15_327:
	s_mov_b32 s23, 0
.LBB15_328:
	s_andn2_b32 vcc_lo, exec_lo, s23
	s_cbranch_vccnz .LBB15_330
; %bb.329:
	v_cvt_f16_f32_e32 v3, v2
	global_store_short v[0:1], v3, off
.LBB15_330:
	s_mov_b32 s23, 0
.LBB15_331:
	s_andn2_b32 vcc_lo, exec_lo, s23
	s_cbranch_vccnz .LBB15_347
; %bb.332:
	s_cmp_lt_i32 s1, 2
	s_mov_b32 s23, -1
	s_cbranch_scc1 .LBB15_342
; %bb.333:
	s_cmp_lt_i32 s1, 3
	s_cbranch_scc1 .LBB15_339
; %bb.334:
	s_cmp_gt_i32 s1, 3
	s_cbranch_scc0 .LBB15_336
; %bb.335:
	v_trunc_f32_e32 v3, v2
	s_mov_b32 s23, 0
	v_mul_f32_e64 v4, 0x2f800000, |v3|
	v_ashrrev_i32_e32 v6, 31, v3
	v_floor_f32_e32 v4, v4
	v_fma_f32 v5, 0xcf800000, v4, |v3|
	v_cvt_u32_f32_e32 v4, v4
	v_cvt_u32_f32_e32 v3, v5
	v_xor_b32_e32 v4, v4, v6
	v_xor_b32_e32 v3, v3, v6
	v_sub_co_u32 v3, vcc_lo, v3, v6
	v_sub_co_ci_u32_e64 v4, null, v4, v6, vcc_lo
	global_store_dwordx2 v[0:1], v[3:4], off
.LBB15_336:
	s_andn2_b32 vcc_lo, exec_lo, s23
	s_cbranch_vccnz .LBB15_338
; %bb.337:
	v_cvt_i32_f32_e32 v3, v2
	global_store_dword v[0:1], v3, off
.LBB15_338:
	s_mov_b32 s23, 0
.LBB15_339:
	s_andn2_b32 vcc_lo, exec_lo, s23
	s_cbranch_vccnz .LBB15_341
; %bb.340:
	v_cvt_i32_f32_e32 v3, v2
	global_store_short v[0:1], v3, off
.LBB15_341:
	s_mov_b32 s23, 0
.LBB15_342:
	s_andn2_b32 vcc_lo, exec_lo, s23
	s_cbranch_vccnz .LBB15_347
; %bb.343:
	s_cmp_gt_i32 s1, 0
	s_mov_b32 s1, -1
	s_cbranch_scc0 .LBB15_345
; %bb.344:
	v_cvt_i32_f32_e32 v3, v2
	s_mov_b32 s1, 0
	global_store_byte v[0:1], v3, off
.LBB15_345:
	s_andn2_b32 vcc_lo, exec_lo, s1
	s_cbranch_vccnz .LBB15_347
; %bb.346:
	v_trunc_f32_e32 v2, v2
	v_mul_f32_e64 v3, 0x2f800000, |v2|
	v_floor_f32_e32 v3, v3
	v_fma_f32 v3, 0xcf800000, v3, |v2|
	v_ashrrev_i32_e32 v2, 31, v2
	v_cvt_u32_f32_e32 v3, v3
	v_xor_b32_e32 v3, v3, v2
	v_sub_nc_u32_e32 v2, v3, v2
	global_store_byte v[0:1], v2, off
.LBB15_347:
	s_branch .LBB15_436
.LBB15_348:
	s_mov_b32 s1, 0
	s_branch .LBB15_548
.LBB15_349:
	s_mov_b32 s23, -1
	s_mov_b32 s1, 0
	s_mov_b32 s22, s37
                                        ; implicit-def: $vgpr3
	s_branch .LBB15_463
.LBB15_350:
	s_mov_b32 s23, -1
	s_mov_b32 s1, 0
	s_mov_b32 s22, s37
                                        ; implicit-def: $vgpr3
	s_branch .LBB15_444
.LBB15_351:
	s_mov_b32 s40, -1
	s_mov_b32 s0, s36
	s_branch .LBB15_393
.LBB15_352:
	s_mov_b32 s23, -1
	s_mov_b32 s1, 0
	s_mov_b32 s22, s37
                                        ; implicit-def: $vgpr3
	s_branch .LBB15_439
.LBB15_353:
	s_mov_b32 s40, -1
	s_mov_b32 s0, s36
	s_branch .LBB15_376
.LBB15_354:
	s_andn2_saveexec_b32 s40, s40
	s_cbranch_execz .LBB15_109
.LBB15_355:
	v_add_f32_e64 v3, 0x46000000, |v2|
	s_andn2_b32 s37, s37, exec_lo
	v_and_b32_e32 v3, 0xff, v3
	v_cmp_ne_u32_e32 vcc_lo, 0, v3
	s_and_b32 s41, vcc_lo, exec_lo
	s_or_b32 s37, s37, s41
	s_or_b32 exec_lo, exec_lo, s40
	v_mov_b32_e32 v4, 0
	s_and_saveexec_b32 s40, s37
	s_cbranch_execnz .LBB15_110
	s_branch .LBB15_111
.LBB15_356:
	s_mov_b32 s23, -1
	s_mov_b32 s1, 0
	s_mov_b32 s22, s37
	s_branch .LBB15_361
.LBB15_357:
	s_mov_b32 s40, -1
	s_mov_b32 s0, s36
	s_branch .LBB15_372
.LBB15_358:
	s_andn2_saveexec_b32 s40, s40
	s_cbranch_execz .LBB15_122
.LBB15_359:
	v_add_f32_e64 v3, 0x42800000, |v2|
	s_andn2_b32 s37, s37, exec_lo
	v_and_b32_e32 v3, 0xff, v3
	v_cmp_ne_u32_e32 vcc_lo, 0, v3
	s_and_b32 s41, vcc_lo, exec_lo
	s_or_b32 s37, s37, s41
	s_or_b32 exec_lo, exec_lo, s40
	v_mov_b32_e32 v4, 0
	s_and_saveexec_b32 s40, s37
	s_cbranch_execnz .LBB15_123
	s_branch .LBB15_124
.LBB15_360:
	s_mov_b32 s22, -1
	s_mov_b32 s1, 0
.LBB15_361:
                                        ; implicit-def: $vgpr3
.LBB15_362:
	s_and_b32 vcc_lo, exec_lo, s23
	s_cbranch_vccz .LBB15_438
; %bb.363:
	s_cmp_eq_u32 s0, 44
	s_cbranch_scc0 .LBB15_437
; %bb.364:
	global_load_ubyte v3, v[1:2], off
	s_mov_b32 s22, 0
	s_mov_b32 s1, -1
	s_waitcnt vmcnt(0)
	v_lshlrev_b32_e32 v4, 23, v3
	v_cmp_ne_u32_e32 vcc_lo, 0xff, v3
	v_cndmask_b32_e32 v4, 0x7f800001, v4, vcc_lo
	v_cmp_ne_u32_e32 vcc_lo, 0, v3
	v_cndmask_b32_e32 v3, 0x400000, v4, vcc_lo
	s_branch .LBB15_438
.LBB15_365:
	s_mov_b32 s40, -1
	s_mov_b32 s0, s36
.LBB15_366:
	s_and_b32 vcc_lo, exec_lo, s40
	s_cbranch_vccz .LBB15_371
; %bb.367:
	s_cmp_eq_u32 s23, 44
	s_mov_b32 s0, -1
	s_cbranch_scc0 .LBB15_371
; %bb.368:
	v_bfe_u32 v4, v2, 23, 8
	v_mov_b32_e32 v3, 0xff
	s_mov_b32 s39, exec_lo
	v_cmpx_ne_u32_e32 0xff, v4
	s_cbranch_execz .LBB15_370
; %bb.369:
	v_and_b32_e32 v3, 0x400000, v2
	v_and_or_b32 v4, 0x3fffff, v2, v4
	v_cmp_ne_u32_e32 vcc_lo, 0, v3
	v_cmp_ne_u32_e64 s0, 0, v4
	v_lshrrev_b32_e32 v3, 23, v2
	s_and_b32 s0, vcc_lo, s0
	v_cndmask_b32_e64 v4, 0, 1, s0
	v_add_nc_u32_e32 v3, v3, v4
.LBB15_370:
	s_or_b32 exec_lo, exec_lo, s39
	s_mov_b32 s39, -1
	s_mov_b32 s0, 0
	global_store_byte v[0:1], v3, off
.LBB15_371:
	s_mov_b32 s40, 0
.LBB15_372:
	s_and_b32 vcc_lo, exec_lo, s40
	s_cbranch_vccz .LBB15_375
; %bb.373:
	s_cmp_eq_u32 s23, 29
	s_mov_b32 s0, -1
	s_cbranch_scc0 .LBB15_375
; %bb.374:
	v_trunc_f32_e32 v3, v2
	s_mov_b32 s39, -1
	s_mov_b32 s0, 0
	s_mov_b32 s40, 0
	v_mul_f32_e32 v4, 0x2f800000, v3
	v_floor_f32_e32 v4, v4
	v_fmamk_f32 v3, v4, 0xcf800000, v3
	v_cvt_u32_f32_e32 v4, v4
	v_cvt_u32_f32_e32 v3, v3
	global_store_dwordx2 v[0:1], v[3:4], off
	s_branch .LBB15_376
.LBB15_375:
	s_mov_b32 s40, 0
.LBB15_376:
	s_and_b32 vcc_lo, exec_lo, s40
	s_cbranch_vccz .LBB15_392
; %bb.377:
	s_cmp_lt_i32 s23, 27
	s_mov_b32 s39, -1
	s_cbranch_scc1 .LBB15_383
; %bb.378:
	v_cvt_u32_f32_e32 v3, v2
	s_cmp_gt_i32 s23, 27
	s_cbranch_scc0 .LBB15_380
; %bb.379:
	s_mov_b32 s39, 0
	global_store_dword v[0:1], v3, off
.LBB15_380:
	s_andn2_b32 vcc_lo, exec_lo, s39
	s_cbranch_vccnz .LBB15_382
; %bb.381:
	global_store_short v[0:1], v3, off
.LBB15_382:
	s_mov_b32 s39, 0
.LBB15_383:
	s_andn2_b32 vcc_lo, exec_lo, s39
	s_cbranch_vccnz .LBB15_391
; %bb.384:
	v_and_b32_e32 v3, 0x7fffffff, v2
	v_mov_b32_e32 v4, 0x80
	s_mov_b32 s39, exec_lo
	v_cmpx_gt_u32_e32 0x43800000, v3
	s_cbranch_execz .LBB15_390
; %bb.385:
	v_cmp_lt_u32_e32 vcc_lo, 0x3bffffff, v3
	s_mov_b32 s40, 0
                                        ; implicit-def: $vgpr3
	s_and_saveexec_b32 s42, vcc_lo
	s_xor_b32 s42, exec_lo, s42
	s_cbranch_execz .LBB15_578
; %bb.386:
	v_bfe_u32 v3, v2, 20, 1
	s_mov_b32 s40, exec_lo
	v_add3_u32 v3, v2, v3, 0x487ffff
	v_lshrrev_b32_e32 v3, 20, v3
	s_andn2_saveexec_b32 s42, s42
	s_cbranch_execnz .LBB15_579
.LBB15_387:
	s_or_b32 exec_lo, exec_lo, s42
	v_mov_b32_e32 v4, 0
	s_and_saveexec_b32 s42, s40
.LBB15_388:
	v_lshrrev_b32_e32 v4, 24, v2
	v_and_or_b32 v4, 0x80, v4, v3
.LBB15_389:
	s_or_b32 exec_lo, exec_lo, s42
.LBB15_390:
	s_or_b32 exec_lo, exec_lo, s39
	global_store_byte v[0:1], v4, off
.LBB15_391:
	s_mov_b32 s39, -1
.LBB15_392:
	s_mov_b32 s40, 0
.LBB15_393:
	s_and_b32 vcc_lo, exec_lo, s40
	s_cbranch_vccz .LBB15_434
; %bb.394:
	s_cmp_gt_i32 s23, 22
	s_mov_b32 s40, -1
	s_cbranch_scc0 .LBB15_426
; %bb.395:
	s_cmp_lt_i32 s23, 24
	s_mov_b32 s39, -1
	s_cbranch_scc1 .LBB15_415
; %bb.396:
	s_cmp_gt_i32 s23, 24
	s_cbranch_scc0 .LBB15_404
; %bb.397:
	v_and_b32_e32 v3, 0x7fffffff, v2
	v_mov_b32_e32 v4, 0x80
	s_mov_b32 s39, exec_lo
	v_cmpx_gt_u32_e32 0x47800000, v3
	s_cbranch_execz .LBB15_403
; %bb.398:
	v_cmp_lt_u32_e32 vcc_lo, 0x37ffffff, v3
	s_mov_b32 s40, 0
                                        ; implicit-def: $vgpr3
	s_and_saveexec_b32 s42, vcc_lo
	s_xor_b32 s42, exec_lo, s42
	s_cbranch_execz .LBB15_581
; %bb.399:
	v_bfe_u32 v3, v2, 21, 1
	s_mov_b32 s40, exec_lo
	v_add3_u32 v3, v2, v3, 0x88fffff
	v_lshrrev_b32_e32 v3, 21, v3
	s_andn2_saveexec_b32 s42, s42
	s_cbranch_execnz .LBB15_582
.LBB15_400:
	s_or_b32 exec_lo, exec_lo, s42
	v_mov_b32_e32 v4, 0
	s_and_saveexec_b32 s42, s40
.LBB15_401:
	v_lshrrev_b32_e32 v4, 24, v2
	v_and_or_b32 v4, 0x80, v4, v3
.LBB15_402:
	s_or_b32 exec_lo, exec_lo, s42
.LBB15_403:
	s_or_b32 exec_lo, exec_lo, s39
	s_mov_b32 s39, 0
	global_store_byte v[0:1], v4, off
.LBB15_404:
	s_and_b32 vcc_lo, exec_lo, s39
	s_cbranch_vccz .LBB15_414
; %bb.405:
	v_and_b32_e32 v4, 0x7fffffff, v2
	s_mov_b32 s39, exec_lo
                                        ; implicit-def: $vgpr3
	v_cmpx_gt_u32_e32 0x43f00000, v4
	s_xor_b32 s39, exec_lo, s39
	s_cbranch_execz .LBB15_411
; %bb.406:
	s_mov_b32 s40, exec_lo
                                        ; implicit-def: $vgpr3
	v_cmpx_lt_u32_e32 0x3c7fffff, v4
	s_xor_b32 s40, exec_lo, s40
; %bb.407:
	v_bfe_u32 v3, v2, 20, 1
	v_add3_u32 v3, v2, v3, 0x407ffff
	v_and_b32_e32 v4, 0xff00000, v3
	v_lshrrev_b32_e32 v3, 20, v3
	v_cmp_ne_u32_e32 vcc_lo, 0x7f00000, v4
	v_cndmask_b32_e32 v3, 0x7e, v3, vcc_lo
; %bb.408:
	s_andn2_saveexec_b32 s40, s40
; %bb.409:
	v_add_f32_e64 v3, 0x46800000, |v2|
; %bb.410:
	s_or_b32 exec_lo, exec_lo, s40
                                        ; implicit-def: $vgpr4
.LBB15_411:
	s_andn2_saveexec_b32 s39, s39
; %bb.412:
	v_mov_b32_e32 v3, 0x7f
	v_cmp_lt_u32_e32 vcc_lo, 0x7f800000, v4
	v_cndmask_b32_e32 v3, 0x7e, v3, vcc_lo
; %bb.413:
	s_or_b32 exec_lo, exec_lo, s39
	v_lshrrev_b32_e32 v4, 24, v2
	v_and_or_b32 v3, 0x80, v4, v3
	global_store_byte v[0:1], v3, off
.LBB15_414:
	s_mov_b32 s39, 0
.LBB15_415:
	s_andn2_b32 vcc_lo, exec_lo, s39
	s_cbranch_vccnz .LBB15_425
; %bb.416:
	v_and_b32_e32 v4, 0x7fffffff, v2
	s_mov_b32 s39, exec_lo
                                        ; implicit-def: $vgpr3
	v_cmpx_gt_u32_e32 0x47800000, v4
	s_xor_b32 s39, exec_lo, s39
	s_cbranch_execz .LBB15_422
; %bb.417:
	s_mov_b32 s40, exec_lo
                                        ; implicit-def: $vgpr3
	v_cmpx_lt_u32_e32 0x387fffff, v4
	s_xor_b32 s40, exec_lo, s40
; %bb.418:
	v_bfe_u32 v3, v2, 21, 1
	v_add3_u32 v3, v2, v3, 0x80fffff
	v_lshrrev_b32_e32 v3, 21, v3
; %bb.419:
	s_andn2_saveexec_b32 s40, s40
; %bb.420:
	v_add_f32_e64 v3, 0x43000000, |v2|
; %bb.421:
	s_or_b32 exec_lo, exec_lo, s40
                                        ; implicit-def: $vgpr4
.LBB15_422:
	s_andn2_saveexec_b32 s39, s39
; %bb.423:
	v_mov_b32_e32 v3, 0x7f
	v_cmp_lt_u32_e32 vcc_lo, 0x7f800000, v4
	v_cndmask_b32_e32 v3, 0x7c, v3, vcc_lo
; %bb.424:
	s_or_b32 exec_lo, exec_lo, s39
	v_lshrrev_b32_e32 v4, 24, v2
	v_and_or_b32 v3, 0x80, v4, v3
	global_store_byte v[0:1], v3, off
.LBB15_425:
	s_mov_b32 s40, 0
	s_mov_b32 s39, -1
.LBB15_426:
	s_andn2_b32 vcc_lo, exec_lo, s40
	s_cbranch_vccnz .LBB15_434
; %bb.427:
	s_cmp_gt_i32 s23, 14
	s_mov_b32 s40, -1
	s_cbranch_scc0 .LBB15_431
; %bb.428:
	s_cmp_eq_u32 s23, 15
	s_mov_b32 s0, -1
	s_cbranch_scc0 .LBB15_430
; %bb.429:
	v_bfe_u32 v3, v2, 16, 1
	v_cmp_o_f32_e32 vcc_lo, v2, v2
	v_mov_b32_e32 v4, 0x7fc0
	s_mov_b32 s39, -1
	s_mov_b32 s0, 0
	v_add3_u32 v3, v2, v3, 0x7fff
	v_cndmask_b32_sdwa v3, v4, v3, vcc_lo dst_sel:DWORD dst_unused:UNUSED_PAD src0_sel:DWORD src1_sel:WORD_1
	global_store_short v[0:1], v3, off
.LBB15_430:
	s_mov_b32 s40, 0
.LBB15_431:
	s_and_b32 vcc_lo, exec_lo, s40
	s_cbranch_vccz .LBB15_434
; %bb.432:
	s_cmp_eq_u32 s23, 11
	s_mov_b32 s0, -1
	s_cbranch_scc0 .LBB15_434
; %bb.433:
	v_cmp_neq_f32_e32 vcc_lo, 0, v2
	s_mov_b32 s0, 0
	s_mov_b32 s39, -1
	v_cndmask_b32_e64 v3, 0, 1, vcc_lo
	global_store_byte v[0:1], v3, off
.LBB15_434:
.LBB15_435:
	s_andn2_b32 vcc_lo, exec_lo, s39
	s_cbranch_vccnz .LBB15_348
.LBB15_436:
	v_add_nc_u32_e32 v8, 0x80, v8
	s_mov_b32 s1, -1
	s_branch .LBB15_549
.LBB15_437:
	s_mov_b32 s22, -1
                                        ; implicit-def: $vgpr3
.LBB15_438:
	s_mov_b32 s23, 0
.LBB15_439:
	s_and_b32 vcc_lo, exec_lo, s23
	s_cbranch_vccz .LBB15_443
; %bb.440:
	s_cmp_eq_u32 s0, 29
	s_cbranch_scc0 .LBB15_442
; %bb.441:
	global_load_dwordx2 v[3:4], v[1:2], off
	s_mov_b32 s1, -1
	s_mov_b32 s22, 0
	s_mov_b32 s23, 0
	s_waitcnt vmcnt(0)
	v_ffbh_u32_e32 v5, v4
	v_min_u32_e32 v5, 32, v5
	v_lshlrev_b64 v[3:4], v5, v[3:4]
	v_min_u32_e32 v3, 1, v3
	v_or_b32_e32 v3, v4, v3
	v_sub_nc_u32_e32 v4, 32, v5
	v_cvt_f32_u32_e32 v3, v3
	v_ldexp_f32 v3, v3, v4
	s_branch .LBB15_444
.LBB15_442:
	s_mov_b32 s22, -1
                                        ; implicit-def: $vgpr3
.LBB15_443:
	s_mov_b32 s23, 0
.LBB15_444:
	s_and_b32 vcc_lo, exec_lo, s23
	s_cbranch_vccz .LBB15_462
; %bb.445:
	s_cmp_lt_i32 s0, 27
	s_cbranch_scc1 .LBB15_448
; %bb.446:
	s_cmp_gt_i32 s0, 27
	s_cbranch_scc0 .LBB15_449
; %bb.447:
	global_load_dword v3, v[1:2], off
	s_mov_b32 s1, 0
	s_waitcnt vmcnt(0)
	v_cvt_f32_u32_e32 v3, v3
	s_branch .LBB15_450
.LBB15_448:
	s_mov_b32 s1, -1
                                        ; implicit-def: $vgpr3
	s_branch .LBB15_453
.LBB15_449:
	s_mov_b32 s1, -1
                                        ; implicit-def: $vgpr3
.LBB15_450:
	s_andn2_b32 vcc_lo, exec_lo, s1
	s_cbranch_vccnz .LBB15_452
; %bb.451:
	global_load_ushort v3, v[1:2], off
	s_waitcnt vmcnt(0)
	v_cvt_f32_u32_e32 v3, v3
.LBB15_452:
	s_mov_b32 s1, 0
.LBB15_453:
	s_andn2_b32 vcc_lo, exec_lo, s1
	s_cbranch_vccnz .LBB15_461
; %bb.454:
	global_load_ubyte v4, v[1:2], off
	s_mov_b32 s1, 0
	s_mov_b32 s23, exec_lo
	s_waitcnt vmcnt(0)
	v_cmpx_lt_i16_e32 0x7f, v4
	s_xor_b32 s23, exec_lo, s23
	s_cbranch_execz .LBB15_475
; %bb.455:
	s_mov_b32 s1, -1
	s_mov_b32 s39, exec_lo
	v_cmpx_eq_u16_e32 0x80, v4
; %bb.456:
	s_xor_b32 s1, exec_lo, -1
; %bb.457:
	s_or_b32 exec_lo, exec_lo, s39
	s_and_b32 s1, s1, exec_lo
	s_or_saveexec_b32 s23, s23
	v_mov_b32_e32 v3, 0x7f800001
	s_xor_b32 exec_lo, exec_lo, s23
	s_cbranch_execnz .LBB15_476
.LBB15_458:
	s_or_b32 exec_lo, exec_lo, s23
	s_and_saveexec_b32 s23, s1
	s_cbranch_execz .LBB15_460
.LBB15_459:
	v_and_b32_e32 v3, 0xffff, v4
	v_lshlrev_b32_e32 v4, 24, v4
	v_and_b32_e32 v5, 7, v3
	v_bfe_u32 v9, v3, 3, 4
	v_and_b32_e32 v4, 0x80000000, v4
	v_ffbh_u32_e32 v6, v5
	v_cmp_eq_u32_e32 vcc_lo, 0, v9
	v_min_u32_e32 v6, 32, v6
	v_subrev_nc_u32_e32 v7, 28, v6
	v_sub_nc_u32_e32 v6, 29, v6
	v_lshlrev_b32_e32 v3, v7, v3
	v_cndmask_b32_e32 v6, v9, v6, vcc_lo
	v_and_b32_e32 v3, 7, v3
	v_cndmask_b32_e32 v3, v5, v3, vcc_lo
	v_lshl_add_u32 v5, v6, 23, 0x3b800000
	v_lshlrev_b32_e32 v3, 20, v3
	v_or3_b32 v3, v4, v5, v3
.LBB15_460:
	s_or_b32 exec_lo, exec_lo, s23
.LBB15_461:
	s_mov_b32 s1, -1
.LBB15_462:
	s_mov_b32 s23, 0
.LBB15_463:
	s_and_b32 vcc_lo, exec_lo, s23
	s_cbranch_vccz .LBB15_498
; %bb.464:
	s_cmp_gt_i32 s0, 22
	s_cbranch_scc0 .LBB15_474
; %bb.465:
	s_cmp_lt_i32 s0, 24
	s_cbranch_scc1 .LBB15_477
; %bb.466:
	s_cmp_gt_i32 s0, 24
	s_cbranch_scc0 .LBB15_478
; %bb.467:
	global_load_ubyte v4, v[1:2], off
	s_mov_b32 s1, 0
	s_mov_b32 s23, exec_lo
	s_waitcnt vmcnt(0)
	v_cmpx_lt_i16_e32 0x7f, v4
	s_xor_b32 s23, exec_lo, s23
	s_cbranch_execz .LBB15_490
; %bb.468:
	s_mov_b32 s1, -1
	s_mov_b32 s39, exec_lo
	v_cmpx_eq_u16_e32 0x80, v4
; %bb.469:
	s_xor_b32 s1, exec_lo, -1
; %bb.470:
	s_or_b32 exec_lo, exec_lo, s39
	s_and_b32 s1, s1, exec_lo
	s_or_saveexec_b32 s23, s23
	v_mov_b32_e32 v3, 0x7f800001
	s_xor_b32 exec_lo, exec_lo, s23
	s_cbranch_execnz .LBB15_491
.LBB15_471:
	s_or_b32 exec_lo, exec_lo, s23
	s_and_saveexec_b32 s23, s1
	s_cbranch_execz .LBB15_473
.LBB15_472:
	v_and_b32_e32 v3, 0xffff, v4
	v_lshlrev_b32_e32 v4, 24, v4
	v_and_b32_e32 v5, 3, v3
	v_bfe_u32 v9, v3, 2, 5
	v_and_b32_e32 v4, 0x80000000, v4
	v_ffbh_u32_e32 v6, v5
	v_cmp_eq_u32_e32 vcc_lo, 0, v9
	v_min_u32_e32 v6, 32, v6
	v_subrev_nc_u32_e32 v7, 29, v6
	v_sub_nc_u32_e32 v6, 30, v6
	v_lshlrev_b32_e32 v3, v7, v3
	v_cndmask_b32_e32 v6, v9, v6, vcc_lo
	v_and_b32_e32 v3, 3, v3
	v_cndmask_b32_e32 v3, v5, v3, vcc_lo
	v_lshl_add_u32 v5, v6, 23, 0x37800000
	v_lshlrev_b32_e32 v3, 21, v3
	v_or3_b32 v3, v4, v5, v3
.LBB15_473:
	s_or_b32 exec_lo, exec_lo, s23
	s_mov_b32 s1, 0
	s_branch .LBB15_479
.LBB15_474:
	s_mov_b32 s23, -1
                                        ; implicit-def: $vgpr3
	s_branch .LBB15_485
.LBB15_475:
	s_or_saveexec_b32 s23, s23
	v_mov_b32_e32 v3, 0x7f800001
	s_xor_b32 exec_lo, exec_lo, s23
	s_cbranch_execz .LBB15_458
.LBB15_476:
	v_cmp_ne_u16_e32 vcc_lo, 0, v4
	v_mov_b32_e32 v3, 0
	s_andn2_b32 s1, s1, exec_lo
	s_and_b32 s39, vcc_lo, exec_lo
	s_or_b32 s1, s1, s39
	s_or_b32 exec_lo, exec_lo, s23
	s_and_saveexec_b32 s23, s1
	s_cbranch_execnz .LBB15_459
	s_branch .LBB15_460
.LBB15_477:
	s_mov_b32 s1, -1
                                        ; implicit-def: $vgpr3
	s_branch .LBB15_482
.LBB15_478:
	s_mov_b32 s1, -1
                                        ; implicit-def: $vgpr3
.LBB15_479:
	s_and_b32 vcc_lo, exec_lo, s1
	s_cbranch_vccz .LBB15_481
; %bb.480:
	global_load_ubyte v3, v[1:2], off
	s_waitcnt vmcnt(0)
	v_lshlrev_b32_e32 v3, 24, v3
	v_and_b32_e32 v4, 0x7f000000, v3
	v_ffbh_u32_e32 v5, v4
	v_add_nc_u32_e32 v7, 0x1000000, v4
	v_cmp_ne_u32_e32 vcc_lo, 0, v4
	v_min_u32_e32 v5, 32, v5
	v_sub_nc_u32_e64 v5, v5, 4 clamp
	v_lshlrev_b32_e32 v6, v5, v4
	v_lshlrev_b32_e32 v5, 23, v5
	v_lshrrev_b32_e32 v6, 4, v6
	v_sub_nc_u32_e32 v5, v6, v5
	v_ashrrev_i32_e32 v6, 8, v7
	v_add_nc_u32_e32 v5, 0x3c000000, v5
	v_and_or_b32 v5, 0x7f800000, v6, v5
	v_cndmask_b32_e32 v4, 0, v5, vcc_lo
	v_and_or_b32 v3, 0x80000000, v3, v4
.LBB15_481:
	s_mov_b32 s1, 0
.LBB15_482:
	s_andn2_b32 vcc_lo, exec_lo, s1
	s_cbranch_vccnz .LBB15_484
; %bb.483:
	global_load_ubyte v3, v[1:2], off
	s_waitcnt vmcnt(0)
	v_lshlrev_b32_e32 v4, 25, v3
	v_lshlrev_b16 v3, 8, v3
	v_lshrrev_b32_e32 v5, 4, v4
	v_and_or_b32 v6, 0x7f00, v3, 0.5
	v_cmp_gt_u32_e32 vcc_lo, 0x8000000, v4
	v_bfe_i32 v3, v3, 0, 16
	v_or_b32_e32 v5, 0x70000000, v5
	v_add_f32_e32 v6, -0.5, v6
	v_mul_f32_e32 v5, 0x7800000, v5
	v_cndmask_b32_e32 v4, v5, v6, vcc_lo
	v_and_or_b32 v3, 0x80000000, v3, v4
.LBB15_484:
	s_mov_b32 s23, 0
	s_mov_b32 s1, -1
.LBB15_485:
	s_andn2_b32 vcc_lo, exec_lo, s23
	s_cbranch_vccnz .LBB15_498
; %bb.486:
	s_cmp_gt_i32 s0, 14
	s_cbranch_scc0 .LBB15_489
; %bb.487:
	s_cmp_eq_u32 s0, 15
	s_cbranch_scc0 .LBB15_492
; %bb.488:
	global_load_ushort v3, v[1:2], off
	s_mov_b32 s1, -1
	s_mov_b32 s22, 0
	s_waitcnt vmcnt(0)
	v_lshlrev_b32_e32 v3, 16, v3
	s_branch .LBB15_493
.LBB15_489:
	s_mov_b32 s23, -1
                                        ; implicit-def: $vgpr3
	s_branch .LBB15_494
.LBB15_490:
	s_or_saveexec_b32 s23, s23
	v_mov_b32_e32 v3, 0x7f800001
	s_xor_b32 exec_lo, exec_lo, s23
	s_cbranch_execz .LBB15_471
.LBB15_491:
	v_cmp_ne_u16_e32 vcc_lo, 0, v4
	v_mov_b32_e32 v3, 0
	s_andn2_b32 s1, s1, exec_lo
	s_and_b32 s39, vcc_lo, exec_lo
	s_or_b32 s1, s1, s39
	s_or_b32 exec_lo, exec_lo, s23
	s_and_saveexec_b32 s23, s1
	s_cbranch_execnz .LBB15_472
	s_branch .LBB15_473
.LBB15_492:
	s_mov_b32 s22, -1
                                        ; implicit-def: $vgpr3
.LBB15_493:
	s_mov_b32 s23, 0
.LBB15_494:
	s_and_b32 vcc_lo, exec_lo, s23
	s_cbranch_vccz .LBB15_498
; %bb.495:
	s_cmp_eq_u32 s0, 11
	s_cbranch_scc0 .LBB15_497
; %bb.496:
	global_load_ubyte v3, v[1:2], off
	s_mov_b32 s22, 0
	s_mov_b32 s1, -1
	s_waitcnt vmcnt(0)
	v_cmp_ne_u16_e32 vcc_lo, 0, v3
	v_cndmask_b32_e64 v3, 0, 1.0, vcc_lo
	s_branch .LBB15_498
.LBB15_497:
	s_mov_b32 s22, -1
                                        ; implicit-def: $vgpr3
.LBB15_498:
	s_branch .LBB15_297
.LBB15_499:
	s_cmp_lt_i32 s0, 5
	s_cbranch_scc1 .LBB15_504
; %bb.500:
	s_cmp_lt_i32 s0, 8
	s_cbranch_scc1 .LBB15_505
; %bb.501:
	;; [unrolled: 3-line block ×3, first 2 shown]
	s_cmp_gt_i32 s0, 9
	s_cbranch_scc0 .LBB15_507
; %bb.503:
	global_load_dwordx2 v[3:4], v[1:2], off
	s_mov_b32 s1, 0
	s_waitcnt vmcnt(0)
	v_cvt_f32_f64_e32 v3, v[3:4]
	s_branch .LBB15_508
.LBB15_504:
	s_mov_b32 s1, -1
                                        ; implicit-def: $vgpr3
	s_branch .LBB15_526
.LBB15_505:
	s_mov_b32 s1, -1
                                        ; implicit-def: $vgpr3
	s_branch .LBB15_514
.LBB15_506:
	s_mov_b32 s1, -1
                                        ; implicit-def: $vgpr3
	s_branch .LBB15_511
.LBB15_507:
	s_mov_b32 s1, -1
                                        ; implicit-def: $vgpr3
.LBB15_508:
	s_andn2_b32 vcc_lo, exec_lo, s1
	s_cbranch_vccnz .LBB15_510
; %bb.509:
	global_load_dword v3, v[1:2], off
.LBB15_510:
	s_mov_b32 s1, 0
.LBB15_511:
	s_andn2_b32 vcc_lo, exec_lo, s1
	s_cbranch_vccnz .LBB15_513
; %bb.512:
	global_load_dword v3, v[1:2], off
	s_waitcnt vmcnt(0)
	v_cvt_f32_f16_e32 v3, v3
.LBB15_513:
	s_mov_b32 s1, 0
.LBB15_514:
	s_andn2_b32 vcc_lo, exec_lo, s1
	s_cbranch_vccnz .LBB15_525
; %bb.515:
	s_cmp_lt_i32 s0, 6
	s_cbranch_scc1 .LBB15_518
; %bb.516:
	s_cmp_gt_i32 s0, 6
	s_cbranch_scc0 .LBB15_519
; %bb.517:
	global_load_dwordx2 v[3:4], v[1:2], off
	s_mov_b32 s1, 0
	s_waitcnt vmcnt(0)
	v_cvt_f32_f64_e32 v3, v[3:4]
	s_branch .LBB15_520
.LBB15_518:
	s_mov_b32 s1, -1
                                        ; implicit-def: $vgpr3
	s_branch .LBB15_523
.LBB15_519:
	s_mov_b32 s1, -1
                                        ; implicit-def: $vgpr3
.LBB15_520:
	s_andn2_b32 vcc_lo, exec_lo, s1
	s_cbranch_vccnz .LBB15_522
; %bb.521:
	global_load_dword v3, v[1:2], off
.LBB15_522:
	s_mov_b32 s1, 0
.LBB15_523:
	s_andn2_b32 vcc_lo, exec_lo, s1
	s_cbranch_vccnz .LBB15_525
; %bb.524:
	global_load_ushort v3, v[1:2], off
	s_waitcnt vmcnt(0)
	v_cvt_f32_f16_e32 v3, v3
.LBB15_525:
	s_mov_b32 s1, 0
.LBB15_526:
	s_andn2_b32 vcc_lo, exec_lo, s1
	s_cbranch_vccnz .LBB15_546
; %bb.527:
	s_cmp_lt_i32 s0, 2
	s_cbranch_scc1 .LBB15_531
; %bb.528:
	s_cmp_lt_i32 s0, 3
	s_cbranch_scc1 .LBB15_532
; %bb.529:
	s_cmp_gt_i32 s0, 3
	s_cbranch_scc0 .LBB15_533
; %bb.530:
	global_load_dwordx2 v[3:4], v[1:2], off
	s_mov_b32 s1, 0
	s_waitcnt vmcnt(0)
	v_xor_b32_e32 v5, v3, v4
	v_ffbh_i32_e32 v6, v4
	v_ashrrev_i32_e32 v5, 31, v5
	v_add_nc_u32_e32 v6, -1, v6
	v_add_nc_u32_e32 v5, 32, v5
	v_min_u32_e32 v5, v6, v5
	v_lshlrev_b64 v[3:4], v5, v[3:4]
	v_min_u32_e32 v3, 1, v3
	v_or_b32_e32 v3, v4, v3
	v_sub_nc_u32_e32 v4, 32, v5
	v_cvt_f32_i32_e32 v3, v3
	v_ldexp_f32 v3, v3, v4
	s_branch .LBB15_534
.LBB15_531:
	s_mov_b32 s1, -1
                                        ; implicit-def: $vgpr3
	s_branch .LBB15_540
.LBB15_532:
	s_mov_b32 s1, -1
                                        ; implicit-def: $vgpr3
	s_branch .LBB15_537
.LBB15_533:
	s_mov_b32 s1, -1
                                        ; implicit-def: $vgpr3
.LBB15_534:
	s_andn2_b32 vcc_lo, exec_lo, s1
	s_cbranch_vccnz .LBB15_536
; %bb.535:
	global_load_dword v3, v[1:2], off
	s_waitcnt vmcnt(0)
	v_cvt_f32_i32_e32 v3, v3
.LBB15_536:
	s_mov_b32 s1, 0
.LBB15_537:
	s_andn2_b32 vcc_lo, exec_lo, s1
	s_cbranch_vccnz .LBB15_539
; %bb.538:
	global_load_sshort v3, v[1:2], off
	s_waitcnt vmcnt(0)
	v_cvt_f32_i32_e32 v3, v3
.LBB15_539:
	s_mov_b32 s1, 0
.LBB15_540:
	s_andn2_b32 vcc_lo, exec_lo, s1
	s_cbranch_vccnz .LBB15_546
; %bb.541:
	s_cmp_gt_i32 s0, 0
	s_mov_b32 s0, 0
	s_cbranch_scc0 .LBB15_543
; %bb.542:
	global_load_sbyte v3, v[1:2], off
	s_waitcnt vmcnt(0)
	v_cvt_f32_i32_e32 v3, v3
	s_branch .LBB15_544
.LBB15_543:
	s_mov_b32 s0, -1
                                        ; implicit-def: $vgpr3
.LBB15_544:
	s_andn2_b32 vcc_lo, exec_lo, s0
	s_cbranch_vccnz .LBB15_546
; %bb.545:
	global_load_ubyte v1, v[1:2], off
	s_waitcnt vmcnt(0)
	v_cvt_f32_ubyte0_e32 v3, v1
.LBB15_546:
	s_branch .LBB15_298
.LBB15_547:
	s_mov_b32 s1, 0
	s_mov_b32 s0, s36
.LBB15_548:
                                        ; implicit-def: $vgpr8
.LBB15_549:
	s_andn2_b32 s23, s36, exec_lo
	s_and_b32 s0, s0, exec_lo
	s_andn2_b32 s39, s37, exec_lo
	s_and_b32 s22, s22, exec_lo
	s_or_b32 s40, s23, s0
	s_or_b32 s39, s39, s22
	s_orn2_b32 s0, s1, exec_lo
.LBB15_550:
	s_or_b32 exec_lo, exec_lo, s41
	s_mov_b32 s1, 0
	s_mov_b32 s23, 0
	;; [unrolled: 1-line block ×3, first 2 shown]
                                        ; implicit-def: $vgpr1_vgpr2
                                        ; implicit-def: $vgpr0
                                        ; implicit-def: $vgpr4
	s_and_saveexec_b32 s41, s0
	s_cbranch_execz .LBB15_930
; %bb.551:
	s_mov_b32 s44, -1
	s_mov_b32 s22, s39
	s_mov_b32 s23, s40
	s_mov_b32 s42, exec_lo
	v_cmpx_gt_i32_e64 s33, v8
	s_cbranch_execz .LBB15_829
; %bb.552:
	s_andn2_b32 vcc_lo, exec_lo, s27
	s_cbranch_vccnz .LBB15_557
; %bb.553:
	s_andn2_b32 vcc_lo, exec_lo, s34
	s_cbranch_vccnz .LBB15_558
; %bb.554:
	s_add_i32 s44, s35, 1
	s_cmp_eq_u32 s25, 2
	s_cbranch_scc1 .LBB15_559
; %bb.555:
	v_mov_b32_e32 v2, 0
	v_mov_b32_e32 v0, 0
	;; [unrolled: 1-line block ×3, first 2 shown]
	s_and_b32 s43, s44, 28
	s_mov_b32 s45, 0
	s_mov_b64 s[0:1], s[2:3]
	s_mov_b64 s[22:23], s[20:21]
.LBB15_556:                             ; =>This Inner Loop Header: Depth=1
	s_clause 0x1
	s_load_dwordx8 s[48:55], s[0:1], 0x4
	s_load_dwordx4 s[64:67], s[0:1], 0x24
	s_load_dwordx8 s[56:63], s[22:23], 0x0
	s_add_u32 s0, s0, 48
	s_addc_u32 s1, s1, 0
	s_add_i32 s45, s45, 4
	s_add_u32 s22, s22, 32
	s_addc_u32 s23, s23, 0
	s_cmp_eq_u32 s43, s45
	s_waitcnt vmcnt(0) lgkmcnt(0)
	v_mul_hi_u32 v3, s49, v1
	v_add_nc_u32_e32 v3, v1, v3
	v_lshrrev_b32_e32 v3, s50, v3
	v_mul_hi_u32 v4, s52, v3
	v_mul_lo_u32 v6, v3, s48
	v_add_nc_u32_e32 v4, v3, v4
	v_sub_nc_u32_e32 v1, v1, v6
	v_lshrrev_b32_e32 v4, s53, v4
	v_mul_lo_u32 v6, v1, s56
	v_mul_lo_u32 v9, v1, s57
	v_mul_hi_u32 v5, s55, v4
	v_add_nc_u32_e32 v5, v4, v5
	v_lshrrev_b32_e32 v5, s64, v5
	v_mul_hi_u32 v7, s66, v5
	v_mul_lo_u32 v10, v5, s54
	v_add_nc_u32_e32 v1, v5, v7
	v_mul_lo_u32 v7, v4, s51
	v_sub_nc_u32_e32 v4, v4, v10
	v_lshrrev_b32_e32 v1, s67, v1
	v_mul_lo_u32 v10, v4, s60
	v_mul_lo_u32 v4, v4, s61
	v_sub_nc_u32_e32 v3, v3, v7
	v_mul_lo_u32 v11, v1, s65
	v_mul_lo_u32 v7, v3, s58
	;; [unrolled: 1-line block ×3, first 2 shown]
	v_sub_nc_u32_e32 v5, v5, v11
	v_add3_u32 v0, v6, v0, v7
	v_mul_lo_u32 v11, v5, s62
	v_mul_lo_u32 v5, v5, s63
	v_add3_u32 v2, v9, v2, v3
	v_add3_u32 v0, v10, v0, v11
	;; [unrolled: 1-line block ×3, first 2 shown]
	s_cbranch_scc0 .LBB15_556
	s_branch .LBB15_560
.LBB15_557:
	s_mov_b32 s0, -1
                                        ; implicit-def: $vgpr0
                                        ; implicit-def: $vgpr2
	s_branch .LBB15_564
.LBB15_558:
	v_mov_b32_e32 v0, 0
	v_mov_b32_e32 v2, 0
	s_branch .LBB15_563
.LBB15_559:
	v_mov_b32_e32 v0, 0
	v_mov_b32_e32 v2, 0
	;; [unrolled: 1-line block ×3, first 2 shown]
	s_mov_b32 s43, 0
.LBB15_560:
	s_and_b32 s44, s44, 3
	s_cmp_eq_u32 s44, 0
	s_cbranch_scc1 .LBB15_563
; %bb.561:
	s_lshl_b32 s0, s43, 3
	s_mul_i32 s22, s43, 12
	s_add_u32 s0, s2, s0
	s_addc_u32 s1, s3, 0
	s_add_u32 s0, s0, 0xc4
	s_addc_u32 s1, s1, 0
	;; [unrolled: 2-line block ×3, first 2 shown]
	.p2align	6
.LBB15_562:                             ; =>This Inner Loop Header: Depth=1
	s_clause 0x1
	s_load_dwordx2 s[46:47], s[22:23], 0x4
	s_load_dword s43, s[22:23], 0xc
	s_load_dwordx2 s[48:49], s[0:1], 0x0
	s_add_u32 s22, s22, 12
	s_addc_u32 s23, s23, 0
	s_add_u32 s0, s0, 8
	s_addc_u32 s1, s1, 0
	s_add_i32 s44, s44, -1
	s_cmp_lg_u32 s44, 0
	s_waitcnt vmcnt(0) lgkmcnt(0)
	v_mul_hi_u32 v3, s47, v1
	v_add_nc_u32_e32 v3, v1, v3
	v_lshrrev_b32_e32 v4, s43, v3
	v_mul_lo_u32 v3, v4, s46
	v_sub_nc_u32_e32 v3, v1, v3
	v_mad_u64_u32 v[0:1], null, v3, s48, v[0:1]
	v_mad_u64_u32 v[2:3], null, v3, s49, v[2:3]
	v_mov_b32_e32 v1, v4
	s_cbranch_scc1 .LBB15_562
.LBB15_563:
	s_mov_b32 s0, 0
.LBB15_564:
	s_andn2_b32 vcc_lo, exec_lo, s0
	s_cbranch_vccnz .LBB15_567
; %bb.565:
	s_waitcnt lgkmcnt(0)
	v_mul_hi_u32 v0, s17, v8
	s_andn2_b32 vcc_lo, exec_lo, s31
	v_add_nc_u32_e32 v0, v8, v0
	v_lshrrev_b32_e32 v1, s18, v0
	v_mul_lo_u32 v0, v1, s16
	v_sub_nc_u32_e32 v2, v8, v0
	v_mul_lo_u32 v0, v2, s12
	v_mul_lo_u32 v2, v2, s13
	s_cbranch_vccnz .LBB15_567
; %bb.566:
	s_waitcnt vmcnt(0)
	v_mul_hi_u32 v3, s6, v1
	v_add_nc_u32_e32 v3, v1, v3
	v_lshrrev_b32_e32 v3, s7, v3
	v_mul_lo_u32 v3, v3, s19
	v_sub_nc_u32_e32 v3, v1, v3
	v_mad_u64_u32 v[0:1], null, v3, s14, v[0:1]
	v_mad_u64_u32 v[2:3], null, v3, s15, v[2:3]
.LBB15_567:
	s_waitcnt lgkmcnt(0)
	v_add_co_u32 v1, s0, s10, v2
	v_add_co_ci_u32_e64 v2, null, s11, 0, s0
	s_and_b32 s0, 0xffff, s30
	s_cmp_lt_i32 s0, 11
	s_cbranch_scc1 .LBB15_574
; %bb.568:
	s_cmp_gt_i32 s0, 25
	s_cbranch_scc0 .LBB15_575
; %bb.569:
	s_cmp_gt_i32 s0, 28
	s_cbranch_scc0 .LBB15_576
; %bb.570:
	s_cmp_gt_i32 s0, 43
	s_cbranch_scc0 .LBB15_577
; %bb.571:
	s_cmp_gt_i32 s0, 45
	s_cbranch_scc0 .LBB15_580
; %bb.572:
	s_cmp_eq_u32 s0, 46
	s_mov_b32 s23, 0
	s_cbranch_scc0 .LBB15_583
; %bb.573:
	global_load_dword v3, v[1:2], off
	s_mov_b32 s1, -1
	s_mov_b32 s22, 0
	s_waitcnt vmcnt(0)
	v_lshlrev_b32_e32 v3, 16, v3
	s_branch .LBB15_585
.LBB15_574:
	s_mov_b32 s23, -1
	s_mov_b32 s1, 0
	s_mov_b32 s22, s39
                                        ; implicit-def: $vgpr3
	s_branch .LBB15_650
.LBB15_575:
	s_mov_b32 s23, -1
	s_mov_b32 s1, 0
	s_mov_b32 s22, s39
                                        ; implicit-def: $vgpr3
	s_branch .LBB15_614
.LBB15_576:
	s_mov_b32 s23, -1
	s_mov_b32 s1, 0
	s_mov_b32 s22, s39
                                        ; implicit-def: $vgpr3
	s_branch .LBB15_595
.LBB15_577:
	s_mov_b32 s23, -1
	s_mov_b32 s1, 0
	s_mov_b32 s22, s39
                                        ; implicit-def: $vgpr3
	s_branch .LBB15_590
.LBB15_578:
	s_andn2_saveexec_b32 s42, s42
	s_cbranch_execz .LBB15_387
.LBB15_579:
	v_add_f32_e64 v3, 0x46000000, |v2|
	s_andn2_b32 s40, s40, exec_lo
	v_and_b32_e32 v3, 0xff, v3
	v_cmp_ne_u32_e32 vcc_lo, 0, v3
	s_and_b32 s43, vcc_lo, exec_lo
	s_or_b32 s40, s40, s43
	s_or_b32 exec_lo, exec_lo, s42
	v_mov_b32_e32 v4, 0
	s_and_saveexec_b32 s42, s40
	s_cbranch_execnz .LBB15_388
	s_branch .LBB15_389
.LBB15_580:
	s_mov_b32 s23, -1
	s_mov_b32 s1, 0
	s_mov_b32 s22, s39
	s_branch .LBB15_584
.LBB15_581:
	s_andn2_saveexec_b32 s42, s42
	s_cbranch_execz .LBB15_400
.LBB15_582:
	v_add_f32_e64 v3, 0x42800000, |v2|
	s_andn2_b32 s40, s40, exec_lo
	v_and_b32_e32 v3, 0xff, v3
	v_cmp_ne_u32_e32 vcc_lo, 0, v3
	s_and_b32 s43, vcc_lo, exec_lo
	s_or_b32 s40, s40, s43
	s_or_b32 exec_lo, exec_lo, s42
	v_mov_b32_e32 v4, 0
	s_and_saveexec_b32 s42, s40
	s_cbranch_execnz .LBB15_401
	s_branch .LBB15_402
.LBB15_583:
	s_mov_b32 s22, -1
	s_mov_b32 s1, 0
.LBB15_584:
                                        ; implicit-def: $vgpr3
.LBB15_585:
	s_and_b32 vcc_lo, exec_lo, s23
	s_cbranch_vccz .LBB15_589
; %bb.586:
	s_cmp_eq_u32 s0, 44
	s_cbranch_scc0 .LBB15_588
; %bb.587:
	global_load_ubyte v3, v[1:2], off
	s_mov_b32 s22, 0
	s_mov_b32 s1, -1
	s_waitcnt vmcnt(0)
	v_lshlrev_b32_e32 v4, 23, v3
	v_cmp_ne_u32_e32 vcc_lo, 0xff, v3
	v_cndmask_b32_e32 v4, 0x7f800001, v4, vcc_lo
	v_cmp_ne_u32_e32 vcc_lo, 0, v3
	v_cndmask_b32_e32 v3, 0x400000, v4, vcc_lo
	s_branch .LBB15_589
.LBB15_588:
	s_mov_b32 s22, -1
                                        ; implicit-def: $vgpr3
.LBB15_589:
	s_mov_b32 s23, 0
.LBB15_590:
	s_and_b32 vcc_lo, exec_lo, s23
	s_cbranch_vccz .LBB15_594
; %bb.591:
	s_cmp_eq_u32 s0, 29
	s_cbranch_scc0 .LBB15_593
; %bb.592:
	global_load_dwordx2 v[3:4], v[1:2], off
	s_mov_b32 s1, -1
	s_mov_b32 s22, 0
	s_mov_b32 s23, 0
	s_waitcnt vmcnt(0)
	v_ffbh_u32_e32 v5, v4
	v_min_u32_e32 v5, 32, v5
	v_lshlrev_b64 v[3:4], v5, v[3:4]
	v_min_u32_e32 v3, 1, v3
	v_or_b32_e32 v3, v4, v3
	v_sub_nc_u32_e32 v4, 32, v5
	v_cvt_f32_u32_e32 v3, v3
	v_ldexp_f32 v3, v3, v4
	s_branch .LBB15_595
.LBB15_593:
	s_mov_b32 s22, -1
                                        ; implicit-def: $vgpr3
.LBB15_594:
	s_mov_b32 s23, 0
.LBB15_595:
	s_and_b32 vcc_lo, exec_lo, s23
	s_cbranch_vccz .LBB15_613
; %bb.596:
	s_cmp_lt_i32 s0, 27
	s_cbranch_scc1 .LBB15_599
; %bb.597:
	s_cmp_gt_i32 s0, 27
	s_cbranch_scc0 .LBB15_600
; %bb.598:
	global_load_dword v3, v[1:2], off
	s_mov_b32 s1, 0
	s_waitcnt vmcnt(0)
	v_cvt_f32_u32_e32 v3, v3
	s_branch .LBB15_601
.LBB15_599:
	s_mov_b32 s1, -1
                                        ; implicit-def: $vgpr3
	s_branch .LBB15_604
.LBB15_600:
	s_mov_b32 s1, -1
                                        ; implicit-def: $vgpr3
.LBB15_601:
	s_andn2_b32 vcc_lo, exec_lo, s1
	s_cbranch_vccnz .LBB15_603
; %bb.602:
	global_load_ushort v3, v[1:2], off
	s_waitcnt vmcnt(0)
	v_cvt_f32_u32_e32 v3, v3
.LBB15_603:
	s_mov_b32 s1, 0
.LBB15_604:
	s_andn2_b32 vcc_lo, exec_lo, s1
	s_cbranch_vccnz .LBB15_612
; %bb.605:
	global_load_ubyte v4, v[1:2], off
	s_mov_b32 s1, 0
	s_mov_b32 s23, exec_lo
	s_waitcnt vmcnt(0)
	v_cmpx_lt_i16_e32 0x7f, v4
	s_xor_b32 s23, exec_lo, s23
	s_cbranch_execz .LBB15_626
; %bb.606:
	s_mov_b32 s1, -1
	s_mov_b32 s43, exec_lo
	v_cmpx_eq_u16_e32 0x80, v4
; %bb.607:
	s_xor_b32 s1, exec_lo, -1
; %bb.608:
	s_or_b32 exec_lo, exec_lo, s43
	s_and_b32 s1, s1, exec_lo
	s_or_saveexec_b32 s23, s23
	v_mov_b32_e32 v3, 0x7f800001
	s_xor_b32 exec_lo, exec_lo, s23
	s_cbranch_execnz .LBB15_627
.LBB15_609:
	s_or_b32 exec_lo, exec_lo, s23
	s_and_saveexec_b32 s23, s1
	s_cbranch_execz .LBB15_611
.LBB15_610:
	v_and_b32_e32 v3, 0xffff, v4
	v_lshlrev_b32_e32 v4, 24, v4
	v_and_b32_e32 v5, 7, v3
	v_bfe_u32 v9, v3, 3, 4
	v_and_b32_e32 v4, 0x80000000, v4
	v_ffbh_u32_e32 v6, v5
	v_cmp_eq_u32_e32 vcc_lo, 0, v9
	v_min_u32_e32 v6, 32, v6
	v_subrev_nc_u32_e32 v7, 28, v6
	v_sub_nc_u32_e32 v6, 29, v6
	v_lshlrev_b32_e32 v3, v7, v3
	v_cndmask_b32_e32 v6, v9, v6, vcc_lo
	v_and_b32_e32 v3, 7, v3
	v_cndmask_b32_e32 v3, v5, v3, vcc_lo
	v_lshl_add_u32 v5, v6, 23, 0x3b800000
	v_lshlrev_b32_e32 v3, 20, v3
	v_or3_b32 v3, v4, v5, v3
.LBB15_611:
	s_or_b32 exec_lo, exec_lo, s23
.LBB15_612:
	s_mov_b32 s1, -1
.LBB15_613:
	s_mov_b32 s23, 0
.LBB15_614:
	s_and_b32 vcc_lo, exec_lo, s23
	s_cbranch_vccz .LBB15_649
; %bb.615:
	s_cmp_gt_i32 s0, 22
	s_cbranch_scc0 .LBB15_625
; %bb.616:
	s_cmp_lt_i32 s0, 24
	s_cbranch_scc1 .LBB15_628
; %bb.617:
	s_cmp_gt_i32 s0, 24
	s_cbranch_scc0 .LBB15_629
; %bb.618:
	global_load_ubyte v4, v[1:2], off
	s_mov_b32 s1, 0
	s_mov_b32 s23, exec_lo
	s_waitcnt vmcnt(0)
	v_cmpx_lt_i16_e32 0x7f, v4
	s_xor_b32 s23, exec_lo, s23
	s_cbranch_execz .LBB15_641
; %bb.619:
	s_mov_b32 s1, -1
	s_mov_b32 s43, exec_lo
	v_cmpx_eq_u16_e32 0x80, v4
; %bb.620:
	s_xor_b32 s1, exec_lo, -1
; %bb.621:
	s_or_b32 exec_lo, exec_lo, s43
	s_and_b32 s1, s1, exec_lo
	s_or_saveexec_b32 s23, s23
	v_mov_b32_e32 v3, 0x7f800001
	s_xor_b32 exec_lo, exec_lo, s23
	s_cbranch_execnz .LBB15_642
.LBB15_622:
	s_or_b32 exec_lo, exec_lo, s23
	s_and_saveexec_b32 s23, s1
	s_cbranch_execz .LBB15_624
.LBB15_623:
	v_and_b32_e32 v3, 0xffff, v4
	v_lshlrev_b32_e32 v4, 24, v4
	v_and_b32_e32 v5, 3, v3
	v_bfe_u32 v9, v3, 2, 5
	v_and_b32_e32 v4, 0x80000000, v4
	v_ffbh_u32_e32 v6, v5
	v_cmp_eq_u32_e32 vcc_lo, 0, v9
	v_min_u32_e32 v6, 32, v6
	v_subrev_nc_u32_e32 v7, 29, v6
	v_sub_nc_u32_e32 v6, 30, v6
	v_lshlrev_b32_e32 v3, v7, v3
	v_cndmask_b32_e32 v6, v9, v6, vcc_lo
	v_and_b32_e32 v3, 3, v3
	v_cndmask_b32_e32 v3, v5, v3, vcc_lo
	v_lshl_add_u32 v5, v6, 23, 0x37800000
	v_lshlrev_b32_e32 v3, 21, v3
	v_or3_b32 v3, v4, v5, v3
.LBB15_624:
	s_or_b32 exec_lo, exec_lo, s23
	s_mov_b32 s1, 0
	s_branch .LBB15_630
.LBB15_625:
	s_mov_b32 s23, -1
                                        ; implicit-def: $vgpr3
	s_branch .LBB15_636
.LBB15_626:
	s_or_saveexec_b32 s23, s23
	v_mov_b32_e32 v3, 0x7f800001
	s_xor_b32 exec_lo, exec_lo, s23
	s_cbranch_execz .LBB15_609
.LBB15_627:
	v_cmp_ne_u16_e32 vcc_lo, 0, v4
	v_mov_b32_e32 v3, 0
	s_andn2_b32 s1, s1, exec_lo
	s_and_b32 s43, vcc_lo, exec_lo
	s_or_b32 s1, s1, s43
	s_or_b32 exec_lo, exec_lo, s23
	s_and_saveexec_b32 s23, s1
	s_cbranch_execnz .LBB15_610
	s_branch .LBB15_611
.LBB15_628:
	s_mov_b32 s1, -1
                                        ; implicit-def: $vgpr3
	s_branch .LBB15_633
.LBB15_629:
	s_mov_b32 s1, -1
                                        ; implicit-def: $vgpr3
.LBB15_630:
	s_and_b32 vcc_lo, exec_lo, s1
	s_cbranch_vccz .LBB15_632
; %bb.631:
	global_load_ubyte v3, v[1:2], off
	s_waitcnt vmcnt(0)
	v_lshlrev_b32_e32 v3, 24, v3
	v_and_b32_e32 v4, 0x7f000000, v3
	v_ffbh_u32_e32 v5, v4
	v_add_nc_u32_e32 v7, 0x1000000, v4
	v_cmp_ne_u32_e32 vcc_lo, 0, v4
	v_min_u32_e32 v5, 32, v5
	v_sub_nc_u32_e64 v5, v5, 4 clamp
	v_lshlrev_b32_e32 v6, v5, v4
	v_lshlrev_b32_e32 v5, 23, v5
	v_lshrrev_b32_e32 v6, 4, v6
	v_sub_nc_u32_e32 v5, v6, v5
	v_ashrrev_i32_e32 v6, 8, v7
	v_add_nc_u32_e32 v5, 0x3c000000, v5
	v_and_or_b32 v5, 0x7f800000, v6, v5
	v_cndmask_b32_e32 v4, 0, v5, vcc_lo
	v_and_or_b32 v3, 0x80000000, v3, v4
.LBB15_632:
	s_mov_b32 s1, 0
.LBB15_633:
	s_andn2_b32 vcc_lo, exec_lo, s1
	s_cbranch_vccnz .LBB15_635
; %bb.634:
	global_load_ubyte v3, v[1:2], off
	s_waitcnt vmcnt(0)
	v_lshlrev_b32_e32 v4, 25, v3
	v_lshlrev_b16 v3, 8, v3
	v_lshrrev_b32_e32 v5, 4, v4
	v_and_or_b32 v6, 0x7f00, v3, 0.5
	v_cmp_gt_u32_e32 vcc_lo, 0x8000000, v4
	v_bfe_i32 v3, v3, 0, 16
	v_or_b32_e32 v5, 0x70000000, v5
	v_add_f32_e32 v6, -0.5, v6
	v_mul_f32_e32 v5, 0x7800000, v5
	v_cndmask_b32_e32 v4, v5, v6, vcc_lo
	v_and_or_b32 v3, 0x80000000, v3, v4
.LBB15_635:
	s_mov_b32 s23, 0
	s_mov_b32 s1, -1
.LBB15_636:
	s_andn2_b32 vcc_lo, exec_lo, s23
	s_cbranch_vccnz .LBB15_649
; %bb.637:
	s_cmp_gt_i32 s0, 14
	s_cbranch_scc0 .LBB15_640
; %bb.638:
	s_cmp_eq_u32 s0, 15
	s_cbranch_scc0 .LBB15_643
; %bb.639:
	global_load_ushort v3, v[1:2], off
	s_mov_b32 s1, -1
	s_mov_b32 s22, 0
	s_waitcnt vmcnt(0)
	v_lshlrev_b32_e32 v3, 16, v3
	s_branch .LBB15_644
.LBB15_640:
	s_mov_b32 s23, -1
                                        ; implicit-def: $vgpr3
	s_branch .LBB15_645
.LBB15_641:
	s_or_saveexec_b32 s23, s23
	v_mov_b32_e32 v3, 0x7f800001
	s_xor_b32 exec_lo, exec_lo, s23
	s_cbranch_execz .LBB15_622
.LBB15_642:
	v_cmp_ne_u16_e32 vcc_lo, 0, v4
	v_mov_b32_e32 v3, 0
	s_andn2_b32 s1, s1, exec_lo
	s_and_b32 s43, vcc_lo, exec_lo
	s_or_b32 s1, s1, s43
	s_or_b32 exec_lo, exec_lo, s23
	s_and_saveexec_b32 s23, s1
	s_cbranch_execnz .LBB15_623
	s_branch .LBB15_624
.LBB15_643:
	s_mov_b32 s22, -1
                                        ; implicit-def: $vgpr3
.LBB15_644:
	s_mov_b32 s23, 0
.LBB15_645:
	s_and_b32 vcc_lo, exec_lo, s23
	s_cbranch_vccz .LBB15_649
; %bb.646:
	s_cmp_eq_u32 s0, 11
	s_cbranch_scc0 .LBB15_648
; %bb.647:
	global_load_ubyte v3, v[1:2], off
	s_mov_b32 s22, 0
	s_mov_b32 s1, -1
	s_waitcnt vmcnt(0)
	v_cmp_ne_u16_e32 vcc_lo, 0, v3
	v_cndmask_b32_e64 v3, 0, 1.0, vcc_lo
	s_branch .LBB15_649
.LBB15_648:
	s_mov_b32 s22, -1
                                        ; implicit-def: $vgpr3
.LBB15_649:
	s_mov_b32 s23, 0
.LBB15_650:
	s_and_b32 vcc_lo, exec_lo, s23
	s_cbranch_vccz .LBB15_699
; %bb.651:
	s_cmp_lt_i32 s0, 5
	s_cbranch_scc1 .LBB15_656
; %bb.652:
	s_cmp_lt_i32 s0, 8
	s_cbranch_scc1 .LBB15_657
	;; [unrolled: 3-line block ×3, first 2 shown]
; %bb.654:
	s_cmp_gt_i32 s0, 9
	s_cbranch_scc0 .LBB15_659
; %bb.655:
	global_load_dwordx2 v[3:4], v[1:2], off
	s_mov_b32 s1, 0
	s_waitcnt vmcnt(0)
	v_cvt_f32_f64_e32 v3, v[3:4]
	s_branch .LBB15_660
.LBB15_656:
	s_mov_b32 s1, -1
                                        ; implicit-def: $vgpr3
	s_branch .LBB15_678
.LBB15_657:
	s_mov_b32 s1, -1
                                        ; implicit-def: $vgpr3
	s_branch .LBB15_666
.LBB15_658:
	s_mov_b32 s1, -1
                                        ; implicit-def: $vgpr3
	s_branch .LBB15_663
.LBB15_659:
	s_mov_b32 s1, -1
                                        ; implicit-def: $vgpr3
.LBB15_660:
	s_andn2_b32 vcc_lo, exec_lo, s1
	s_cbranch_vccnz .LBB15_662
; %bb.661:
	global_load_dword v3, v[1:2], off
.LBB15_662:
	s_mov_b32 s1, 0
.LBB15_663:
	s_andn2_b32 vcc_lo, exec_lo, s1
	s_cbranch_vccnz .LBB15_665
; %bb.664:
	global_load_dword v3, v[1:2], off
	s_waitcnt vmcnt(0)
	v_cvt_f32_f16_e32 v3, v3
.LBB15_665:
	s_mov_b32 s1, 0
.LBB15_666:
	s_andn2_b32 vcc_lo, exec_lo, s1
	s_cbranch_vccnz .LBB15_677
; %bb.667:
	s_cmp_lt_i32 s0, 6
	s_cbranch_scc1 .LBB15_670
; %bb.668:
	s_cmp_gt_i32 s0, 6
	s_cbranch_scc0 .LBB15_671
; %bb.669:
	global_load_dwordx2 v[3:4], v[1:2], off
	s_mov_b32 s1, 0
	s_waitcnt vmcnt(0)
	v_cvt_f32_f64_e32 v3, v[3:4]
	s_branch .LBB15_672
.LBB15_670:
	s_mov_b32 s1, -1
                                        ; implicit-def: $vgpr3
	s_branch .LBB15_675
.LBB15_671:
	s_mov_b32 s1, -1
                                        ; implicit-def: $vgpr3
.LBB15_672:
	s_andn2_b32 vcc_lo, exec_lo, s1
	s_cbranch_vccnz .LBB15_674
; %bb.673:
	global_load_dword v3, v[1:2], off
.LBB15_674:
	s_mov_b32 s1, 0
.LBB15_675:
	s_andn2_b32 vcc_lo, exec_lo, s1
	s_cbranch_vccnz .LBB15_677
; %bb.676:
	global_load_ushort v3, v[1:2], off
	s_waitcnt vmcnt(0)
	v_cvt_f32_f16_e32 v3, v3
.LBB15_677:
	s_mov_b32 s1, 0
.LBB15_678:
	s_andn2_b32 vcc_lo, exec_lo, s1
	s_cbranch_vccnz .LBB15_698
; %bb.679:
	s_cmp_lt_i32 s0, 2
	s_cbranch_scc1 .LBB15_683
; %bb.680:
	s_cmp_lt_i32 s0, 3
	s_cbranch_scc1 .LBB15_684
; %bb.681:
	s_cmp_gt_i32 s0, 3
	s_cbranch_scc0 .LBB15_685
; %bb.682:
	global_load_dwordx2 v[3:4], v[1:2], off
	s_mov_b32 s1, 0
	s_waitcnt vmcnt(0)
	v_xor_b32_e32 v5, v3, v4
	v_ffbh_i32_e32 v6, v4
	v_ashrrev_i32_e32 v5, 31, v5
	v_add_nc_u32_e32 v6, -1, v6
	v_add_nc_u32_e32 v5, 32, v5
	v_min_u32_e32 v5, v6, v5
	v_lshlrev_b64 v[3:4], v5, v[3:4]
	v_min_u32_e32 v3, 1, v3
	v_or_b32_e32 v3, v4, v3
	v_sub_nc_u32_e32 v4, 32, v5
	v_cvt_f32_i32_e32 v3, v3
	v_ldexp_f32 v3, v3, v4
	s_branch .LBB15_686
.LBB15_683:
	s_mov_b32 s1, -1
                                        ; implicit-def: $vgpr3
	s_branch .LBB15_692
.LBB15_684:
	s_mov_b32 s1, -1
                                        ; implicit-def: $vgpr3
	s_branch .LBB15_689
.LBB15_685:
	s_mov_b32 s1, -1
                                        ; implicit-def: $vgpr3
.LBB15_686:
	s_andn2_b32 vcc_lo, exec_lo, s1
	s_cbranch_vccnz .LBB15_688
; %bb.687:
	global_load_dword v3, v[1:2], off
	s_waitcnt vmcnt(0)
	v_cvt_f32_i32_e32 v3, v3
.LBB15_688:
	s_mov_b32 s1, 0
.LBB15_689:
	s_andn2_b32 vcc_lo, exec_lo, s1
	s_cbranch_vccnz .LBB15_691
; %bb.690:
	global_load_sshort v3, v[1:2], off
	s_waitcnt vmcnt(0)
	v_cvt_f32_i32_e32 v3, v3
.LBB15_691:
	s_mov_b32 s1, 0
.LBB15_692:
	s_andn2_b32 vcc_lo, exec_lo, s1
	s_cbranch_vccnz .LBB15_698
; %bb.693:
	s_cmp_gt_i32 s0, 0
	s_mov_b32 s0, 0
	s_cbranch_scc0 .LBB15_695
; %bb.694:
	global_load_sbyte v3, v[1:2], off
	s_waitcnt vmcnt(0)
	v_cvt_f32_i32_e32 v3, v3
	s_branch .LBB15_696
.LBB15_695:
	s_mov_b32 s0, -1
                                        ; implicit-def: $vgpr3
.LBB15_696:
	s_andn2_b32 vcc_lo, exec_lo, s0
	s_cbranch_vccnz .LBB15_698
; %bb.697:
	global_load_ubyte v1, v[1:2], off
	s_waitcnt vmcnt(0)
	v_cvt_f32_ubyte0_e32 v3, v1
.LBB15_698:
	s_mov_b32 s1, -1
.LBB15_699:
	s_andn2_b32 vcc_lo, exec_lo, s1
	s_cbranch_vccnz .LBB15_711
; %bb.700:
	s_waitcnt vmcnt(0)
	v_and_b32_e32 v1, 0x7fffffff, v3
                                        ; implicit-def: $vgpr4
                                        ; implicit-def: $vgpr2
	s_mov_b32 s1, exec_lo
	v_cmpx_ngt_f32_e64 0x48000000, |v3|
	s_xor_b32 s23, exec_lo, s1
	s_cbranch_execz .LBB15_702
; %bb.701:
	s_mov_b32 s0, 0x7fffff
	v_mov_b32_e32 v6, 0
	v_and_or_b32 v2, v1, s0, 0x800000
	v_lshrrev_b32_e32 v7, 23, v1
	v_mad_u64_u32 v[4:5], null, 0xfe5163ab, v2, 0
	v_add_nc_u32_e32 v7, 0xffffff88, v7
	v_cmp_lt_u32_e32 vcc_lo, 63, v7
	v_mad_u64_u32 v[9:10], null, 0x3c439041, v2, v[5:6]
	v_cndmask_b32_e64 v14, 0, 0xffffffc0, vcc_lo
	v_mov_b32_e32 v5, v10
	v_add_nc_u32_e32 v7, v14, v7
	v_mad_u64_u32 v[10:11], null, 0xdb629599, v2, v[5:6]
	v_cmp_lt_u32_e64 s0, 31, v7
	v_cndmask_b32_e64 v15, 0, 0xffffffe0, s0
	v_mov_b32_e32 v5, v11
	v_cndmask_b32_e32 v4, v10, v4, vcc_lo
	v_add_nc_u32_e32 v7, v15, v7
	v_mad_u64_u32 v[11:12], null, 0xf534ddc0, v2, v[5:6]
	v_cmp_lt_u32_e64 s1, 31, v7
	v_mov_b32_e32 v5, v12
	v_mad_u64_u32 v[12:13], null, 0xfc2757d1, v2, v[5:6]
	v_mov_b32_e32 v5, v13
	v_mad_u64_u32 v[13:14], null, 0x4e441529, v2, v[5:6]
	v_mov_b32_e32 v5, v14
	v_cndmask_b32_e32 v14, v13, v11, vcc_lo
	v_mad_u64_u32 v[5:6], null, 0xa2f9836e, v2, v[5:6]
	v_cndmask_b32_e64 v2, 0, 0xffffffe0, s1
	v_add_nc_u32_e32 v2, v2, v7
	v_cndmask_b32_e32 v5, v5, v12, vcc_lo
	v_cndmask_b32_e32 v6, v6, v13, vcc_lo
	;; [unrolled: 1-line block ×4, first 2 shown]
	v_sub_nc_u32_e32 v11, 32, v2
	v_cndmask_b32_e64 v9, v5, v14, s0
	v_cndmask_b32_e64 v5, v6, v5, s0
	;; [unrolled: 1-line block ×4, first 2 shown]
	v_cmp_eq_u32_e32 vcc_lo, 0, v2
	v_cndmask_b32_e64 v4, v7, v4, s0
	v_cndmask_b32_e64 v5, v5, v9, s1
	;; [unrolled: 1-line block ×5, first 2 shown]
	v_alignbit_b32 v13, v5, v9, v11
	v_alignbit_b32 v10, v9, v6, v11
	;; [unrolled: 1-line block ×3, first 2 shown]
	v_cndmask_b32_e32 v2, v13, v5, vcc_lo
	v_cndmask_b32_e32 v5, v10, v9, vcc_lo
	;; [unrolled: 1-line block ×3, first 2 shown]
	v_bfe_u32 v7, v2, 29, 1
	v_alignbit_b32 v9, v2, v5, 30
	v_alignbit_b32 v5, v5, v6, 30
	;; [unrolled: 1-line block ×3, first 2 shown]
	v_sub_nc_u32_e32 v10, 0, v7
	v_xor_b32_e32 v9, v9, v10
	v_xor_b32_e32 v5, v5, v10
	;; [unrolled: 1-line block ×3, first 2 shown]
	v_lshrrev_b32_e32 v10, 29, v2
	v_ffbh_u32_e32 v11, v9
	v_min_u32_e32 v11, 32, v11
	v_sub_nc_u32_e32 v6, 31, v11
	v_lshlrev_b32_e32 v12, 23, v11
	v_alignbit_b32 v9, v9, v5, v6
	v_alignbit_b32 v4, v5, v4, v6
	v_lshlrev_b32_e32 v5, 31, v10
	v_alignbit_b32 v6, v9, v4, 9
	v_or_b32_e32 v10, 0.5, v5
	v_lshrrev_b32_e32 v9, 9, v9
	v_or_b32_e32 v5, 0x33000000, v5
	v_ffbh_u32_e32 v13, v6
	v_sub_nc_u32_e32 v10, v10, v12
	v_min_u32_e32 v12, 32, v13
	v_or_b32_e32 v9, v9, v10
	v_not_b32_e32 v10, v12
	v_mul_f32_e32 v13, 0x3fc90fda, v9
	v_add_lshl_u32 v11, v12, v11, 23
	v_alignbit_b32 v4, v6, v4, v10
	v_fma_f32 v6, 0x3fc90fda, v9, -v13
	v_sub_nc_u32_e32 v5, v5, v11
	v_lshrrev_b32_e32 v4, 9, v4
	v_fmamk_f32 v6, v9, 0x33a22168, v6
	v_or_b32_e32 v4, v5, v4
	v_fmac_f32_e32 v6, 0x3fc90fda, v4
	v_lshrrev_b32_e32 v4, 30, v2
	v_add_f32_e32 v2, v13, v6
	v_add_nc_u32_e32 v4, v7, v4
.LBB15_702:
	s_andn2_saveexec_b32 s0, s23
; %bb.703:
	v_mul_f32_e64 v2, 0x3f22f983, |v3|
	v_rndne_f32_e32 v4, v2
	v_fma_f32 v2, 0xbfc90fda, v4, |v3|
	v_fmamk_f32 v2, v4, 0xb3a22168, v2
	v_fmamk_f32 v2, v4, 0xa7c234c4, v2
	v_cvt_i32_f32_e32 v4, v4
; %bb.704:
	s_or_b32 exec_lo, exec_lo, s0
	v_mul_f32_e32 v5, v2, v2
	s_mov_b32 s0, 0xb94c1982
	s_mov_b32 s1, 0x37d75334
	v_and_b32_e32 v9, 1, v4
	v_lshlrev_b32_e32 v4, 30, v4
	v_fmaak_f32 v6, s0, v5, 0x3c0881c4
	v_fmaak_f32 v7, s1, v5, 0xbab64f3b
	v_xor_b32_e32 v1, v1, v3
	v_cmp_eq_u32_e32 vcc_lo, 0, v9
	v_and_b32_e32 v4, 0x80000000, v4
	v_fmaak_f32 v6, v5, v6, 0xbe2aaa9d
	v_fmaak_f32 v7, v5, v7, 0x3d2aabf7
	v_add_co_u32 v0, s0, s8, v0
	s_and_b32 s1, s29, 0xff
	v_mul_f32_e32 v6, v5, v6
	v_fmaak_f32 v7, v5, v7, 0xbf000004
	s_mov_b32 s43, 0
	s_mov_b32 s23, -1
	s_cmp_lt_i32 s1, 11
	v_fmac_f32_e32 v2, v2, v6
	v_fma_f32 v5, v5, v7, 1.0
	v_cndmask_b32_e32 v2, v5, v2, vcc_lo
	v_cmp_class_f32_e64 vcc_lo, v3, 0x1f8
	v_xor3_b32 v2, v1, v4, v2
	v_add_co_ci_u32_e64 v1, null, s9, 0, s0
	s_mov_b32 s0, s40
	v_cndmask_b32_e32 v2, 0x7fc00000, v2, vcc_lo
	s_cbranch_scc1 .LBB15_712
; %bb.705:
	s_and_b32 s23, 0xffff, s1
	s_cmp_gt_i32 s23, 25
	s_cbranch_scc0 .LBB15_753
; %bb.706:
	s_cmp_gt_i32 s23, 28
	s_cbranch_scc0 .LBB15_754
; %bb.707:
	s_cmp_gt_i32 s23, 43
	s_cbranch_scc0 .LBB15_755
; %bb.708:
	s_cmp_gt_i32 s23, 45
	s_cbranch_scc0 .LBB15_756
; %bb.709:
	s_mov_b32 s44, 0
	s_mov_b32 s0, -1
	s_cmp_eq_u32 s23, 46
	s_cbranch_scc0 .LBB15_757
; %bb.710:
	v_bfe_u32 v3, v2, 16, 1
	v_cmp_o_f32_e32 vcc_lo, v2, v2
	v_mov_b32_e32 v4, 0x7fc0
	s_mov_b32 s43, -1
	s_mov_b32 s0, 0
	v_add3_u32 v3, v2, v3, 0x7fff
	v_cndmask_b32_sdwa v3, v4, v3, vcc_lo dst_sel:DWORD dst_unused:UNUSED_PAD src0_sel:DWORD src1_sel:WORD_1
	global_store_dword v[0:1], v3, off
	s_branch .LBB15_757
.LBB15_711:
	s_mov_b32 s1, 0
	s_mov_b32 s0, s40
	s_branch .LBB15_752
.LBB15_712:
	s_and_b32 vcc_lo, exec_lo, s23
	s_cbranch_vccz .LBB15_826
; %bb.713:
	s_and_b32 s1, 0xffff, s1
	s_mov_b32 s23, -1
	s_cmp_lt_i32 s1, 5
	s_cbranch_scc1 .LBB15_734
; %bb.714:
	s_cmp_lt_i32 s1, 8
	s_cbranch_scc1 .LBB15_724
; %bb.715:
	;; [unrolled: 3-line block ×3, first 2 shown]
	s_cmp_gt_i32 s1, 9
	s_cbranch_scc0 .LBB15_718
; %bb.717:
	v_cvt_f64_f32_e32 v[3:4], v2
	v_mov_b32_e32 v5, 0
	s_mov_b32 s23, 0
	v_mov_b32_e32 v6, v5
	global_store_dwordx4 v[0:1], v[3:6], off
.LBB15_718:
	s_andn2_b32 vcc_lo, exec_lo, s23
	s_cbranch_vccnz .LBB15_720
; %bb.719:
	v_mov_b32_e32 v3, 0
	global_store_dwordx2 v[0:1], v[2:3], off
.LBB15_720:
	s_mov_b32 s23, 0
.LBB15_721:
	s_andn2_b32 vcc_lo, exec_lo, s23
	s_cbranch_vccnz .LBB15_723
; %bb.722:
	v_cvt_f16_f32_e32 v3, v2
	v_and_b32_e32 v3, 0xffff, v3
	global_store_dword v[0:1], v3, off
.LBB15_723:
	s_mov_b32 s23, 0
.LBB15_724:
	s_andn2_b32 vcc_lo, exec_lo, s23
	s_cbranch_vccnz .LBB15_733
; %bb.725:
	s_cmp_lt_i32 s1, 6
	s_mov_b32 s23, -1
	s_cbranch_scc1 .LBB15_731
; %bb.726:
	s_cmp_gt_i32 s1, 6
	s_cbranch_scc0 .LBB15_728
; %bb.727:
	v_cvt_f64_f32_e32 v[3:4], v2
	s_mov_b32 s23, 0
	global_store_dwordx2 v[0:1], v[3:4], off
.LBB15_728:
	s_andn2_b32 vcc_lo, exec_lo, s23
	s_cbranch_vccnz .LBB15_730
; %bb.729:
	global_store_dword v[0:1], v2, off
.LBB15_730:
	s_mov_b32 s23, 0
.LBB15_731:
	s_andn2_b32 vcc_lo, exec_lo, s23
	s_cbranch_vccnz .LBB15_733
; %bb.732:
	v_cvt_f16_f32_e32 v3, v2
	global_store_short v[0:1], v3, off
.LBB15_733:
	s_mov_b32 s23, 0
.LBB15_734:
	s_andn2_b32 vcc_lo, exec_lo, s23
	s_cbranch_vccnz .LBB15_750
; %bb.735:
	s_cmp_lt_i32 s1, 2
	s_mov_b32 s23, -1
	s_cbranch_scc1 .LBB15_745
; %bb.736:
	s_cmp_lt_i32 s1, 3
	s_cbranch_scc1 .LBB15_742
; %bb.737:
	s_cmp_gt_i32 s1, 3
	s_cbranch_scc0 .LBB15_739
; %bb.738:
	v_trunc_f32_e32 v3, v2
	s_mov_b32 s23, 0
	v_mul_f32_e64 v4, 0x2f800000, |v3|
	v_ashrrev_i32_e32 v6, 31, v3
	v_floor_f32_e32 v4, v4
	v_fma_f32 v5, 0xcf800000, v4, |v3|
	v_cvt_u32_f32_e32 v4, v4
	v_cvt_u32_f32_e32 v3, v5
	v_xor_b32_e32 v4, v4, v6
	v_xor_b32_e32 v3, v3, v6
	v_sub_co_u32 v3, vcc_lo, v3, v6
	v_sub_co_ci_u32_e64 v4, null, v4, v6, vcc_lo
	global_store_dwordx2 v[0:1], v[3:4], off
.LBB15_739:
	s_andn2_b32 vcc_lo, exec_lo, s23
	s_cbranch_vccnz .LBB15_741
; %bb.740:
	v_cvt_i32_f32_e32 v3, v2
	global_store_dword v[0:1], v3, off
.LBB15_741:
	s_mov_b32 s23, 0
.LBB15_742:
	s_andn2_b32 vcc_lo, exec_lo, s23
	s_cbranch_vccnz .LBB15_744
; %bb.743:
	v_cvt_i32_f32_e32 v3, v2
	global_store_short v[0:1], v3, off
.LBB15_744:
	s_mov_b32 s23, 0
.LBB15_745:
	s_andn2_b32 vcc_lo, exec_lo, s23
	s_cbranch_vccnz .LBB15_750
; %bb.746:
	s_cmp_gt_i32 s1, 0
	s_mov_b32 s1, -1
	s_cbranch_scc0 .LBB15_748
; %bb.747:
	v_cvt_i32_f32_e32 v3, v2
	s_mov_b32 s1, 0
	global_store_byte v[0:1], v3, off
.LBB15_748:
	s_andn2_b32 vcc_lo, exec_lo, s1
	s_cbranch_vccnz .LBB15_750
; %bb.749:
	v_trunc_f32_e32 v2, v2
	v_mul_f32_e64 v3, 0x2f800000, |v2|
	v_floor_f32_e32 v3, v3
	v_fma_f32 v3, 0xcf800000, v3, |v2|
	v_ashrrev_i32_e32 v2, 31, v2
	v_cvt_u32_f32_e32 v3, v3
	v_xor_b32_e32 v3, v3, v2
	v_sub_nc_u32_e32 v2, v3, v2
	global_store_byte v[0:1], v2, off
.LBB15_750:
	s_branch .LBB15_827
.LBB15_751:
	s_mov_b32 s1, 0
.LBB15_752:
                                        ; implicit-def: $vgpr8
	s_branch .LBB15_828
.LBB15_753:
	s_mov_b32 s44, -1
	s_mov_b32 s0, s40
	s_branch .LBB15_784
.LBB15_754:
	s_mov_b32 s44, -1
	s_mov_b32 s0, s40
	s_branch .LBB15_767
.LBB15_755:
	s_mov_b32 s44, -1
	s_mov_b32 s0, s40
	s_branch .LBB15_763
.LBB15_756:
	s_mov_b32 s44, -1
	s_mov_b32 s0, s40
.LBB15_757:
	s_and_b32 vcc_lo, exec_lo, s44
	s_cbranch_vccz .LBB15_762
; %bb.758:
	s_cmp_eq_u32 s23, 44
	s_mov_b32 s0, -1
	s_cbranch_scc0 .LBB15_762
; %bb.759:
	v_bfe_u32 v4, v2, 23, 8
	v_mov_b32_e32 v3, 0xff
	s_mov_b32 s43, exec_lo
	v_cmpx_ne_u32_e32 0xff, v4
	s_cbranch_execz .LBB15_761
; %bb.760:
	v_and_b32_e32 v3, 0x400000, v2
	v_and_or_b32 v4, 0x3fffff, v2, v4
	v_cmp_ne_u32_e32 vcc_lo, 0, v3
	v_cmp_ne_u32_e64 s0, 0, v4
	v_lshrrev_b32_e32 v3, 23, v2
	s_and_b32 s0, vcc_lo, s0
	v_cndmask_b32_e64 v4, 0, 1, s0
	v_add_nc_u32_e32 v3, v3, v4
.LBB15_761:
	s_or_b32 exec_lo, exec_lo, s43
	s_mov_b32 s43, -1
	s_mov_b32 s0, 0
	global_store_byte v[0:1], v3, off
.LBB15_762:
	s_mov_b32 s44, 0
.LBB15_763:
	s_and_b32 vcc_lo, exec_lo, s44
	s_cbranch_vccz .LBB15_766
; %bb.764:
	s_cmp_eq_u32 s23, 29
	s_mov_b32 s0, -1
	s_cbranch_scc0 .LBB15_766
; %bb.765:
	v_trunc_f32_e32 v3, v2
	s_mov_b32 s43, -1
	s_mov_b32 s0, 0
	s_mov_b32 s44, 0
	v_mul_f32_e32 v4, 0x2f800000, v3
	v_floor_f32_e32 v4, v4
	v_fmamk_f32 v3, v4, 0xcf800000, v3
	v_cvt_u32_f32_e32 v4, v4
	v_cvt_u32_f32_e32 v3, v3
	global_store_dwordx2 v[0:1], v[3:4], off
	s_branch .LBB15_767
.LBB15_766:
	s_mov_b32 s44, 0
.LBB15_767:
	s_and_b32 vcc_lo, exec_lo, s44
	s_cbranch_vccz .LBB15_783
; %bb.768:
	s_cmp_lt_i32 s23, 27
	s_mov_b32 s43, -1
	s_cbranch_scc1 .LBB15_774
; %bb.769:
	v_cvt_u32_f32_e32 v3, v2
	s_cmp_gt_i32 s23, 27
	s_cbranch_scc0 .LBB15_771
; %bb.770:
	s_mov_b32 s43, 0
	global_store_dword v[0:1], v3, off
.LBB15_771:
	s_andn2_b32 vcc_lo, exec_lo, s43
	s_cbranch_vccnz .LBB15_773
; %bb.772:
	global_store_short v[0:1], v3, off
.LBB15_773:
	s_mov_b32 s43, 0
.LBB15_774:
	s_andn2_b32 vcc_lo, exec_lo, s43
	s_cbranch_vccnz .LBB15_782
; %bb.775:
	v_and_b32_e32 v3, 0x7fffffff, v2
	v_mov_b32_e32 v4, 0x80
	s_mov_b32 s43, exec_lo
	v_cmpx_gt_u32_e32 0x43800000, v3
	s_cbranch_execz .LBB15_781
; %bb.776:
	v_cmp_lt_u32_e32 vcc_lo, 0x3bffffff, v3
	s_mov_b32 s44, 0
                                        ; implicit-def: $vgpr3
	s_and_saveexec_b32 s45, vcc_lo
	s_xor_b32 s45, exec_lo, s45
	s_cbranch_execz .LBB15_857
; %bb.777:
	v_bfe_u32 v3, v2, 20, 1
	s_mov_b32 s44, exec_lo
	v_add3_u32 v3, v2, v3, 0x487ffff
	v_lshrrev_b32_e32 v3, 20, v3
	s_andn2_saveexec_b32 s45, s45
	s_cbranch_execnz .LBB15_858
.LBB15_778:
	s_or_b32 exec_lo, exec_lo, s45
	v_mov_b32_e32 v4, 0
	s_and_saveexec_b32 s45, s44
.LBB15_779:
	v_lshrrev_b32_e32 v4, 24, v2
	v_and_or_b32 v4, 0x80, v4, v3
.LBB15_780:
	s_or_b32 exec_lo, exec_lo, s45
.LBB15_781:
	s_or_b32 exec_lo, exec_lo, s43
	global_store_byte v[0:1], v4, off
.LBB15_782:
	s_mov_b32 s43, -1
.LBB15_783:
	s_mov_b32 s44, 0
.LBB15_784:
	s_and_b32 vcc_lo, exec_lo, s44
	s_cbranch_vccz .LBB15_825
; %bb.785:
	s_cmp_gt_i32 s23, 22
	s_mov_b32 s44, -1
	s_cbranch_scc0 .LBB15_817
; %bb.786:
	s_cmp_lt_i32 s23, 24
	s_mov_b32 s43, -1
	s_cbranch_scc1 .LBB15_806
; %bb.787:
	s_cmp_gt_i32 s23, 24
	s_cbranch_scc0 .LBB15_795
; %bb.788:
	v_and_b32_e32 v3, 0x7fffffff, v2
	v_mov_b32_e32 v4, 0x80
	s_mov_b32 s43, exec_lo
	v_cmpx_gt_u32_e32 0x47800000, v3
	s_cbranch_execz .LBB15_794
; %bb.789:
	v_cmp_lt_u32_e32 vcc_lo, 0x37ffffff, v3
	s_mov_b32 s44, 0
                                        ; implicit-def: $vgpr3
	s_and_saveexec_b32 s45, vcc_lo
	s_xor_b32 s45, exec_lo, s45
	s_cbranch_execz .LBB15_860
; %bb.790:
	v_bfe_u32 v3, v2, 21, 1
	s_mov_b32 s44, exec_lo
	v_add3_u32 v3, v2, v3, 0x88fffff
	v_lshrrev_b32_e32 v3, 21, v3
	s_andn2_saveexec_b32 s45, s45
	s_cbranch_execnz .LBB15_861
.LBB15_791:
	s_or_b32 exec_lo, exec_lo, s45
	v_mov_b32_e32 v4, 0
	s_and_saveexec_b32 s45, s44
.LBB15_792:
	v_lshrrev_b32_e32 v4, 24, v2
	v_and_or_b32 v4, 0x80, v4, v3
.LBB15_793:
	s_or_b32 exec_lo, exec_lo, s45
.LBB15_794:
	s_or_b32 exec_lo, exec_lo, s43
	s_mov_b32 s43, 0
	global_store_byte v[0:1], v4, off
.LBB15_795:
	s_and_b32 vcc_lo, exec_lo, s43
	s_cbranch_vccz .LBB15_805
; %bb.796:
	v_and_b32_e32 v4, 0x7fffffff, v2
	s_mov_b32 s43, exec_lo
                                        ; implicit-def: $vgpr3
	v_cmpx_gt_u32_e32 0x43f00000, v4
	s_xor_b32 s43, exec_lo, s43
	s_cbranch_execz .LBB15_802
; %bb.797:
	s_mov_b32 s44, exec_lo
                                        ; implicit-def: $vgpr3
	v_cmpx_lt_u32_e32 0x3c7fffff, v4
	s_xor_b32 s44, exec_lo, s44
; %bb.798:
	v_bfe_u32 v3, v2, 20, 1
	v_add3_u32 v3, v2, v3, 0x407ffff
	v_and_b32_e32 v4, 0xff00000, v3
	v_lshrrev_b32_e32 v3, 20, v3
	v_cmp_ne_u32_e32 vcc_lo, 0x7f00000, v4
	v_cndmask_b32_e32 v3, 0x7e, v3, vcc_lo
; %bb.799:
	s_andn2_saveexec_b32 s44, s44
; %bb.800:
	v_add_f32_e64 v3, 0x46800000, |v2|
; %bb.801:
	s_or_b32 exec_lo, exec_lo, s44
                                        ; implicit-def: $vgpr4
.LBB15_802:
	s_andn2_saveexec_b32 s43, s43
; %bb.803:
	v_mov_b32_e32 v3, 0x7f
	v_cmp_lt_u32_e32 vcc_lo, 0x7f800000, v4
	v_cndmask_b32_e32 v3, 0x7e, v3, vcc_lo
; %bb.804:
	s_or_b32 exec_lo, exec_lo, s43
	v_lshrrev_b32_e32 v4, 24, v2
	v_and_or_b32 v3, 0x80, v4, v3
	global_store_byte v[0:1], v3, off
.LBB15_805:
	s_mov_b32 s43, 0
.LBB15_806:
	s_andn2_b32 vcc_lo, exec_lo, s43
	s_cbranch_vccnz .LBB15_816
; %bb.807:
	v_and_b32_e32 v4, 0x7fffffff, v2
	s_mov_b32 s43, exec_lo
                                        ; implicit-def: $vgpr3
	v_cmpx_gt_u32_e32 0x47800000, v4
	s_xor_b32 s43, exec_lo, s43
	s_cbranch_execz .LBB15_813
; %bb.808:
	s_mov_b32 s44, exec_lo
                                        ; implicit-def: $vgpr3
	v_cmpx_lt_u32_e32 0x387fffff, v4
	s_xor_b32 s44, exec_lo, s44
; %bb.809:
	v_bfe_u32 v3, v2, 21, 1
	v_add3_u32 v3, v2, v3, 0x80fffff
	v_lshrrev_b32_e32 v3, 21, v3
; %bb.810:
	s_andn2_saveexec_b32 s44, s44
; %bb.811:
	v_add_f32_e64 v3, 0x43000000, |v2|
; %bb.812:
	s_or_b32 exec_lo, exec_lo, s44
                                        ; implicit-def: $vgpr4
.LBB15_813:
	s_andn2_saveexec_b32 s43, s43
; %bb.814:
	v_mov_b32_e32 v3, 0x7f
	v_cmp_lt_u32_e32 vcc_lo, 0x7f800000, v4
	v_cndmask_b32_e32 v3, 0x7c, v3, vcc_lo
; %bb.815:
	s_or_b32 exec_lo, exec_lo, s43
	v_lshrrev_b32_e32 v4, 24, v2
	v_and_or_b32 v3, 0x80, v4, v3
	global_store_byte v[0:1], v3, off
.LBB15_816:
	s_mov_b32 s44, 0
	s_mov_b32 s43, -1
.LBB15_817:
	s_andn2_b32 vcc_lo, exec_lo, s44
	s_cbranch_vccnz .LBB15_825
; %bb.818:
	s_cmp_gt_i32 s23, 14
	s_mov_b32 s44, -1
	s_cbranch_scc0 .LBB15_822
; %bb.819:
	s_cmp_eq_u32 s23, 15
	s_mov_b32 s0, -1
	s_cbranch_scc0 .LBB15_821
; %bb.820:
	v_bfe_u32 v3, v2, 16, 1
	v_cmp_o_f32_e32 vcc_lo, v2, v2
	v_mov_b32_e32 v4, 0x7fc0
	s_mov_b32 s43, -1
	s_mov_b32 s0, 0
	v_add3_u32 v3, v2, v3, 0x7fff
	v_cndmask_b32_sdwa v3, v4, v3, vcc_lo dst_sel:DWORD dst_unused:UNUSED_PAD src0_sel:DWORD src1_sel:WORD_1
	global_store_short v[0:1], v3, off
.LBB15_821:
	s_mov_b32 s44, 0
.LBB15_822:
	s_and_b32 vcc_lo, exec_lo, s44
	s_cbranch_vccz .LBB15_825
; %bb.823:
	s_cmp_eq_u32 s23, 11
	s_mov_b32 s0, -1
	s_cbranch_scc0 .LBB15_825
; %bb.824:
	v_cmp_neq_f32_e32 vcc_lo, 0, v2
	s_mov_b32 s0, 0
	s_mov_b32 s43, -1
	v_cndmask_b32_e64 v3, 0, 1, vcc_lo
	global_store_byte v[0:1], v3, off
.LBB15_825:
.LBB15_826:
	s_andn2_b32 vcc_lo, exec_lo, s43
	s_cbranch_vccnz .LBB15_751
.LBB15_827:
	v_add_nc_u32_e32 v8, 0x80, v8
	s_mov_b32 s1, -1
.LBB15_828:
	s_andn2_b32 s23, s40, exec_lo
	s_and_b32 s0, s0, exec_lo
	s_andn2_b32 s43, s39, exec_lo
	s_and_b32 s22, s22, exec_lo
	s_or_b32 s23, s23, s0
	s_or_b32 s22, s43, s22
	s_orn2_b32 s44, s1, exec_lo
.LBB15_829:
	s_or_b32 exec_lo, exec_lo, s42
	s_mov_b32 s0, 0
	s_mov_b32 s1, 0
	;; [unrolled: 1-line block ×3, first 2 shown]
                                        ; implicit-def: $vgpr1_vgpr2
                                        ; implicit-def: $vgpr0
                                        ; implicit-def: $vgpr4
	s_and_saveexec_b32 s42, s44
	s_cbranch_execz .LBB15_929
; %bb.830:
	v_cmp_gt_i32_e32 vcc_lo, s33, v8
	s_mov_b32 s45, s22
	s_mov_b32 s44, 0
                                        ; implicit-def: $vgpr1_vgpr2
                                        ; implicit-def: $vgpr0
                                        ; implicit-def: $vgpr4
	s_and_saveexec_b32 s33, vcc_lo
	s_cbranch_execz .LBB15_928
; %bb.831:
	s_andn2_b32 vcc_lo, exec_lo, s27
	s_cbranch_vccnz .LBB15_836
; %bb.832:
	s_andn2_b32 vcc_lo, exec_lo, s34
	s_cbranch_vccnz .LBB15_837
; %bb.833:
	s_add_i32 s35, s35, 1
	s_cmp_eq_u32 s25, 2
	s_cbranch_scc1 .LBB15_838
; %bb.834:
	v_mov_b32_e32 v2, 0
	v_mov_b32_e32 v0, 0
	v_mov_b32_e32 v1, v8
	s_and_b32 s34, s35, 28
	s_mov_b64 s[0:1], s[2:3]
.LBB15_835:                             ; =>This Inner Loop Header: Depth=1
	s_clause 0x1
	s_load_dwordx8 s[44:51], s[0:1], 0x4
	s_load_dwordx4 s[60:63], s[0:1], 0x24
	s_load_dwordx8 s[52:59], s[20:21], 0x0
	s_add_u32 s0, s0, 48
	s_addc_u32 s1, s1, 0
	s_add_i32 s43, s43, 4
	s_add_u32 s20, s20, 32
	s_addc_u32 s21, s21, 0
	s_cmp_eq_u32 s34, s43
	s_waitcnt vmcnt(0) lgkmcnt(0)
	v_mul_hi_u32 v3, s45, v1
	v_add_nc_u32_e32 v3, v1, v3
	v_lshrrev_b32_e32 v3, s46, v3
	v_mul_hi_u32 v4, s48, v3
	v_mul_lo_u32 v6, v3, s44
	v_add_nc_u32_e32 v4, v3, v4
	v_sub_nc_u32_e32 v1, v1, v6
	v_lshrrev_b32_e32 v4, s49, v4
	v_mul_lo_u32 v6, v1, s52
	v_mul_lo_u32 v9, v1, s53
	v_mul_hi_u32 v5, s51, v4
	v_add_nc_u32_e32 v5, v4, v5
	v_lshrrev_b32_e32 v5, s60, v5
	v_mul_hi_u32 v7, s62, v5
	v_mul_lo_u32 v10, v5, s50
	v_add_nc_u32_e32 v1, v5, v7
	v_mul_lo_u32 v7, v4, s47
	v_sub_nc_u32_e32 v4, v4, v10
	v_lshrrev_b32_e32 v1, s63, v1
	v_mul_lo_u32 v10, v4, s56
	v_mul_lo_u32 v4, v4, s57
	v_sub_nc_u32_e32 v3, v3, v7
	v_mul_lo_u32 v11, v1, s61
	v_mul_lo_u32 v7, v3, s54
	;; [unrolled: 1-line block ×3, first 2 shown]
	v_sub_nc_u32_e32 v5, v5, v11
	v_add3_u32 v0, v6, v0, v7
	v_mul_lo_u32 v11, v5, s58
	v_mul_lo_u32 v5, v5, s59
	v_add3_u32 v2, v9, v2, v3
	v_add3_u32 v0, v10, v0, v11
	;; [unrolled: 1-line block ×3, first 2 shown]
	s_cbranch_scc0 .LBB15_835
	s_branch .LBB15_839
.LBB15_836:
	s_mov_b32 s0, -1
                                        ; implicit-def: $vgpr0
                                        ; implicit-def: $vgpr2
	s_branch .LBB15_843
.LBB15_837:
	v_mov_b32_e32 v0, 0
	v_mov_b32_e32 v2, 0
	s_branch .LBB15_842
.LBB15_838:
	v_mov_b32_e32 v0, 0
	v_mov_b32_e32 v2, 0
	;; [unrolled: 1-line block ×3, first 2 shown]
	s_mov_b32 s34, 0
.LBB15_839:
	s_and_b32 s35, s35, 3
	s_cmp_eq_u32 s35, 0
	s_cbranch_scc1 .LBB15_842
; %bb.840:
	s_lshl_b32 s0, s34, 3
	s_mul_i32 s20, s34, 12
	s_add_u32 s0, s2, s0
	s_addc_u32 s1, s3, 0
	s_add_u32 s0, s0, 0xc4
	s_addc_u32 s1, s1, 0
	;; [unrolled: 2-line block ×3, first 2 shown]
.LBB15_841:                             ; =>This Inner Loop Header: Depth=1
	s_clause 0x1
	s_load_dwordx2 s[44:45], s[20:21], 0x4
	s_load_dword s34, s[20:21], 0xc
	s_load_dwordx2 s[46:47], s[0:1], 0x0
	s_add_u32 s20, s20, 12
	s_addc_u32 s21, s21, 0
	s_add_u32 s0, s0, 8
	s_addc_u32 s1, s1, 0
	s_add_i32 s35, s35, -1
	s_cmp_lg_u32 s35, 0
	s_waitcnt vmcnt(0) lgkmcnt(0)
	v_mul_hi_u32 v3, s45, v1
	v_add_nc_u32_e32 v3, v1, v3
	v_lshrrev_b32_e32 v4, s34, v3
	v_mul_lo_u32 v3, v4, s44
	v_sub_nc_u32_e32 v3, v1, v3
	v_mad_u64_u32 v[0:1], null, v3, s46, v[0:1]
	v_mad_u64_u32 v[2:3], null, v3, s47, v[2:3]
	v_mov_b32_e32 v1, v4
	s_cbranch_scc1 .LBB15_841
.LBB15_842:
	s_mov_b32 s0, 0
.LBB15_843:
	s_andn2_b32 vcc_lo, exec_lo, s0
	s_cbranch_vccnz .LBB15_846
; %bb.844:
	s_waitcnt lgkmcnt(0)
	v_mul_hi_u32 v0, s17, v8
	s_andn2_b32 vcc_lo, exec_lo, s31
	v_add_nc_u32_e32 v0, v8, v0
	v_lshrrev_b32_e32 v1, s18, v0
	v_mul_lo_u32 v0, v1, s16
	v_sub_nc_u32_e32 v2, v8, v0
	v_mul_lo_u32 v0, v2, s12
	v_mul_lo_u32 v2, v2, s13
	s_cbranch_vccnz .LBB15_846
; %bb.845:
	s_waitcnt vmcnt(0)
	v_mul_hi_u32 v3, s6, v1
	v_add_nc_u32_e32 v3, v1, v3
	v_lshrrev_b32_e32 v3, s7, v3
	v_mul_lo_u32 v3, v3, s19
	v_sub_nc_u32_e32 v3, v1, v3
	v_mad_u64_u32 v[0:1], null, v3, s14, v[0:1]
	v_mad_u64_u32 v[2:3], null, v3, s15, v[2:3]
.LBB15_846:
	s_waitcnt lgkmcnt(0)
	v_add_co_u32 v1, s0, s10, v2
	v_add_co_ci_u32_e64 v2, null, s11, 0, s0
	s_and_b32 s0, 0xffff, s30
	s_cmp_lt_i32 s0, 11
	s_cbranch_scc1 .LBB15_853
; %bb.847:
	s_cmp_gt_i32 s0, 25
	s_mov_b32 s6, 0
	s_cbranch_scc0 .LBB15_854
; %bb.848:
	s_cmp_gt_i32 s0, 28
	s_cbranch_scc0 .LBB15_855
; %bb.849:
	s_cmp_gt_i32 s0, 43
	;; [unrolled: 3-line block ×3, first 2 shown]
	s_cbranch_scc0 .LBB15_859
; %bb.851:
	s_cmp_eq_u32 s0, 46
	s_mov_b32 s10, 0
	s_cbranch_scc0 .LBB15_862
; %bb.852:
	global_load_dword v3, v[1:2], off
	s_mov_b32 s1, 0
	s_mov_b32 s7, -1
	s_waitcnt vmcnt(0)
	v_lshlrev_b32_e32 v4, 16, v3
	s_branch .LBB15_864
.LBB15_853:
	s_mov_b32 s0, -1
	s_mov_b32 s7, 0
	s_mov_b32 s6, 0
	;; [unrolled: 1-line block ×3, first 2 shown]
                                        ; implicit-def: $vgpr4
	s_branch .LBB15_927
.LBB15_854:
	s_mov_b32 s10, -1
	s_mov_b32 s7, 0
	s_mov_b32 s1, s22
                                        ; implicit-def: $vgpr4
	s_branch .LBB15_893
.LBB15_855:
	s_mov_b32 s10, -1
	s_mov_b32 s7, 0
	s_mov_b32 s1, s22
                                        ; implicit-def: $vgpr4
	s_branch .LBB15_874
.LBB15_856:
	s_mov_b32 s10, -1
	s_mov_b32 s7, 0
	s_mov_b32 s1, s22
                                        ; implicit-def: $vgpr4
	s_branch .LBB15_869
.LBB15_857:
	s_andn2_saveexec_b32 s45, s45
	s_cbranch_execz .LBB15_778
.LBB15_858:
	v_add_f32_e64 v3, 0x46000000, |v2|
	s_andn2_b32 s44, s44, exec_lo
	v_and_b32_e32 v3, 0xff, v3
	v_cmp_ne_u32_e32 vcc_lo, 0, v3
	s_and_b32 s46, vcc_lo, exec_lo
	s_or_b32 s44, s44, s46
	s_or_b32 exec_lo, exec_lo, s45
	v_mov_b32_e32 v4, 0
	s_and_saveexec_b32 s45, s44
	s_cbranch_execnz .LBB15_779
	s_branch .LBB15_780
.LBB15_859:
	s_mov_b32 s10, -1
	s_mov_b32 s7, 0
	s_mov_b32 s1, s22
	s_branch .LBB15_863
.LBB15_860:
	s_andn2_saveexec_b32 s45, s45
	s_cbranch_execz .LBB15_791
.LBB15_861:
	v_add_f32_e64 v3, 0x42800000, |v2|
	s_andn2_b32 s44, s44, exec_lo
	v_and_b32_e32 v3, 0xff, v3
	v_cmp_ne_u32_e32 vcc_lo, 0, v3
	s_and_b32 s46, vcc_lo, exec_lo
	s_or_b32 s44, s44, s46
	s_or_b32 exec_lo, exec_lo, s45
	v_mov_b32_e32 v4, 0
	s_and_saveexec_b32 s45, s44
	s_cbranch_execnz .LBB15_792
	s_branch .LBB15_793
.LBB15_862:
	s_mov_b32 s1, -1
	s_mov_b32 s7, 0
.LBB15_863:
                                        ; implicit-def: $vgpr4
.LBB15_864:
	s_and_b32 vcc_lo, exec_lo, s10
	s_cbranch_vccz .LBB15_868
; %bb.865:
	s_cmp_eq_u32 s0, 44
	s_cbranch_scc0 .LBB15_867
; %bb.866:
	global_load_ubyte v3, v[1:2], off
	s_mov_b32 s1, 0
	s_mov_b32 s7, -1
	s_waitcnt vmcnt(0)
	v_lshlrev_b32_e32 v4, 23, v3
	v_cmp_ne_u32_e32 vcc_lo, 0xff, v3
	v_cndmask_b32_e32 v4, 0x7f800001, v4, vcc_lo
	v_cmp_ne_u32_e32 vcc_lo, 0, v3
	v_cndmask_b32_e32 v4, 0x400000, v4, vcc_lo
	s_branch .LBB15_868
.LBB15_867:
	s_mov_b32 s1, -1
                                        ; implicit-def: $vgpr4
.LBB15_868:
	s_mov_b32 s10, 0
.LBB15_869:
	s_and_b32 vcc_lo, exec_lo, s10
	s_cbranch_vccz .LBB15_873
; %bb.870:
	s_cmp_eq_u32 s0, 29
	s_cbranch_scc0 .LBB15_872
; %bb.871:
	global_load_dwordx2 v[3:4], v[1:2], off
	s_mov_b32 s1, 0
	s_mov_b32 s7, -1
	s_mov_b32 s10, 0
	s_waitcnt vmcnt(0)
	v_ffbh_u32_e32 v5, v4
	v_min_u32_e32 v5, 32, v5
	v_lshlrev_b64 v[3:4], v5, v[3:4]
	v_min_u32_e32 v3, 1, v3
	v_or_b32_e32 v3, v4, v3
	v_sub_nc_u32_e32 v4, 32, v5
	v_cvt_f32_u32_e32 v3, v3
	v_ldexp_f32 v4, v3, v4
	s_branch .LBB15_874
.LBB15_872:
	s_mov_b32 s1, -1
                                        ; implicit-def: $vgpr4
.LBB15_873:
	s_mov_b32 s10, 0
.LBB15_874:
	s_and_b32 vcc_lo, exec_lo, s10
	s_cbranch_vccz .LBB15_892
; %bb.875:
	s_cmp_lt_i32 s0, 27
	s_cbranch_scc1 .LBB15_878
; %bb.876:
	s_cmp_gt_i32 s0, 27
	s_cbranch_scc0 .LBB15_879
; %bb.877:
	global_load_dword v3, v[1:2], off
	s_mov_b32 s7, 0
	s_waitcnt vmcnt(0)
	v_cvt_f32_u32_e32 v4, v3
	s_branch .LBB15_880
.LBB15_878:
	s_mov_b32 s7, -1
                                        ; implicit-def: $vgpr4
	s_branch .LBB15_883
.LBB15_879:
	s_mov_b32 s7, -1
                                        ; implicit-def: $vgpr4
.LBB15_880:
	s_andn2_b32 vcc_lo, exec_lo, s7
	s_cbranch_vccnz .LBB15_882
; %bb.881:
	global_load_ushort v3, v[1:2], off
	s_waitcnt vmcnt(0)
	v_cvt_f32_u32_e32 v4, v3
.LBB15_882:
	s_mov_b32 s7, 0
.LBB15_883:
	s_andn2_b32 vcc_lo, exec_lo, s7
	s_cbranch_vccnz .LBB15_891
; %bb.884:
	global_load_ubyte v3, v[1:2], off
	s_mov_b32 s7, 0
	s_mov_b32 s10, exec_lo
	s_waitcnt vmcnt(0)
	v_cmpx_lt_i16_e32 0x7f, v3
	s_xor_b32 s10, exec_lo, s10
	s_cbranch_execz .LBB15_905
; %bb.885:
	s_mov_b32 s7, -1
	s_mov_b32 s11, exec_lo
	v_cmpx_eq_u16_e32 0x80, v3
; %bb.886:
	s_xor_b32 s7, exec_lo, -1
; %bb.887:
	s_or_b32 exec_lo, exec_lo, s11
	s_and_b32 s7, s7, exec_lo
	s_or_saveexec_b32 s10, s10
	v_mov_b32_e32 v4, 0x7f800001
	s_xor_b32 exec_lo, exec_lo, s10
	s_cbranch_execnz .LBB15_906
.LBB15_888:
	s_or_b32 exec_lo, exec_lo, s10
	s_and_saveexec_b32 s10, s7
	s_cbranch_execz .LBB15_890
.LBB15_889:
	v_and_b32_e32 v4, 0xffff, v3
	v_lshlrev_b32_e32 v3, 24, v3
	v_and_b32_e32 v5, 7, v4
	v_bfe_u32 v8, v4, 3, 4
	v_and_b32_e32 v3, 0x80000000, v3
	v_ffbh_u32_e32 v6, v5
	v_cmp_eq_u32_e32 vcc_lo, 0, v8
	v_min_u32_e32 v6, 32, v6
	v_subrev_nc_u32_e32 v7, 28, v6
	v_sub_nc_u32_e32 v6, 29, v6
	v_lshlrev_b32_e32 v4, v7, v4
	v_cndmask_b32_e32 v6, v8, v6, vcc_lo
	v_and_b32_e32 v4, 7, v4
	v_cndmask_b32_e32 v4, v5, v4, vcc_lo
	v_lshl_add_u32 v5, v6, 23, 0x3b800000
	v_lshlrev_b32_e32 v4, 20, v4
	v_or3_b32 v4, v3, v5, v4
.LBB15_890:
	s_or_b32 exec_lo, exec_lo, s10
.LBB15_891:
	s_mov_b32 s7, -1
.LBB15_892:
	s_mov_b32 s10, 0
.LBB15_893:
	s_and_b32 vcc_lo, exec_lo, s10
	s_cbranch_vccz .LBB15_926
; %bb.894:
	s_cmp_gt_i32 s0, 22
	s_cbranch_scc0 .LBB15_904
; %bb.895:
	s_cmp_lt_i32 s0, 24
	s_cbranch_scc1 .LBB15_907
; %bb.896:
	s_cmp_gt_i32 s0, 24
	s_cbranch_scc0 .LBB15_908
; %bb.897:
	global_load_ubyte v3, v[1:2], off
	s_mov_b32 s7, exec_lo
	s_waitcnt vmcnt(0)
	v_cmpx_lt_i16_e32 0x7f, v3
	s_xor_b32 s7, exec_lo, s7
	s_cbranch_execz .LBB15_920
; %bb.898:
	s_mov_b32 s6, -1
	s_mov_b32 s10, exec_lo
	v_cmpx_eq_u16_e32 0x80, v3
; %bb.899:
	s_xor_b32 s6, exec_lo, -1
; %bb.900:
	s_or_b32 exec_lo, exec_lo, s10
	s_and_b32 s6, s6, exec_lo
	s_or_saveexec_b32 s7, s7
	v_mov_b32_e32 v4, 0x7f800001
	s_xor_b32 exec_lo, exec_lo, s7
	s_cbranch_execnz .LBB15_921
.LBB15_901:
	s_or_b32 exec_lo, exec_lo, s7
	s_and_saveexec_b32 s7, s6
	s_cbranch_execz .LBB15_903
.LBB15_902:
	v_and_b32_e32 v4, 0xffff, v3
	v_lshlrev_b32_e32 v3, 24, v3
	v_and_b32_e32 v5, 3, v4
	v_bfe_u32 v8, v4, 2, 5
	v_and_b32_e32 v3, 0x80000000, v3
	v_ffbh_u32_e32 v6, v5
	v_cmp_eq_u32_e32 vcc_lo, 0, v8
	v_min_u32_e32 v6, 32, v6
	v_subrev_nc_u32_e32 v7, 29, v6
	v_sub_nc_u32_e32 v6, 30, v6
	v_lshlrev_b32_e32 v4, v7, v4
	v_cndmask_b32_e32 v6, v8, v6, vcc_lo
	v_and_b32_e32 v4, 3, v4
	v_cndmask_b32_e32 v4, v5, v4, vcc_lo
	v_lshl_add_u32 v5, v6, 23, 0x37800000
	v_lshlrev_b32_e32 v4, 21, v4
	v_or3_b32 v4, v3, v5, v4
.LBB15_903:
	s_or_b32 exec_lo, exec_lo, s7
	s_mov_b32 s6, 0
	s_branch .LBB15_909
.LBB15_904:
	s_mov_b32 s6, -1
                                        ; implicit-def: $vgpr4
	s_branch .LBB15_915
.LBB15_905:
	s_or_saveexec_b32 s10, s10
	v_mov_b32_e32 v4, 0x7f800001
	s_xor_b32 exec_lo, exec_lo, s10
	s_cbranch_execz .LBB15_888
.LBB15_906:
	v_cmp_ne_u16_e32 vcc_lo, 0, v3
	v_mov_b32_e32 v4, 0
	s_andn2_b32 s7, s7, exec_lo
	s_and_b32 s11, vcc_lo, exec_lo
	s_or_b32 s7, s7, s11
	s_or_b32 exec_lo, exec_lo, s10
	s_and_saveexec_b32 s10, s7
	s_cbranch_execnz .LBB15_889
	s_branch .LBB15_890
.LBB15_907:
	s_mov_b32 s6, -1
                                        ; implicit-def: $vgpr4
	s_branch .LBB15_912
.LBB15_908:
	s_mov_b32 s6, -1
                                        ; implicit-def: $vgpr4
.LBB15_909:
	s_and_b32 vcc_lo, exec_lo, s6
	s_cbranch_vccz .LBB15_911
; %bb.910:
	global_load_ubyte v3, v[1:2], off
	s_waitcnt vmcnt(0)
	v_lshlrev_b32_e32 v3, 24, v3
	v_and_b32_e32 v4, 0x7f000000, v3
	v_ffbh_u32_e32 v5, v4
	v_add_nc_u32_e32 v7, 0x1000000, v4
	v_cmp_ne_u32_e32 vcc_lo, 0, v4
	v_min_u32_e32 v5, 32, v5
	v_sub_nc_u32_e64 v5, v5, 4 clamp
	v_lshlrev_b32_e32 v6, v5, v4
	v_lshlrev_b32_e32 v5, 23, v5
	v_lshrrev_b32_e32 v6, 4, v6
	v_sub_nc_u32_e32 v5, v6, v5
	v_ashrrev_i32_e32 v6, 8, v7
	v_add_nc_u32_e32 v5, 0x3c000000, v5
	v_and_or_b32 v5, 0x7f800000, v6, v5
	v_cndmask_b32_e32 v4, 0, v5, vcc_lo
	v_and_or_b32 v4, 0x80000000, v3, v4
.LBB15_911:
	s_mov_b32 s6, 0
.LBB15_912:
	s_andn2_b32 vcc_lo, exec_lo, s6
	s_cbranch_vccnz .LBB15_914
; %bb.913:
	global_load_ubyte v3, v[1:2], off
	s_waitcnt vmcnt(0)
	v_lshlrev_b32_e32 v4, 25, v3
	v_lshlrev_b16 v3, 8, v3
	v_lshrrev_b32_e32 v5, 4, v4
	v_and_or_b32 v6, 0x7f00, v3, 0.5
	v_cmp_gt_u32_e32 vcc_lo, 0x8000000, v4
	v_bfe_i32 v3, v3, 0, 16
	v_or_b32_e32 v5, 0x70000000, v5
	v_add_f32_e32 v6, -0.5, v6
	v_mul_f32_e32 v5, 0x7800000, v5
	v_cndmask_b32_e32 v4, v5, v6, vcc_lo
	v_and_or_b32 v4, 0x80000000, v3, v4
.LBB15_914:
	s_mov_b32 s6, 0
	s_mov_b32 s7, -1
.LBB15_915:
	s_andn2_b32 vcc_lo, exec_lo, s6
	s_mov_b32 s6, 0
	s_cbranch_vccnz .LBB15_926
; %bb.916:
	s_cmp_gt_i32 s0, 14
	s_cbranch_scc0 .LBB15_919
; %bb.917:
	s_cmp_eq_u32 s0, 15
	s_cbranch_scc0 .LBB15_922
; %bb.918:
	global_load_ushort v3, v[1:2], off
	s_mov_b32 s1, 0
	s_mov_b32 s7, -1
	s_waitcnt vmcnt(0)
	v_lshlrev_b32_e32 v4, 16, v3
	s_branch .LBB15_924
.LBB15_919:
	s_mov_b32 s6, -1
	s_branch .LBB15_923
.LBB15_920:
	s_or_saveexec_b32 s7, s7
	v_mov_b32_e32 v4, 0x7f800001
	s_xor_b32 exec_lo, exec_lo, s7
	s_cbranch_execz .LBB15_901
.LBB15_921:
	v_cmp_ne_u16_e32 vcc_lo, 0, v3
	v_mov_b32_e32 v4, 0
	s_andn2_b32 s6, s6, exec_lo
	s_and_b32 s10, vcc_lo, exec_lo
	s_or_b32 s6, s6, s10
	s_or_b32 exec_lo, exec_lo, s7
	s_and_saveexec_b32 s7, s6
	s_cbranch_execnz .LBB15_902
	s_branch .LBB15_903
.LBB15_922:
	s_mov_b32 s1, -1
.LBB15_923:
                                        ; implicit-def: $vgpr4
.LBB15_924:
	s_and_b32 vcc_lo, exec_lo, s6
	s_mov_b32 s6, 0
	s_cbranch_vccz .LBB15_926
; %bb.925:
	s_cmp_lg_u32 s0, 11
	s_mov_b32 s6, -1
	s_cselect_b32 s0, -1, 0
	s_andn2_b32 s1, s1, exec_lo
	s_and_b32 s0, s0, exec_lo
	s_or_b32 s1, s1, s0
.LBB15_926:
	s_mov_b32 s0, 0
.LBB15_927:
	s_and_b32 s43, s7, exec_lo
	s_andn2_b32 s7, s22, exec_lo
	s_and_b32 s1, s1, exec_lo
	s_and_b32 s44, s0, exec_lo
	;; [unrolled: 1-line block ×3, first 2 shown]
	s_or_b32 s45, s7, s1
.LBB15_928:
	s_or_b32 exec_lo, exec_lo, s33
	s_waitcnt lgkmcnt(0)
	s_andn2_b32 s6, s22, exec_lo
	s_and_b32 s7, s45, exec_lo
	s_and_b32 s43, s43, exec_lo
	;; [unrolled: 1-line block ×4, first 2 shown]
	s_or_b32 s22, s6, s7
.LBB15_929:
	s_or_b32 exec_lo, exec_lo, s42
	s_waitcnt lgkmcnt(0)
	s_andn2_b32 s6, s40, exec_lo
	s_and_b32 s7, s23, exec_lo
	s_and_b32 s42, s43, exec_lo
	s_or_b32 s40, s6, s7
	s_andn2_b32 s6, s39, exec_lo
	s_and_b32 s7, s22, exec_lo
	s_and_b32 s23, s1, exec_lo
	;; [unrolled: 1-line block ×3, first 2 shown]
	s_or_b32 s39, s6, s7
.LBB15_930:
	s_or_b32 exec_lo, exec_lo, s41
	s_andn2_b32 s0, s36, exec_lo
	s_waitcnt lgkmcnt(0)
	s_and_b32 s6, s40, exec_lo
	s_and_b32 s7, s39, exec_lo
	s_or_b32 s36, s0, s6
	s_andn2_b32 s6, s37, exec_lo
	s_and_b32 s0, s42, exec_lo
	s_and_b32 s22, s23, exec_lo
	;; [unrolled: 1-line block ×3, first 2 shown]
	s_or_b32 s37, s6, s7
	s_or_b32 exec_lo, exec_lo, s38
	s_mov_b32 s6, 0
	s_and_saveexec_b32 s1, s37
	s_cbranch_execz .LBB15_278
.LBB15_931:
	s_mov_b32 s6, exec_lo
	s_andn2_b32 s39, s39, exec_lo
	s_trap 2
	s_or_b32 exec_lo, exec_lo, s1
	s_and_saveexec_b32 s1, s39
	s_xor_b32 s1, exec_lo, s1
	s_cbranch_execnz .LBB15_279
.LBB15_932:
	s_or_b32 exec_lo, exec_lo, s1
	s_and_saveexec_b32 s1, s22
	s_cbranch_execz .LBB15_978
.LBB15_933:
	s_sext_i32_i16 s7, s30
	s_cmp_lt_i32 s7, 5
	s_cbranch_scc1 .LBB15_938
; %bb.934:
	s_cmp_lt_i32 s7, 8
	s_cbranch_scc1 .LBB15_939
; %bb.935:
	;; [unrolled: 3-line block ×3, first 2 shown]
	s_cmp_gt_i32 s7, 9
	s_cbranch_scc0 .LBB15_941
; %bb.937:
	global_load_dwordx2 v[3:4], v[1:2], off
	s_mov_b32 s7, 0
	s_waitcnt vmcnt(0)
	v_cvt_f32_f64_e32 v4, v[3:4]
	s_branch .LBB15_942
.LBB15_938:
                                        ; implicit-def: $vgpr4
	s_branch .LBB15_959
.LBB15_939:
                                        ; implicit-def: $vgpr4
	s_branch .LBB15_948
.LBB15_940:
	s_mov_b32 s7, -1
                                        ; implicit-def: $vgpr4
	s_branch .LBB15_945
.LBB15_941:
	s_mov_b32 s7, -1
                                        ; implicit-def: $vgpr4
.LBB15_942:
	s_andn2_b32 vcc_lo, exec_lo, s7
	s_cbranch_vccnz .LBB15_944
; %bb.943:
	global_load_dword v4, v[1:2], off
.LBB15_944:
	s_mov_b32 s7, 0
.LBB15_945:
	s_andn2_b32 vcc_lo, exec_lo, s7
	s_cbranch_vccnz .LBB15_947
; %bb.946:
	global_load_dword v3, v[1:2], off
	s_waitcnt vmcnt(0)
	v_cvt_f32_f16_e32 v4, v3
.LBB15_947:
	s_cbranch_execnz .LBB15_958
.LBB15_948:
	s_sext_i32_i16 s7, s30
	s_cmp_lt_i32 s7, 6
	s_cbranch_scc1 .LBB15_951
; %bb.949:
	s_cmp_gt_i32 s7, 6
	s_cbranch_scc0 .LBB15_952
; %bb.950:
	global_load_dwordx2 v[3:4], v[1:2], off
	s_mov_b32 s7, 0
	s_waitcnt vmcnt(0)
	v_cvt_f32_f64_e32 v4, v[3:4]
	s_branch .LBB15_953
.LBB15_951:
	s_mov_b32 s7, -1
                                        ; implicit-def: $vgpr4
	s_branch .LBB15_956
.LBB15_952:
	s_mov_b32 s7, -1
                                        ; implicit-def: $vgpr4
.LBB15_953:
	s_andn2_b32 vcc_lo, exec_lo, s7
	s_cbranch_vccnz .LBB15_955
; %bb.954:
	global_load_dword v4, v[1:2], off
.LBB15_955:
	s_mov_b32 s7, 0
.LBB15_956:
	s_andn2_b32 vcc_lo, exec_lo, s7
	s_cbranch_vccnz .LBB15_958
; %bb.957:
	global_load_ushort v3, v[1:2], off
	s_waitcnt vmcnt(0)
	v_cvt_f32_f16_e32 v4, v3
.LBB15_958:
	s_cbranch_execnz .LBB15_977
.LBB15_959:
	s_sext_i32_i16 s7, s30
	s_cmp_lt_i32 s7, 2
	s_cbranch_scc1 .LBB15_963
; %bb.960:
	s_cmp_lt_i32 s7, 3
	s_cbranch_scc1 .LBB15_964
; %bb.961:
	s_cmp_gt_i32 s7, 3
	s_cbranch_scc0 .LBB15_965
; %bb.962:
	global_load_dwordx2 v[3:4], v[1:2], off
	s_mov_b32 s7, 0
	s_waitcnt vmcnt(0)
	v_xor_b32_e32 v5, v3, v4
	v_ffbh_i32_e32 v6, v4
	v_ashrrev_i32_e32 v5, 31, v5
	v_add_nc_u32_e32 v6, -1, v6
	v_add_nc_u32_e32 v5, 32, v5
	v_min_u32_e32 v5, v6, v5
	v_lshlrev_b64 v[3:4], v5, v[3:4]
	v_min_u32_e32 v3, 1, v3
	v_or_b32_e32 v3, v4, v3
	v_sub_nc_u32_e32 v4, 32, v5
	v_cvt_f32_i32_e32 v3, v3
	v_ldexp_f32 v4, v3, v4
	s_branch .LBB15_966
.LBB15_963:
                                        ; implicit-def: $vgpr4
	s_branch .LBB15_972
.LBB15_964:
	s_mov_b32 s7, -1
                                        ; implicit-def: $vgpr4
	s_branch .LBB15_969
.LBB15_965:
	s_mov_b32 s7, -1
                                        ; implicit-def: $vgpr4
.LBB15_966:
	s_andn2_b32 vcc_lo, exec_lo, s7
	s_cbranch_vccnz .LBB15_968
; %bb.967:
	global_load_dword v3, v[1:2], off
	s_waitcnt vmcnt(0)
	v_cvt_f32_i32_e32 v4, v3
.LBB15_968:
	s_mov_b32 s7, 0
.LBB15_969:
	s_andn2_b32 vcc_lo, exec_lo, s7
	s_cbranch_vccnz .LBB15_971
; %bb.970:
	global_load_sshort v3, v[1:2], off
	s_waitcnt vmcnt(0)
	v_cvt_f32_i32_e32 v4, v3
.LBB15_971:
	s_cbranch_execnz .LBB15_977
.LBB15_972:
	s_sext_i32_i16 s7, s30
	s_cmp_gt_i32 s7, 0
	s_mov_b32 s7, 0
	s_cbranch_scc0 .LBB15_974
; %bb.973:
	global_load_sbyte v3, v[1:2], off
	s_waitcnt vmcnt(0)
	v_cvt_f32_i32_e32 v4, v3
	s_branch .LBB15_975
.LBB15_974:
	s_mov_b32 s7, -1
                                        ; implicit-def: $vgpr4
.LBB15_975:
	s_andn2_b32 vcc_lo, exec_lo, s7
	s_cbranch_vccnz .LBB15_977
; %bb.976:
	global_load_ubyte v1, v[1:2], off
	s_waitcnt vmcnt(0)
	v_cvt_f32_ubyte0_e32 v4, v1
.LBB15_977:
	s_or_b32 s0, s0, exec_lo
.LBB15_978:
	s_or_b32 exec_lo, exec_lo, s1
	s_mov_b32 s10, 0
	s_mov_b32 s11, 0
                                        ; implicit-def: $sgpr1
                                        ; implicit-def: $vgpr1_vgpr2
                                        ; implicit-def: $vgpr3
	s_and_saveexec_b32 s7, s0
	s_cbranch_execz .LBB15_1057
; %bb.979:
	s_waitcnt vmcnt(0)
	v_and_b32_e32 v1, 0x7fffffff, v4
                                        ; implicit-def: $vgpr3
                                        ; implicit-def: $vgpr2
	s_mov_b32 s1, exec_lo
	v_cmpx_ngt_f32_e64 0x48000000, |v4|
	s_xor_b32 s10, exec_lo, s1
	s_cbranch_execz .LBB15_981
; %bb.980:
	s_mov_b32 s0, 0x7fffff
	v_mov_b32_e32 v6, 0
	v_and_or_b32 v13, v1, s0, 0x800000
	v_mad_u64_u32 v[2:3], null, 0xfe5163ab, v13, 0
	v_mov_b32_e32 v5, v3
	v_lshrrev_b32_e32 v3, 23, v1
	v_mad_u64_u32 v[7:8], null, 0x3c439041, v13, v[5:6]
	v_add_nc_u32_e32 v3, 0xffffff88, v3
	v_cmp_lt_u32_e32 vcc_lo, 63, v3
	v_mov_b32_e32 v5, v8
	v_cndmask_b32_e64 v12, 0, 0xffffffc0, vcc_lo
	v_mad_u64_u32 v[8:9], null, 0xdb629599, v13, v[5:6]
	v_add_nc_u32_e32 v3, v12, v3
	v_mov_b32_e32 v5, v9
	v_cmp_lt_u32_e64 s0, 31, v3
	v_cndmask_b32_e32 v2, v8, v2, vcc_lo
	v_mad_u64_u32 v[9:10], null, 0xf534ddc0, v13, v[5:6]
	v_cndmask_b32_e64 v14, 0, 0xffffffe0, s0
	v_add_nc_u32_e32 v3, v14, v3
	v_mov_b32_e32 v5, v10
	v_cndmask_b32_e32 v7, v9, v7, vcc_lo
	v_cmp_lt_u32_e64 s1, 31, v3
	v_mad_u64_u32 v[10:11], null, 0xfc2757d1, v13, v[5:6]
	v_cndmask_b32_e64 v2, v7, v2, s0
	v_mov_b32_e32 v5, v11
	v_mad_u64_u32 v[11:12], null, 0x4e441529, v13, v[5:6]
	v_mov_b32_e32 v5, v12
	v_cndmask_b32_e64 v12, 0, 0xffffffe0, s1
	v_mad_u64_u32 v[5:6], null, 0xa2f9836e, v13, v[5:6]
	v_cndmask_b32_e32 v13, v11, v9, vcc_lo
	v_add_nc_u32_e32 v3, v12, v3
	v_cndmask_b32_e32 v5, v5, v10, vcc_lo
	v_cndmask_b32_e32 v6, v6, v11, vcc_lo
	;; [unrolled: 1-line block ×3, first 2 shown]
	v_sub_nc_u32_e32 v11, 32, v3
	v_cmp_eq_u32_e32 vcc_lo, 0, v3
	v_cndmask_b32_e64 v9, v5, v13, s0
	v_cndmask_b32_e64 v5, v6, v5, s0
	;; [unrolled: 1-line block ×8, first 2 shown]
	v_alignbit_b32 v12, v5, v9, v11
	v_alignbit_b32 v8, v9, v6, v11
	v_alignbit_b32 v10, v6, v2, v11
	v_cndmask_b32_e32 v3, v12, v5, vcc_lo
	v_cndmask_b32_e32 v5, v8, v9, vcc_lo
	;; [unrolled: 1-line block ×3, first 2 shown]
	v_bfe_u32 v7, v3, 29, 1
	v_alignbit_b32 v8, v3, v5, 30
	v_alignbit_b32 v5, v5, v6, 30
	;; [unrolled: 1-line block ×3, first 2 shown]
	v_sub_nc_u32_e32 v9, 0, v7
	v_xor_b32_e32 v8, v8, v9
	v_xor_b32_e32 v5, v5, v9
	v_xor_b32_e32 v2, v2, v9
	v_lshrrev_b32_e32 v9, 29, v3
	v_lshrrev_b32_e32 v3, 30, v3
	v_ffbh_u32_e32 v10, v8
	v_add_nc_u32_e32 v3, v7, v3
	v_min_u32_e32 v10, 32, v10
	v_sub_nc_u32_e32 v6, 31, v10
	v_lshlrev_b32_e32 v11, 23, v10
	v_alignbit_b32 v8, v8, v5, v6
	v_alignbit_b32 v2, v5, v2, v6
	v_lshlrev_b32_e32 v5, 31, v9
	v_alignbit_b32 v6, v8, v2, 9
	v_or_b32_e32 v9, 0.5, v5
	v_lshrrev_b32_e32 v8, 9, v8
	v_or_b32_e32 v5, 0x33000000, v5
	v_ffbh_u32_e32 v12, v6
	v_sub_nc_u32_e32 v9, v9, v11
	v_min_u32_e32 v11, 32, v12
	v_or_b32_e32 v8, v8, v9
	v_not_b32_e32 v9, v11
	v_mul_f32_e32 v12, 0x3fc90fda, v8
	v_add_lshl_u32 v10, v11, v10, 23
	v_alignbit_b32 v2, v6, v2, v9
	v_fma_f32 v6, 0x3fc90fda, v8, -v12
	v_sub_nc_u32_e32 v5, v5, v10
	v_lshrrev_b32_e32 v2, 9, v2
	v_fmamk_f32 v6, v8, 0x33a22168, v6
	v_or_b32_e32 v2, v5, v2
	v_fmac_f32_e32 v6, 0x3fc90fda, v2
	v_add_f32_e32 v2, v12, v6
.LBB15_981:
	s_andn2_saveexec_b32 s0, s10
; %bb.982:
	v_mul_f32_e64 v2, 0x3f22f983, |v4|
	v_rndne_f32_e32 v3, v2
	v_fma_f32 v2, 0xbfc90fda, v3, |v4|
	v_fmamk_f32 v2, v3, 0xb3a22168, v2
	v_fmamk_f32 v2, v3, 0xa7c234c4, v2
	v_cvt_i32_f32_e32 v3, v3
; %bb.983:
	s_or_b32 exec_lo, exec_lo, s0
	v_mul_f32_e32 v5, v2, v2
	s_mov_b32 s0, 0xb94c1982
	s_mov_b32 s1, 0x37d75334
	v_and_b32_e32 v8, 1, v3
	v_lshlrev_b32_e32 v3, 30, v3
	v_fmaak_f32 v6, s0, v5, 0x3c0881c4
	v_fmaak_f32 v7, s1, v5, 0xbab64f3b
	v_xor_b32_e32 v1, v1, v4
	v_cmp_eq_u32_e32 vcc_lo, 0, v8
	v_and_b32_e32 v3, 0x80000000, v3
	v_fmaak_f32 v6, v5, v6, 0xbe2aaa9d
	v_fmaak_f32 v7, v5, v7, 0x3d2aabf7
	s_and_b32 s1, s29, 0xff
	s_mov_b32 s10, 0
	s_cmp_lt_i32 s1, 11
	v_mul_f32_e32 v6, v5, v6
	v_fmaak_f32 v7, v5, v7, 0xbf000004
	v_fmac_f32_e32 v2, v2, v6
	v_fma_f32 v5, v5, v7, 1.0
	v_cndmask_b32_e32 v2, v5, v2, vcc_lo
	v_cmp_class_f32_e64 vcc_lo, v4, 0x1f8
	v_xor3_b32 v3, v1, v3, v2
	v_add_co_u32 v1, s0, s8, v0
	v_add_co_ci_u32_e64 v2, null, s9, 0, s0
	v_cndmask_b32_e32 v3, 0x7fc00000, v3, vcc_lo
	s_mov_b32 s9, -1
	s_mov_b32 s0, s36
	s_cbranch_scc1 .LBB15_1061
; %bb.984:
	s_and_b32 s8, 0xffff, s1
	s_mov_b32 s0, s36
	s_cmp_gt_i32 s8, 25
	s_cbranch_scc0 .LBB15_1017
; %bb.985:
	s_cmp_gt_i32 s8, 28
	s_mov_b32 s0, s36
	s_cbranch_scc0 .LBB15_1001
; %bb.986:
	s_cmp_gt_i32 s8, 43
	s_mov_b32 s0, s36
	;; [unrolled: 4-line block ×3, first 2 shown]
	s_cbranch_scc0 .LBB15_991
; %bb.988:
	s_cmp_eq_u32 s8, 46
	s_mov_b32 s0, -1
	s_cbranch_scc0 .LBB15_990
; %bb.989:
	v_bfe_u32 v0, v3, 16, 1
	v_cmp_o_f32_e32 vcc_lo, v3, v3
	v_mov_b32_e32 v4, 0x7fc0
	s_mov_b32 s0, 0
	v_add3_u32 v0, v3, v0, 0x7fff
	v_cndmask_b32_sdwa v0, v4, v0, vcc_lo dst_sel:DWORD dst_unused:UNUSED_PAD src0_sel:DWORD src1_sel:WORD_1
	global_store_dword v[1:2], v0, off
.LBB15_990:
	s_mov_b32 s9, 0
.LBB15_991:
	s_and_b32 vcc_lo, exec_lo, s9
	s_cbranch_vccz .LBB15_996
; %bb.992:
	s_cmp_eq_u32 s8, 44
	s_mov_b32 s0, -1
	s_cbranch_scc0 .LBB15_996
; %bb.993:
	v_bfe_u32 v4, v3, 23, 8
	v_mov_b32_e32 v0, 0xff
	s_mov_b32 s9, exec_lo
	v_cmpx_ne_u32_e32 0xff, v4
	s_cbranch_execz .LBB15_995
; %bb.994:
	v_and_b32_e32 v0, 0x400000, v3
	v_and_or_b32 v4, 0x3fffff, v3, v4
	v_cmp_ne_u32_e32 vcc_lo, 0, v0
	v_cmp_ne_u32_e64 s0, 0, v4
	v_lshrrev_b32_e32 v0, 23, v3
	s_and_b32 s0, vcc_lo, s0
	v_cndmask_b32_e64 v4, 0, 1, s0
	v_add_nc_u32_e32 v0, v0, v4
.LBB15_995:
	s_or_b32 exec_lo, exec_lo, s9
	s_mov_b32 s0, 0
	global_store_byte v[1:2], v0, off
.LBB15_996:
	s_mov_b32 s9, 0
.LBB15_997:
	s_and_b32 vcc_lo, exec_lo, s9
	s_cbranch_vccz .LBB15_1000
; %bb.998:
	s_cmp_eq_u32 s8, 29
	s_mov_b32 s0, -1
	s_cbranch_scc0 .LBB15_1000
; %bb.999:
	v_trunc_f32_e32 v0, v3
	s_mov_b32 s0, 0
	v_mul_f32_e32 v4, 0x2f800000, v0
	v_floor_f32_e32 v4, v4
	v_fmamk_f32 v0, v4, 0xcf800000, v0
	v_cvt_u32_f32_e32 v5, v4
	v_cvt_u32_f32_e32 v4, v0
	global_store_dwordx2 v[1:2], v[4:5], off
.LBB15_1000:
	s_mov_b32 s9, 0
.LBB15_1001:
	s_and_b32 vcc_lo, exec_lo, s9
	s_cbranch_vccz .LBB15_1016
; %bb.1002:
	s_cmp_lt_i32 s8, 27
	s_mov_b32 s9, -1
	s_cbranch_scc1 .LBB15_1008
; %bb.1003:
	s_cmp_gt_i32 s8, 27
	s_cbranch_scc0 .LBB15_1005
; %bb.1004:
	v_cvt_u32_f32_e32 v0, v3
	s_mov_b32 s9, 0
	global_store_dword v[1:2], v0, off
.LBB15_1005:
	s_andn2_b32 vcc_lo, exec_lo, s9
	s_cbranch_vccnz .LBB15_1007
; %bb.1006:
	v_cvt_u32_f32_e32 v0, v3
	global_store_short v[1:2], v0, off
.LBB15_1007:
	s_mov_b32 s9, 0
.LBB15_1008:
	s_andn2_b32 vcc_lo, exec_lo, s9
	s_cbranch_vccnz .LBB15_1016
; %bb.1009:
	v_and_b32_e32 v0, 0x7fffffff, v3
	v_mov_b32_e32 v4, 0x80
	s_mov_b32 s9, exec_lo
	v_cmpx_gt_u32_e32 0x43800000, v0
	s_cbranch_execz .LBB15_1015
; %bb.1010:
	v_cmp_lt_u32_e32 vcc_lo, 0x3bffffff, v0
                                        ; implicit-def: $vgpr0
	s_and_saveexec_b32 s11, vcc_lo
	s_xor_b32 s11, exec_lo, s11
	s_cbranch_execz .LBB15_1172
; %bb.1011:
	v_bfe_u32 v0, v3, 20, 1
	s_mov_b32 s10, exec_lo
	v_add3_u32 v0, v3, v0, 0x487ffff
	v_lshrrev_b32_e32 v0, 20, v0
	s_andn2_saveexec_b32 s11, s11
	s_cbranch_execnz .LBB15_1173
.LBB15_1012:
	s_or_b32 exec_lo, exec_lo, s11
	v_mov_b32_e32 v4, 0
	s_and_saveexec_b32 s11, s10
.LBB15_1013:
	v_lshrrev_b32_e32 v4, 24, v3
	v_and_or_b32 v4, 0x80, v4, v0
.LBB15_1014:
	s_or_b32 exec_lo, exec_lo, s11
.LBB15_1015:
	s_or_b32 exec_lo, exec_lo, s9
	global_store_byte v[1:2], v4, off
.LBB15_1016:
	s_mov_b32 s9, 0
.LBB15_1017:
	s_and_b32 vcc_lo, exec_lo, s9
	s_mov_b32 s9, 0
	s_cbranch_vccz .LBB15_1060
; %bb.1018:
	s_cmp_gt_i32 s8, 22
	s_mov_b32 s10, -1
	s_cbranch_scc0 .LBB15_1050
; %bb.1019:
	s_cmp_lt_i32 s8, 24
	s_cbranch_scc1 .LBB15_1039
; %bb.1020:
	s_cmp_gt_i32 s8, 24
	s_cbranch_scc0 .LBB15_1028
; %bb.1021:
	v_and_b32_e32 v0, 0x7fffffff, v3
	v_mov_b32_e32 v4, 0x80
	s_mov_b32 s10, exec_lo
	v_cmpx_gt_u32_e32 0x47800000, v0
	s_cbranch_execz .LBB15_1027
; %bb.1022:
	v_cmp_lt_u32_e32 vcc_lo, 0x37ffffff, v0
	s_mov_b32 s11, 0
                                        ; implicit-def: $vgpr0
	s_and_saveexec_b32 s12, vcc_lo
	s_xor_b32 s12, exec_lo, s12
	s_cbranch_execz .LBB15_1302
; %bb.1023:
	v_bfe_u32 v0, v3, 21, 1
	s_mov_b32 s11, exec_lo
	v_add3_u32 v0, v3, v0, 0x88fffff
	v_lshrrev_b32_e32 v0, 21, v0
	s_andn2_saveexec_b32 s12, s12
	s_cbranch_execnz .LBB15_1303
.LBB15_1024:
	s_or_b32 exec_lo, exec_lo, s12
	v_mov_b32_e32 v4, 0
	s_and_saveexec_b32 s12, s11
.LBB15_1025:
	v_lshrrev_b32_e32 v4, 24, v3
	v_and_or_b32 v4, 0x80, v4, v0
.LBB15_1026:
	s_or_b32 exec_lo, exec_lo, s12
.LBB15_1027:
	s_or_b32 exec_lo, exec_lo, s10
	s_mov_b32 s10, 0
	global_store_byte v[1:2], v4, off
.LBB15_1028:
	s_and_b32 vcc_lo, exec_lo, s10
	s_cbranch_vccz .LBB15_1038
; %bb.1029:
	v_and_b32_e32 v4, 0x7fffffff, v3
	s_mov_b32 s10, exec_lo
                                        ; implicit-def: $vgpr0
	v_cmpx_gt_u32_e32 0x43f00000, v4
	s_xor_b32 s10, exec_lo, s10
	s_cbranch_execz .LBB15_1035
; %bb.1030:
	s_mov_b32 s11, exec_lo
                                        ; implicit-def: $vgpr0
	v_cmpx_lt_u32_e32 0x3c7fffff, v4
	s_xor_b32 s11, exec_lo, s11
; %bb.1031:
	v_bfe_u32 v0, v3, 20, 1
	v_add3_u32 v0, v3, v0, 0x407ffff
	v_and_b32_e32 v4, 0xff00000, v0
	v_lshrrev_b32_e32 v0, 20, v0
	v_cmp_ne_u32_e32 vcc_lo, 0x7f00000, v4
	v_cndmask_b32_e32 v0, 0x7e, v0, vcc_lo
; %bb.1032:
	s_andn2_saveexec_b32 s11, s11
; %bb.1033:
	v_add_f32_e64 v0, 0x46800000, |v3|
; %bb.1034:
	s_or_b32 exec_lo, exec_lo, s11
                                        ; implicit-def: $vgpr4
.LBB15_1035:
	s_andn2_saveexec_b32 s10, s10
; %bb.1036:
	v_mov_b32_e32 v0, 0x7f
	v_cmp_lt_u32_e32 vcc_lo, 0x7f800000, v4
	v_cndmask_b32_e32 v0, 0x7e, v0, vcc_lo
; %bb.1037:
	s_or_b32 exec_lo, exec_lo, s10
	v_lshrrev_b32_e32 v4, 24, v3
	v_and_or_b32 v0, 0x80, v4, v0
	global_store_byte v[1:2], v0, off
.LBB15_1038:
	s_mov_b32 s10, 0
.LBB15_1039:
	s_andn2_b32 vcc_lo, exec_lo, s10
	s_cbranch_vccnz .LBB15_1049
; %bb.1040:
	v_and_b32_e32 v4, 0x7fffffff, v3
	s_mov_b32 s10, exec_lo
                                        ; implicit-def: $vgpr0
	v_cmpx_gt_u32_e32 0x47800000, v4
	s_xor_b32 s10, exec_lo, s10
	s_cbranch_execz .LBB15_1046
; %bb.1041:
	s_mov_b32 s11, exec_lo
                                        ; implicit-def: $vgpr0
	v_cmpx_lt_u32_e32 0x387fffff, v4
	s_xor_b32 s11, exec_lo, s11
; %bb.1042:
	v_bfe_u32 v0, v3, 21, 1
	v_add3_u32 v0, v3, v0, 0x80fffff
	v_lshrrev_b32_e32 v0, 21, v0
; %bb.1043:
	s_andn2_saveexec_b32 s11, s11
; %bb.1044:
	v_add_f32_e64 v0, 0x43000000, |v3|
; %bb.1045:
	s_or_b32 exec_lo, exec_lo, s11
                                        ; implicit-def: $vgpr4
.LBB15_1046:
	s_andn2_saveexec_b32 s10, s10
; %bb.1047:
	v_mov_b32_e32 v0, 0x7f
	v_cmp_lt_u32_e32 vcc_lo, 0x7f800000, v4
	v_cndmask_b32_e32 v0, 0x7c, v0, vcc_lo
; %bb.1048:
	s_or_b32 exec_lo, exec_lo, s10
	v_lshrrev_b32_e32 v4, 24, v3
	v_and_or_b32 v0, 0x80, v4, v0
	global_store_byte v[1:2], v0, off
.LBB15_1049:
	s_mov_b32 s10, 0
.LBB15_1050:
	s_andn2_b32 vcc_lo, exec_lo, s10
	s_mov_b32 s10, 0
	s_cbranch_vccnz .LBB15_1061
; %bb.1051:
	s_cmp_gt_i32 s8, 14
	s_mov_b32 s10, -1
	s_cbranch_scc0 .LBB15_1055
; %bb.1052:
	s_cmp_eq_u32 s8, 15
	s_mov_b32 s0, -1
	s_cbranch_scc0 .LBB15_1054
; %bb.1053:
	v_bfe_u32 v0, v3, 16, 1
	v_cmp_o_f32_e32 vcc_lo, v3, v3
	v_mov_b32_e32 v4, 0x7fc0
	s_mov_b32 s0, 0
	v_add3_u32 v0, v3, v0, 0x7fff
	v_cndmask_b32_sdwa v0, v4, v0, vcc_lo dst_sel:DWORD dst_unused:UNUSED_PAD src0_sel:DWORD src1_sel:WORD_1
	global_store_short v[1:2], v0, off
.LBB15_1054:
	s_mov_b32 s10, 0
.LBB15_1055:
	s_and_b32 vcc_lo, exec_lo, s10
	s_mov_b32 s10, 0
	s_cbranch_vccz .LBB15_1061
; %bb.1056:
	s_cmp_lg_u32 s8, 11
	s_mov_b32 s10, -1
	s_cselect_b32 s8, -1, 0
	s_andn2_b32 s0, s0, exec_lo
	s_and_b32 s8, s8, exec_lo
	s_or_b32 s0, s0, s8
	s_branch .LBB15_1061
.LBB15_1057:
	s_or_b32 exec_lo, exec_lo, s7
	s_and_saveexec_b32 s0, s36
	s_cbranch_execnz .LBB15_1062
.LBB15_1058:
	s_or_b32 exec_lo, exec_lo, s0
	s_and_saveexec_b32 s0, s10
	s_xor_b32 s0, exec_lo, s0
	s_cbranch_execz .LBB15_1063
.LBB15_1059:
	s_waitcnt vmcnt(0)
	v_cmp_neq_f32_e32 vcc_lo, 0, v3
	v_cndmask_b32_e64 v0, 0, 1, vcc_lo
	global_store_byte v[1:2], v0, off
	s_or_b32 exec_lo, exec_lo, s0
	s_and_saveexec_b32 s0, s11
	s_xor_b32 s0, exec_lo, s0
	s_cbranch_execz .LBB15_1101
	s_branch .LBB15_1064
.LBB15_1060:
	s_mov_b32 s10, 0
.LBB15_1061:
	s_andn2_b32 s8, s36, exec_lo
	s_and_b32 s0, s0, exec_lo
	s_and_b32 s11, s9, exec_lo
	;; [unrolled: 1-line block ×3, first 2 shown]
	s_or_b32 s36, s8, s0
	s_or_b32 exec_lo, exec_lo, s7
	s_and_saveexec_b32 s0, s36
	s_cbranch_execz .LBB15_1058
.LBB15_1062:
	s_or_b32 s6, s6, exec_lo
	s_andn2_b32 s10, s10, exec_lo
	s_trap 2
	s_or_b32 exec_lo, exec_lo, s0
	s_and_saveexec_b32 s0, s10
	s_xor_b32 s0, exec_lo, s0
	s_cbranch_execnz .LBB15_1059
.LBB15_1063:
	s_or_b32 exec_lo, exec_lo, s0
	s_and_saveexec_b32 s0, s11
	s_xor_b32 s0, exec_lo, s0
	s_cbranch_execz .LBB15_1101
.LBB15_1064:
	s_sext_i32_i16 s8, s1
	s_mov_b32 s7, -1
	s_cmp_lt_i32 s8, 5
	s_cbranch_scc1 .LBB15_1085
; %bb.1065:
	s_cmp_lt_i32 s8, 8
	s_cbranch_scc1 .LBB15_1075
; %bb.1066:
	s_cmp_lt_i32 s8, 9
	s_cbranch_scc1 .LBB15_1072
; %bb.1067:
	s_cmp_gt_i32 s8, 9
	s_cbranch_scc0 .LBB15_1069
; %bb.1068:
	s_waitcnt vmcnt(0)
	v_cvt_f64_f32_e32 v[4:5], v3
	v_mov_b32_e32 v6, 0
	s_mov_b32 s7, 0
	v_mov_b32_e32 v7, v6
	global_store_dwordx4 v[1:2], v[4:7], off
.LBB15_1069:
	s_andn2_b32 vcc_lo, exec_lo, s7
	s_cbranch_vccnz .LBB15_1071
; %bb.1070:
	s_waitcnt vmcnt(0)
	v_mov_b32_e32 v4, 0
	global_store_dwordx2 v[1:2], v[3:4], off
.LBB15_1071:
	s_mov_b32 s7, 0
.LBB15_1072:
	s_andn2_b32 vcc_lo, exec_lo, s7
	s_cbranch_vccnz .LBB15_1074
; %bb.1073:
	s_waitcnt vmcnt(0)
	v_cvt_f16_f32_e32 v0, v3
	v_and_b32_e32 v0, 0xffff, v0
	global_store_dword v[1:2], v0, off
.LBB15_1074:
	s_mov_b32 s7, 0
.LBB15_1075:
	s_andn2_b32 vcc_lo, exec_lo, s7
	s_cbranch_vccnz .LBB15_1084
; %bb.1076:
	s_sext_i32_i16 s8, s1
	s_mov_b32 s7, -1
	s_cmp_lt_i32 s8, 6
	s_cbranch_scc1 .LBB15_1082
; %bb.1077:
	s_cmp_gt_i32 s8, 6
	s_cbranch_scc0 .LBB15_1079
; %bb.1078:
	s_waitcnt vmcnt(0)
	v_cvt_f64_f32_e32 v[4:5], v3
	s_mov_b32 s7, 0
	global_store_dwordx2 v[1:2], v[4:5], off
.LBB15_1079:
	s_andn2_b32 vcc_lo, exec_lo, s7
	s_cbranch_vccnz .LBB15_1081
; %bb.1080:
	s_waitcnt vmcnt(0)
	global_store_dword v[1:2], v3, off
.LBB15_1081:
	s_mov_b32 s7, 0
.LBB15_1082:
	s_andn2_b32 vcc_lo, exec_lo, s7
	s_cbranch_vccnz .LBB15_1084
; %bb.1083:
	s_waitcnt vmcnt(0)
	v_cvt_f16_f32_e32 v0, v3
	global_store_short v[1:2], v0, off
.LBB15_1084:
	s_mov_b32 s7, 0
.LBB15_1085:
	s_andn2_b32 vcc_lo, exec_lo, s7
	s_cbranch_vccnz .LBB15_1101
; %bb.1086:
	s_sext_i32_i16 s8, s1
	s_mov_b32 s7, -1
	s_cmp_lt_i32 s8, 2
	s_cbranch_scc1 .LBB15_1096
; %bb.1087:
	s_cmp_lt_i32 s8, 3
	s_cbranch_scc1 .LBB15_1093
; %bb.1088:
	s_cmp_gt_i32 s8, 3
	s_cbranch_scc0 .LBB15_1090
; %bb.1089:
	s_waitcnt vmcnt(0)
	v_trunc_f32_e32 v0, v3
	s_mov_b32 s7, 0
	v_mul_f32_e64 v4, 0x2f800000, |v0|
	v_floor_f32_e32 v4, v4
	v_fma_f32 v5, 0xcf800000, v4, |v0|
	v_ashrrev_i32_e32 v0, 31, v0
	v_cvt_u32_f32_e32 v4, v4
	v_cvt_u32_f32_e32 v5, v5
	v_xor_b32_e32 v6, v4, v0
	v_xor_b32_e32 v5, v5, v0
	v_sub_co_u32 v4, vcc_lo, v5, v0
	v_sub_co_ci_u32_e64 v5, null, v6, v0, vcc_lo
	global_store_dwordx2 v[1:2], v[4:5], off
.LBB15_1090:
	s_andn2_b32 vcc_lo, exec_lo, s7
	s_cbranch_vccnz .LBB15_1092
; %bb.1091:
	s_waitcnt vmcnt(0)
	v_cvt_i32_f32_e32 v0, v3
	global_store_dword v[1:2], v0, off
.LBB15_1092:
	s_mov_b32 s7, 0
.LBB15_1093:
	s_andn2_b32 vcc_lo, exec_lo, s7
	s_cbranch_vccnz .LBB15_1095
; %bb.1094:
	s_waitcnt vmcnt(0)
	v_cvt_i32_f32_e32 v0, v3
	global_store_short v[1:2], v0, off
.LBB15_1095:
	s_mov_b32 s7, 0
.LBB15_1096:
	s_andn2_b32 vcc_lo, exec_lo, s7
	s_cbranch_vccnz .LBB15_1101
; %bb.1097:
	s_sext_i32_i16 s1, s1
	s_cmp_gt_i32 s1, 0
	s_mov_b32 s1, -1
	s_cbranch_scc0 .LBB15_1099
; %bb.1098:
	s_waitcnt vmcnt(0)
	v_cvt_i32_f32_e32 v0, v3
	s_mov_b32 s1, 0
	global_store_byte v[1:2], v0, off
.LBB15_1099:
	s_andn2_b32 vcc_lo, exec_lo, s1
	s_cbranch_vccnz .LBB15_1101
; %bb.1100:
	s_waitcnt vmcnt(0)
	v_trunc_f32_e32 v0, v3
	v_mul_f32_e64 v3, 0x2f800000, |v0|
	v_floor_f32_e32 v3, v3
	v_fma_f32 v3, 0xcf800000, v3, |v0|
	v_ashrrev_i32_e32 v0, 31, v0
	v_cvt_u32_f32_e32 v3, v3
	v_xor_b32_e32 v3, v3, v0
	v_sub_nc_u32_e32 v0, v3, v0
	global_store_byte v[1:2], v0, off
.LBB15_1101:
	s_or_b32 exec_lo, exec_lo, s0
	s_and_b32 s12, s6, exec_lo
                                        ; implicit-def: $vgpr15
                                        ; implicit-def: $vgpr8
.LBB15_1102:
	s_or_saveexec_b32 s13, s28
	s_mov_b32 s0, 0
                                        ; implicit-def: $vgpr0_vgpr1
                                        ; implicit-def: $sgpr1
                                        ; implicit-def: $vgpr2
	s_xor_b32 exec_lo, exec_lo, s13
	s_cbranch_execz .LBB15_2123
; %bb.1103:
	v_cndmask_b32_e64 v0, 0, 1, s27
	s_andn2_b32 vcc_lo, exec_lo, s27
	s_cbranch_vccnz .LBB15_1109
; %bb.1104:
	s_cmp_lg_u32 s24, 0
	s_mov_b32 s8, 0
	s_cbranch_scc0 .LBB15_1110
; %bb.1105:
	s_min_u32 s10, s25, 15
	s_add_i32 s10, s10, 1
	s_cmp_eq_u32 s25, 2
	s_cbranch_scc1 .LBB15_1111
; %bb.1106:
	v_mov_b32_e32 v13, 0
	v_mov_b32_e32 v6, 0
	;; [unrolled: 1-line block ×3, first 2 shown]
	s_and_b32 s9, s10, 28
	s_add_u32 s0, s2, 0xc4
	s_addc_u32 s1, s3, 0
	s_mov_b32 s11, 0
	s_mov_b64 s[6:7], s[2:3]
.LBB15_1107:                            ; =>This Inner Loop Header: Depth=1
	s_clause 0x1
	s_load_dwordx8 s[16:23], s[6:7], 0x4
	s_load_dwordx4 s[28:31], s[6:7], 0x24
	s_load_dwordx8 s[36:43], s[0:1], 0x0
	s_add_u32 s6, s6, 48
	s_addc_u32 s7, s7, 0
	s_add_i32 s11, s11, 4
	s_add_u32 s0, s0, 32
	s_addc_u32 s1, s1, 0
	s_cmp_lg_u32 s9, s11
	s_waitcnt lgkmcnt(0)
	v_mul_hi_u32 v2, s17, v1
	v_add_nc_u32_e32 v2, v1, v2
	v_lshrrev_b32_e32 v2, s18, v2
	s_waitcnt vmcnt(0)
	v_mul_hi_u32 v3, s20, v2
	v_mul_lo_u32 v5, v2, s16
	v_add_nc_u32_e32 v3, v2, v3
	v_sub_nc_u32_e32 v1, v1, v5
	v_lshrrev_b32_e32 v3, s21, v3
	v_mul_lo_u32 v5, v1, s36
	v_mul_lo_u32 v9, v1, s37
	v_mul_hi_u32 v4, s23, v3
	v_add_nc_u32_e32 v4, v3, v4
	v_lshrrev_b32_e32 v4, s28, v4
	v_mul_hi_u32 v7, s30, v4
	v_mul_lo_u32 v10, v4, s22
	v_add_nc_u32_e32 v1, v4, v7
	v_mul_lo_u32 v7, v3, s19
	v_sub_nc_u32_e32 v3, v3, v10
	v_lshrrev_b32_e32 v1, s31, v1
	v_mul_lo_u32 v10, v3, s40
	v_mul_lo_u32 v3, v3, s41
	v_sub_nc_u32_e32 v2, v2, v7
	v_mul_lo_u32 v11, v1, s29
	v_mul_lo_u32 v7, v2, s38
	;; [unrolled: 1-line block ×3, first 2 shown]
	v_sub_nc_u32_e32 v4, v4, v11
	v_add3_u32 v5, v5, v6, v7
	v_mul_lo_u32 v11, v4, s42
	v_mul_lo_u32 v4, v4, s43
	v_add3_u32 v2, v9, v13, v2
	v_add3_u32 v6, v10, v5, v11
	;; [unrolled: 1-line block ×3, first 2 shown]
	s_cbranch_scc1 .LBB15_1107
; %bb.1108:
	s_and_b32 s10, s10, 3
	s_cmp_eq_u32 s10, 0
	s_cbranch_scc0 .LBB15_1112
	s_branch .LBB15_1114
.LBB15_1109:
	s_mov_b32 s8, -1
                                        ; implicit-def: $vgpr6
                                        ; implicit-def: $vgpr13
	s_branch .LBB15_1114
.LBB15_1110:
	v_mov_b32_e32 v6, 0
	v_mov_b32_e32 v13, 0
	s_branch .LBB15_1114
.LBB15_1111:
	v_mov_b32_e32 v6, 0
	v_mov_b32_e32 v13, 0
	;; [unrolled: 1-line block ×3, first 2 shown]
	s_mov_b32 s9, 0
	s_and_b32 s10, s10, 3
	s_cmp_eq_u32 s10, 0
	s_cbranch_scc1 .LBB15_1114
.LBB15_1112:
	s_lshl_b32 s0, s9, 3
	s_mul_i32 s6, s9, 12
	s_add_u32 s0, s2, s0
	s_addc_u32 s1, s3, 0
	s_add_u32 s0, s0, 0xc4
	s_addc_u32 s1, s1, 0
	;; [unrolled: 2-line block ×3, first 2 shown]
	.p2align	6
.LBB15_1113:                            ; =>This Inner Loop Header: Depth=1
	s_clause 0x1
	s_load_dwordx2 s[14:15], s[6:7], 0x4
	s_load_dword s9, s[6:7], 0xc
	s_load_dwordx2 s[16:17], s[0:1], 0x0
	s_add_u32 s6, s6, 12
	s_addc_u32 s7, s7, 0
	s_add_u32 s0, s0, 8
	s_addc_u32 s1, s1, 0
	s_add_i32 s10, s10, -1
	s_cmp_lg_u32 s10, 0
	s_waitcnt lgkmcnt(0)
	v_mul_hi_u32 v2, s15, v1
	v_add_nc_u32_e32 v2, v1, v2
	v_lshrrev_b32_e32 v2, s9, v2
	s_waitcnt vmcnt(0)
	v_mul_lo_u32 v3, v2, s14
	v_sub_nc_u32_e32 v1, v1, v3
	v_mad_u64_u32 v[6:7], null, v1, s16, v[6:7]
	v_mad_u64_u32 v[13:14], null, v1, s17, v[13:14]
	v_mov_b32_e32 v1, v2
	s_cbranch_scc1 .LBB15_1113
.LBB15_1114:
	s_andn2_b32 vcc_lo, exec_lo, s8
	s_cbranch_vccnz .LBB15_1117
; %bb.1115:
	s_clause 0x1
	s_load_dwordx4 s[8:11], s[2:3], 0x4
	s_load_dwordx2 s[0:1], s[2:3], 0xc4
	s_cmp_lt_u32 s24, 2
	s_waitcnt lgkmcnt(0)
	v_mul_hi_u32 v1, s9, v8
	v_add_nc_u32_e32 v1, v8, v1
	v_lshrrev_b32_e32 v1, s10, v1
	v_mul_lo_u32 v2, v1, s8
	v_sub_nc_u32_e32 v2, v8, v2
	v_mul_lo_u32 v6, v2, s0
	v_mul_lo_u32 v13, v2, s1
	s_cbranch_scc1 .LBB15_1117
; %bb.1116:
	s_clause 0x1
	s_load_dwordx4 s[8:11], s[2:3], 0x10
	s_load_dwordx2 s[0:1], s[2:3], 0xcc
	s_waitcnt lgkmcnt(0)
	v_mul_hi_u32 v2, s9, v1
	v_add_nc_u32_e32 v2, v1, v2
	v_lshrrev_b32_e32 v2, s10, v2
	v_mul_lo_u32 v2, v2, s8
	v_sub_nc_u32_e32 v1, v1, v2
	v_mad_u64_u32 v[6:7], null, v1, s0, v[6:7]
	v_mad_u64_u32 v[13:14], null, v1, s1, v[13:14]
.LBB15_1117:
	v_cmp_ne_u32_e32 vcc_lo, 1, v0
	v_add_nc_u32_e32 v1, 0x80, v8
	s_cbranch_vccnz .LBB15_1123
; %bb.1118:
	s_cmp_lg_u32 s24, 0
	s_mov_b32 s8, 0
	s_cbranch_scc0 .LBB15_1124
; %bb.1119:
	s_min_u32 s10, s25, 15
	s_add_i32 s10, s10, 1
	s_cmp_eq_u32 s25, 2
	s_cbranch_scc1 .LBB15_1125
; %bb.1120:
	v_mov_b32_e32 v11, 0
	s_waitcnt vmcnt(0)
	v_mov_b32_e32 v4, 0
	v_mov_b32_e32 v2, v1
	s_and_b32 s9, s10, 28
	s_add_u32 s0, s2, 0xc4
	s_addc_u32 s1, s3, 0
	s_mov_b32 s11, 0
	s_mov_b64 s[6:7], s[2:3]
.LBB15_1121:                            ; =>This Inner Loop Header: Depth=1
	s_clause 0x1
	s_load_dwordx8 s[16:23], s[6:7], 0x4
	s_load_dwordx4 s[28:31], s[6:7], 0x24
	s_load_dwordx8 s[36:43], s[0:1], 0x0
	s_add_u32 s6, s6, 48
	s_addc_u32 s7, s7, 0
	s_add_i32 s11, s11, 4
	s_add_u32 s0, s0, 32
	s_addc_u32 s1, s1, 0
	s_cmp_lg_u32 s9, s11
	s_waitcnt lgkmcnt(0)
	v_mul_hi_u32 v3, s17, v2
	v_add_nc_u32_e32 v3, v2, v3
	v_lshrrev_b32_e32 v3, s18, v3
	v_mul_hi_u32 v5, s20, v3
	v_mul_lo_u32 v9, v3, s16
	v_add_nc_u32_e32 v5, v3, v5
	v_sub_nc_u32_e32 v2, v2, v9
	v_lshrrev_b32_e32 v5, s21, v5
	v_mul_lo_u32 v9, v2, s36
	v_mul_lo_u32 v12, v2, s37
	v_mul_hi_u32 v7, s23, v5
	v_add_nc_u32_e32 v7, v5, v7
	v_lshrrev_b32_e32 v7, s28, v7
	v_mul_hi_u32 v10, s30, v7
	v_mul_lo_u32 v14, v7, s22
	v_add_nc_u32_e32 v2, v7, v10
	v_mul_lo_u32 v10, v5, s19
	v_sub_nc_u32_e32 v5, v5, v14
	v_lshrrev_b32_e32 v2, s31, v2
	v_mul_lo_u32 v14, v5, s40
	v_mul_lo_u32 v5, v5, s41
	v_sub_nc_u32_e32 v3, v3, v10
	v_mul_lo_u32 v16, v2, s29
	v_mul_lo_u32 v10, v3, s38
	;; [unrolled: 1-line block ×3, first 2 shown]
	v_sub_nc_u32_e32 v7, v7, v16
	v_add3_u32 v4, v9, v4, v10
	v_mul_lo_u32 v16, v7, s42
	v_mul_lo_u32 v7, v7, s43
	v_add3_u32 v3, v12, v11, v3
	v_add3_u32 v4, v14, v4, v16
	;; [unrolled: 1-line block ×3, first 2 shown]
	s_cbranch_scc1 .LBB15_1121
; %bb.1122:
	s_and_b32 s10, s10, 3
	s_cmp_eq_u32 s10, 0
	s_cbranch_scc0 .LBB15_1126
	s_branch .LBB15_1128
.LBB15_1123:
	s_mov_b32 s8, -1
                                        ; implicit-def: $vgpr4
                                        ; implicit-def: $vgpr11
	s_branch .LBB15_1128
.LBB15_1124:
	s_waitcnt vmcnt(0)
	v_mov_b32_e32 v4, 0
	v_mov_b32_e32 v11, 0
	s_branch .LBB15_1128
.LBB15_1125:
	s_waitcnt vmcnt(0)
	v_mov_b32_e32 v4, 0
	v_mov_b32_e32 v11, 0
	;; [unrolled: 1-line block ×3, first 2 shown]
	s_mov_b32 s9, 0
	s_and_b32 s10, s10, 3
	s_cmp_eq_u32 s10, 0
	s_cbranch_scc1 .LBB15_1128
.LBB15_1126:
	s_lshl_b32 s0, s9, 3
	s_mul_i32 s6, s9, 12
	s_add_u32 s0, s2, s0
	s_addc_u32 s1, s3, 0
	s_add_u32 s0, s0, 0xc4
	s_addc_u32 s1, s1, 0
	;; [unrolled: 2-line block ×3, first 2 shown]
	.p2align	6
.LBB15_1127:                            ; =>This Inner Loop Header: Depth=1
	s_clause 0x1
	s_load_dwordx2 s[14:15], s[6:7], 0x4
	s_load_dword s9, s[6:7], 0xc
	s_load_dwordx2 s[16:17], s[0:1], 0x0
	s_add_u32 s6, s6, 12
	s_addc_u32 s7, s7, 0
	s_add_u32 s0, s0, 8
	s_addc_u32 s1, s1, 0
	s_add_i32 s10, s10, -1
	s_cmp_lg_u32 s10, 0
	s_waitcnt lgkmcnt(0)
	v_mul_hi_u32 v3, s15, v2
	v_add_nc_u32_e32 v3, v2, v3
	v_lshrrev_b32_e32 v3, s9, v3
	v_mul_lo_u32 v5, v3, s14
	v_sub_nc_u32_e32 v2, v2, v5
	v_mad_u64_u32 v[4:5], null, v2, s16, v[4:5]
	v_mad_u64_u32 v[11:12], null, v2, s17, v[11:12]
	v_mov_b32_e32 v2, v3
	s_cbranch_scc1 .LBB15_1127
.LBB15_1128:
	s_andn2_b32 vcc_lo, exec_lo, s8
	s_cbranch_vccnz .LBB15_1131
; %bb.1129:
	s_clause 0x1
	s_load_dwordx4 s[8:11], s[2:3], 0x4
	s_load_dwordx2 s[0:1], s[2:3], 0xc4
	s_cmp_lt_u32 s24, 2
	s_waitcnt lgkmcnt(0)
	v_mul_hi_u32 v2, s9, v1
	v_add_nc_u32_e32 v2, v1, v2
	v_lshrrev_b32_e32 v2, s10, v2
	s_waitcnt vmcnt(0)
	v_mul_lo_u32 v3, v2, s8
	v_sub_nc_u32_e32 v1, v1, v3
	v_mul_lo_u32 v4, v1, s0
	v_mul_lo_u32 v11, v1, s1
	s_cbranch_scc1 .LBB15_1131
; %bb.1130:
	s_clause 0x1
	s_load_dwordx4 s[8:11], s[2:3], 0x10
	s_load_dwordx2 s[0:1], s[2:3], 0xcc
	s_waitcnt lgkmcnt(0)
	v_mul_hi_u32 v1, s9, v2
	v_add_nc_u32_e32 v1, v2, v1
	v_lshrrev_b32_e32 v1, s10, v1
	v_mul_lo_u32 v1, v1, s8
	v_sub_nc_u32_e32 v1, v2, v1
	v_mad_u64_u32 v[4:5], null, v1, s0, v[4:5]
	v_mad_u64_u32 v[11:12], null, v1, s1, v[11:12]
.LBB15_1131:
	v_cmp_ne_u32_e32 vcc_lo, 1, v0
	v_add_nc_u32_e32 v1, 0x100, v8
	s_cbranch_vccnz .LBB15_1137
; %bb.1132:
	s_cmp_lg_u32 s24, 0
	s_mov_b32 s8, 0
	s_cbranch_scc0 .LBB15_1138
; %bb.1133:
	s_min_u32 s10, s25, 15
	s_add_i32 s10, s10, 1
	s_cmp_eq_u32 s25, 2
	s_cbranch_scc1 .LBB15_1139
; %bb.1134:
	v_mov_b32_e32 v9, 0
	v_mov_b32_e32 v2, 0
	s_waitcnt vmcnt(0)
	v_mov_b32_e32 v3, v1
	s_and_b32 s9, s10, 28
	s_add_u32 s0, s2, 0xc4
	s_addc_u32 s1, s3, 0
	s_mov_b32 s11, 0
	s_mov_b64 s[6:7], s[2:3]
.LBB15_1135:                            ; =>This Inner Loop Header: Depth=1
	s_clause 0x1
	s_load_dwordx8 s[16:23], s[6:7], 0x4
	s_load_dwordx4 s[28:31], s[6:7], 0x24
	s_load_dwordx8 s[36:43], s[0:1], 0x0
	s_add_u32 s6, s6, 48
	s_addc_u32 s7, s7, 0
	s_add_i32 s11, s11, 4
	s_add_u32 s0, s0, 32
	s_addc_u32 s1, s1, 0
	s_cmp_lg_u32 s9, s11
	s_waitcnt lgkmcnt(0)
	v_mul_hi_u32 v5, s17, v3
	v_add_nc_u32_e32 v5, v3, v5
	v_lshrrev_b32_e32 v5, s18, v5
	v_mul_hi_u32 v7, s20, v5
	v_mul_lo_u32 v10, v5, s16
	v_add_nc_u32_e32 v7, v5, v7
	v_sub_nc_u32_e32 v3, v3, v10
	v_lshrrev_b32_e32 v7, s21, v7
	v_mul_lo_u32 v10, v3, s36
	v_mul_lo_u32 v14, v3, s37
	v_mul_hi_u32 v8, s23, v7
	v_add_nc_u32_e32 v8, v7, v8
	v_lshrrev_b32_e32 v8, s28, v8
	v_mul_hi_u32 v12, s30, v8
	v_mul_lo_u32 v16, v8, s22
	v_add_nc_u32_e32 v3, v8, v12
	v_mul_lo_u32 v12, v7, s19
	v_sub_nc_u32_e32 v7, v7, v16
	v_lshrrev_b32_e32 v3, s31, v3
	v_mul_lo_u32 v16, v7, s40
	v_mul_lo_u32 v7, v7, s41
	v_sub_nc_u32_e32 v5, v5, v12
	v_mul_lo_u32 v17, v3, s29
	v_mul_lo_u32 v12, v5, s38
	v_mul_lo_u32 v5, v5, s39
	v_sub_nc_u32_e32 v8, v8, v17
	v_add3_u32 v2, v10, v2, v12
	v_mul_lo_u32 v17, v8, s42
	v_mul_lo_u32 v8, v8, s43
	v_add3_u32 v5, v14, v9, v5
	v_add3_u32 v2, v16, v2, v17
	;; [unrolled: 1-line block ×3, first 2 shown]
	s_cbranch_scc1 .LBB15_1135
; %bb.1136:
	s_and_b32 s10, s10, 3
	s_cmp_eq_u32 s10, 0
	s_cbranch_scc0 .LBB15_1140
	s_branch .LBB15_1142
.LBB15_1137:
	s_mov_b32 s8, -1
                                        ; implicit-def: $vgpr2
                                        ; implicit-def: $vgpr9
	s_branch .LBB15_1142
.LBB15_1138:
	v_mov_b32_e32 v2, 0
	v_mov_b32_e32 v9, 0
	s_branch .LBB15_1142
.LBB15_1139:
	v_mov_b32_e32 v2, 0
	v_mov_b32_e32 v9, 0
	s_waitcnt vmcnt(0)
	v_mov_b32_e32 v3, v1
	s_mov_b32 s9, 0
	s_and_b32 s10, s10, 3
	s_cmp_eq_u32 s10, 0
	s_cbranch_scc1 .LBB15_1142
.LBB15_1140:
	s_lshl_b32 s0, s9, 3
	s_mul_i32 s6, s9, 12
	s_add_u32 s0, s2, s0
	s_addc_u32 s1, s3, 0
	s_add_u32 s0, s0, 0xc4
	s_addc_u32 s1, s1, 0
	;; [unrolled: 2-line block ×3, first 2 shown]
	.p2align	6
.LBB15_1141:                            ; =>This Inner Loop Header: Depth=1
	s_clause 0x1
	s_load_dwordx2 s[14:15], s[6:7], 0x4
	s_load_dword s9, s[6:7], 0xc
	s_load_dwordx2 s[16:17], s[0:1], 0x0
	s_add_u32 s6, s6, 12
	s_addc_u32 s7, s7, 0
	s_add_u32 s0, s0, 8
	s_addc_u32 s1, s1, 0
	s_add_i32 s10, s10, -1
	s_cmp_lg_u32 s10, 0
	s_waitcnt lgkmcnt(0)
	v_mul_hi_u32 v5, s15, v3
	v_add_nc_u32_e32 v5, v3, v5
	v_lshrrev_b32_e32 v5, s9, v5
	v_mul_lo_u32 v7, v5, s14
	v_sub_nc_u32_e32 v7, v3, v7
	v_mad_u64_u32 v[2:3], null, v7, s16, v[2:3]
	v_mad_u64_u32 v[9:10], null, v7, s17, v[9:10]
	v_mov_b32_e32 v3, v5
	s_cbranch_scc1 .LBB15_1141
.LBB15_1142:
	s_andn2_b32 vcc_lo, exec_lo, s8
	s_cbranch_vccnz .LBB15_1145
; %bb.1143:
	s_clause 0x1
	s_load_dwordx4 s[8:11], s[2:3], 0x4
	s_load_dwordx2 s[0:1], s[2:3], 0xc4
	s_cmp_lt_u32 s24, 2
	s_waitcnt lgkmcnt(0)
	v_mul_hi_u32 v2, s9, v1
	v_add_nc_u32_e32 v2, v1, v2
	s_waitcnt vmcnt(0)
	v_lshrrev_b32_e32 v3, s10, v2
	v_mul_lo_u32 v2, v3, s8
	v_sub_nc_u32_e32 v1, v1, v2
	v_mul_lo_u32 v2, v1, s0
	v_mul_lo_u32 v9, v1, s1
	s_cbranch_scc1 .LBB15_1145
; %bb.1144:
	s_clause 0x1
	s_load_dwordx4 s[8:11], s[2:3], 0x10
	s_load_dwordx2 s[0:1], s[2:3], 0xcc
	s_waitcnt lgkmcnt(0)
	v_mul_hi_u32 v1, s9, v3
	v_add_nc_u32_e32 v1, v3, v1
	v_lshrrev_b32_e32 v1, s10, v1
	v_mul_lo_u32 v1, v1, s8
	v_sub_nc_u32_e32 v1, v3, v1
	v_mad_u64_u32 v[2:3], null, v1, s0, v[2:3]
	v_mad_u64_u32 v[9:10], null, v1, s1, v[9:10]
.LBB15_1145:
	v_cmp_ne_u32_e32 vcc_lo, 1, v0
	s_cbranch_vccnz .LBB15_1151
; %bb.1146:
	s_cmp_lg_u32 s24, 0
	s_mov_b32 s8, 0
	s_cbranch_scc0 .LBB15_1152
; %bb.1147:
	s_min_u32 s10, s25, 15
	s_add_i32 s10, s10, 1
	s_cmp_eq_u32 s25, 2
	s_cbranch_scc1 .LBB15_1153
; %bb.1148:
	v_mov_b32_e32 v7, 0
	v_mov_b32_e32 v0, 0
	;; [unrolled: 1-line block ×3, first 2 shown]
	s_and_b32 s9, s10, 28
	s_add_u32 s0, s2, 0xc4
	s_addc_u32 s1, s3, 0
	s_mov_b32 s11, 0
	s_mov_b64 s[6:7], s[2:3]
.LBB15_1149:                            ; =>This Inner Loop Header: Depth=1
	s_clause 0x1
	s_load_dwordx8 s[16:23], s[6:7], 0x4
	s_load_dwordx4 s[28:31], s[6:7], 0x24
	s_load_dwordx8 s[36:43], s[0:1], 0x0
	s_add_u32 s6, s6, 48
	s_addc_u32 s7, s7, 0
	s_add_i32 s11, s11, 4
	s_add_u32 s0, s0, 32
	s_addc_u32 s1, s1, 0
	s_cmp_lg_u32 s9, s11
	s_waitcnt vmcnt(0) lgkmcnt(0)
	v_mul_hi_u32 v3, s17, v1
	v_add_nc_u32_e32 v3, v1, v3
	v_lshrrev_b32_e32 v3, s18, v3
	v_mul_hi_u32 v5, s20, v3
	v_mul_lo_u32 v10, v3, s16
	v_add_nc_u32_e32 v5, v3, v5
	v_sub_nc_u32_e32 v1, v1, v10
	v_lshrrev_b32_e32 v5, s21, v5
	v_mul_lo_u32 v10, v1, s36
	v_mul_lo_u32 v14, v1, s37
	v_mul_hi_u32 v8, s23, v5
	v_add_nc_u32_e32 v8, v5, v8
	v_lshrrev_b32_e32 v8, s28, v8
	v_mul_hi_u32 v12, s30, v8
	v_mul_lo_u32 v16, v8, s22
	v_add_nc_u32_e32 v1, v8, v12
	v_mul_lo_u32 v12, v5, s19
	v_sub_nc_u32_e32 v5, v5, v16
	v_lshrrev_b32_e32 v1, s31, v1
	v_mul_lo_u32 v16, v5, s40
	v_mul_lo_u32 v5, v5, s41
	v_sub_nc_u32_e32 v3, v3, v12
	v_mul_lo_u32 v17, v1, s29
	v_mul_lo_u32 v12, v3, s38
	v_mul_lo_u32 v3, v3, s39
	v_sub_nc_u32_e32 v8, v8, v17
	v_add3_u32 v0, v10, v0, v12
	v_mul_lo_u32 v17, v8, s42
	v_mul_lo_u32 v8, v8, s43
	v_add3_u32 v3, v14, v7, v3
	v_add3_u32 v0, v16, v0, v17
	;; [unrolled: 1-line block ×3, first 2 shown]
	s_cbranch_scc1 .LBB15_1149
; %bb.1150:
	s_and_b32 s10, s10, 3
	s_cmp_eq_u32 s10, 0
	s_cbranch_scc0 .LBB15_1154
	s_branch .LBB15_1156
.LBB15_1151:
	s_mov_b32 s8, -1
                                        ; implicit-def: $vgpr0
                                        ; implicit-def: $vgpr7
	s_branch .LBB15_1156
.LBB15_1152:
	v_mov_b32_e32 v0, 0
	v_mov_b32_e32 v7, 0
	s_branch .LBB15_1156
.LBB15_1153:
	v_mov_b32_e32 v0, 0
	v_mov_b32_e32 v7, 0
	;; [unrolled: 1-line block ×3, first 2 shown]
	s_mov_b32 s9, 0
	s_and_b32 s10, s10, 3
	s_cmp_eq_u32 s10, 0
	s_cbranch_scc1 .LBB15_1156
.LBB15_1154:
	s_lshl_b32 s0, s9, 3
	s_mul_i32 s6, s9, 12
	s_add_u32 s0, s2, s0
	s_addc_u32 s1, s3, 0
	s_add_u32 s0, s0, 0xc4
	s_addc_u32 s1, s1, 0
	;; [unrolled: 2-line block ×3, first 2 shown]
	.p2align	6
.LBB15_1155:                            ; =>This Inner Loop Header: Depth=1
	s_clause 0x1
	s_load_dwordx2 s[14:15], s[6:7], 0x4
	s_load_dword s9, s[6:7], 0xc
	s_load_dwordx2 s[16:17], s[0:1], 0x0
	s_add_u32 s6, s6, 12
	s_addc_u32 s7, s7, 0
	s_add_u32 s0, s0, 8
	s_addc_u32 s1, s1, 0
	s_add_i32 s10, s10, -1
	s_cmp_lg_u32 s10, 0
	s_waitcnt vmcnt(0) lgkmcnt(0)
	v_mul_hi_u32 v3, s15, v1
	v_add_nc_u32_e32 v3, v1, v3
	v_lshrrev_b32_e32 v3, s9, v3
	v_mul_lo_u32 v5, v3, s14
	v_sub_nc_u32_e32 v5, v1, v5
	v_mad_u64_u32 v[0:1], null, v5, s16, v[0:1]
	v_mad_u64_u32 v[7:8], null, v5, s17, v[7:8]
	v_mov_b32_e32 v1, v3
	s_cbranch_scc1 .LBB15_1155
.LBB15_1156:
	s_andn2_b32 vcc_lo, exec_lo, s8
	s_cbranch_vccnz .LBB15_1159
; %bb.1157:
	s_clause 0x1
	s_load_dwordx4 s[8:11], s[2:3], 0x4
	s_load_dwordx2 s[0:1], s[2:3], 0xc4
	s_cmp_lt_u32 s24, 2
	s_waitcnt lgkmcnt(0)
	v_mul_hi_u32 v0, s9, v15
	v_add_nc_u32_e32 v0, v15, v0
	v_lshrrev_b32_e32 v1, s10, v0
	v_mul_lo_u32 v0, v1, s8
	s_waitcnt vmcnt(0)
	v_sub_nc_u32_e32 v3, v15, v0
	v_mul_lo_u32 v0, v3, s0
	v_mul_lo_u32 v7, v3, s1
	s_cbranch_scc1 .LBB15_1159
; %bb.1158:
	s_clause 0x1
	s_load_dwordx4 s[8:11], s[2:3], 0x10
	s_load_dwordx2 s[0:1], s[2:3], 0xcc
	s_waitcnt lgkmcnt(0)
	v_mul_hi_u32 v3, s9, v1
	v_add_nc_u32_e32 v3, v1, v3
	v_lshrrev_b32_e32 v3, s10, v3
	v_mul_lo_u32 v3, v3, s8
	v_sub_nc_u32_e32 v3, v1, v3
	v_mad_u64_u32 v[0:1], null, v3, s0, v[0:1]
	v_mad_u64_u32 v[7:8], null, v3, s1, v[7:8]
.LBB15_1159:
	s_clause 0x1
	s_load_dwordx4 s[8:11], s[2:3], 0x148
	s_load_dword s3, s[4:5], 0x160
	s_waitcnt lgkmcnt(0)
	v_add_co_u32 v12, s0, s10, v13
	v_add_co_ci_u32_e64 v13, null, s11, 0, s0
	s_bfe_u32 s0, s3, 0x80010
	s_cmp_lt_i32 s0, 11
	s_cbranch_scc1 .LBB15_1166
; %bb.1160:
	s_and_b32 s1, 0xffff, s0
	s_mov_b32 s4, 0
	s_cmp_gt_i32 s1, 25
	s_cbranch_scc0 .LBB15_1168
; %bb.1161:
	s_cmp_gt_i32 s1, 28
	s_cbranch_scc0 .LBB15_1169
; %bb.1162:
	;; [unrolled: 3-line block ×4, first 2 shown]
	s_cmp_eq_u32 s1, 46
	s_mov_b32 s6, 0
	s_cbranch_scc0 .LBB15_1174
; %bb.1165:
	global_load_dword v1, v[12:13], off
	s_mov_b32 s2, 0
	s_mov_b32 s5, -1
	s_waitcnt vmcnt(0)
	v_lshlrev_b32_e32 v1, 16, v1
	s_branch .LBB15_1176
.LBB15_1166:
	s_mov_b32 s5, 0
	s_mov_b32 s2, s12
                                        ; implicit-def: $vgpr1
	s_cbranch_execnz .LBB15_1239
.LBB15_1167:
	s_andn2_b32 vcc_lo, exec_lo, s5
	s_cbranch_vccz .LBB15_1284
	s_branch .LBB15_2121
.LBB15_1168:
	s_mov_b32 s5, 0
	s_mov_b32 s2, 0
                                        ; implicit-def: $vgpr1
	s_cbranch_execnz .LBB15_1204
	s_branch .LBB15_1235
.LBB15_1169:
	s_mov_b32 s6, -1
	s_mov_b32 s5, 0
	s_mov_b32 s2, 0
                                        ; implicit-def: $vgpr1
	s_branch .LBB15_1185
.LBB15_1170:
	s_mov_b32 s5, 0
	s_mov_b32 s2, 0
                                        ; implicit-def: $vgpr1
	s_cbranch_execnz .LBB15_1181
	s_branch .LBB15_1184
.LBB15_1171:
	s_mov_b32 s6, -1
	s_mov_b32 s5, 0
	s_mov_b32 s2, 0
	s_branch .LBB15_1175
.LBB15_1172:
	s_andn2_saveexec_b32 s11, s11
	s_cbranch_execz .LBB15_1012
.LBB15_1173:
	v_add_f32_e64 v0, 0x46000000, |v3|
	s_andn2_b32 s10, s10, exec_lo
	v_and_b32_e32 v0, 0xff, v0
	v_cmp_ne_u32_e32 vcc_lo, 0, v0
	s_and_b32 s12, vcc_lo, exec_lo
	s_or_b32 s10, s10, s12
	s_or_b32 exec_lo, exec_lo, s11
	v_mov_b32_e32 v4, 0
	s_and_saveexec_b32 s11, s10
	s_cbranch_execnz .LBB15_1013
	s_branch .LBB15_1014
.LBB15_1174:
	s_mov_b32 s2, -1
	s_mov_b32 s5, 0
.LBB15_1175:
                                        ; implicit-def: $vgpr1
.LBB15_1176:
	s_and_b32 vcc_lo, exec_lo, s6
	s_cbranch_vccz .LBB15_1179
; %bb.1177:
	s_cmp_eq_u32 s1, 44
	s_cbranch_scc0 .LBB15_1180
; %bb.1178:
	global_load_ubyte v1, v[12:13], off
	s_mov_b32 s2, 0
	s_mov_b32 s5, -1
	s_waitcnt vmcnt(0)
	v_lshlrev_b32_e32 v3, 23, v1
	v_cmp_ne_u32_e32 vcc_lo, 0xff, v1
	v_cndmask_b32_e32 v3, 0x7f800001, v3, vcc_lo
	v_cmp_ne_u32_e32 vcc_lo, 0, v1
	v_cndmask_b32_e32 v1, 0x400000, v3, vcc_lo
.LBB15_1179:
	s_branch .LBB15_1184
.LBB15_1180:
	s_mov_b32 s2, -1
                                        ; implicit-def: $vgpr1
	s_branch .LBB15_1184
.LBB15_1181:
	s_cmp_eq_u32 s1, 29
	s_cbranch_scc0 .LBB15_1183
; %bb.1182:
	global_load_dwordx2 v[14:15], v[12:13], off
	s_mov_b32 s2, 0
	s_mov_b32 s5, -1
	s_mov_b32 s6, 0
	s_waitcnt vmcnt(0)
	v_ffbh_u32_e32 v1, v15
	v_min_u32_e32 v1, 32, v1
	v_lshlrev_b64 v[14:15], v1, v[14:15]
	v_sub_nc_u32_e32 v1, 32, v1
	v_min_u32_e32 v3, 1, v14
	v_or_b32_e32 v3, v15, v3
	v_cvt_f32_u32_e32 v3, v3
	v_ldexp_f32 v1, v3, v1
	s_branch .LBB15_1185
.LBB15_1183:
	s_mov_b32 s2, -1
                                        ; implicit-def: $vgpr1
.LBB15_1184:
	s_mov_b32 s6, 0
.LBB15_1185:
	s_and_b32 vcc_lo, exec_lo, s6
	s_cbranch_vccz .LBB15_1203
; %bb.1186:
	s_cmp_lt_i32 s1, 27
	s_cbranch_scc1 .LBB15_1189
; %bb.1187:
	s_cmp_gt_i32 s1, 27
	s_cbranch_scc0 .LBB15_1190
; %bb.1188:
	global_load_dword v1, v[12:13], off
	s_mov_b32 s5, 0
	s_waitcnt vmcnt(0)
	v_cvt_f32_u32_e32 v1, v1
	s_branch .LBB15_1191
.LBB15_1189:
	s_mov_b32 s5, -1
                                        ; implicit-def: $vgpr1
	s_branch .LBB15_1194
.LBB15_1190:
	s_mov_b32 s5, -1
                                        ; implicit-def: $vgpr1
.LBB15_1191:
	s_andn2_b32 vcc_lo, exec_lo, s5
	s_cbranch_vccnz .LBB15_1193
; %bb.1192:
	global_load_ushort v1, v[12:13], off
	s_waitcnt vmcnt(0)
	v_cvt_f32_u32_e32 v1, v1
.LBB15_1193:
	s_mov_b32 s5, 0
.LBB15_1194:
	s_andn2_b32 vcc_lo, exec_lo, s5
	s_cbranch_vccnz .LBB15_1202
; %bb.1195:
	global_load_ubyte v3, v[12:13], off
	s_mov_b32 s5, 0
	s_mov_b32 s6, exec_lo
	s_waitcnt vmcnt(0)
	v_cmpx_lt_i16_e32 0x7f, v3
	s_xor_b32 s6, exec_lo, s6
	s_cbranch_execz .LBB15_1215
; %bb.1196:
	s_mov_b32 s5, -1
	s_mov_b32 s7, exec_lo
	v_cmpx_eq_u16_e32 0x80, v3
; %bb.1197:
	s_xor_b32 s5, exec_lo, -1
; %bb.1198:
	s_or_b32 exec_lo, exec_lo, s7
	s_and_b32 s5, s5, exec_lo
	s_or_saveexec_b32 s6, s6
	v_mov_b32_e32 v1, 0x7f800001
	s_xor_b32 exec_lo, exec_lo, s6
	s_cbranch_execnz .LBB15_1216
.LBB15_1199:
	s_or_b32 exec_lo, exec_lo, s6
	s_and_saveexec_b32 s6, s5
	s_cbranch_execz .LBB15_1201
.LBB15_1200:
	v_and_b32_e32 v1, 0xffff, v3
	v_lshlrev_b32_e32 v3, 24, v3
	v_and_b32_e32 v5, 7, v1
	v_bfe_u32 v14, v1, 3, 4
	v_and_b32_e32 v3, 0x80000000, v3
	v_ffbh_u32_e32 v8, v5
	v_cmp_eq_u32_e32 vcc_lo, 0, v14
	v_min_u32_e32 v8, 32, v8
	v_subrev_nc_u32_e32 v10, 28, v8
	v_sub_nc_u32_e32 v8, 29, v8
	v_lshlrev_b32_e32 v1, v10, v1
	v_cndmask_b32_e32 v8, v14, v8, vcc_lo
	v_and_b32_e32 v1, 7, v1
	v_cndmask_b32_e32 v1, v5, v1, vcc_lo
	v_lshl_add_u32 v5, v8, 23, 0x3b800000
	v_lshlrev_b32_e32 v1, 20, v1
	v_or3_b32 v1, v3, v5, v1
.LBB15_1201:
	s_or_b32 exec_lo, exec_lo, s6
.LBB15_1202:
	s_mov_b32 s5, -1
.LBB15_1203:
	s_branch .LBB15_1235
.LBB15_1204:
	s_cmp_gt_i32 s1, 22
	s_cbranch_scc0 .LBB15_1214
; %bb.1205:
	s_cmp_lt_i32 s1, 24
	s_cbranch_scc1 .LBB15_1217
; %bb.1206:
	s_cmp_gt_i32 s1, 24
	s_cbranch_scc0 .LBB15_1218
; %bb.1207:
	global_load_ubyte v3, v[12:13], off
	s_mov_b32 s5, exec_lo
	s_waitcnt vmcnt(0)
	v_cmpx_lt_i16_e32 0x7f, v3
	s_xor_b32 s5, exec_lo, s5
	s_cbranch_execz .LBB15_1229
; %bb.1208:
	s_mov_b32 s4, -1
	s_mov_b32 s6, exec_lo
	v_cmpx_eq_u16_e32 0x80, v3
; %bb.1209:
	s_xor_b32 s4, exec_lo, -1
; %bb.1210:
	s_or_b32 exec_lo, exec_lo, s6
	s_and_b32 s4, s4, exec_lo
	s_or_saveexec_b32 s5, s5
	v_mov_b32_e32 v1, 0x7f800001
	s_xor_b32 exec_lo, exec_lo, s5
	s_cbranch_execnz .LBB15_1230
.LBB15_1211:
	s_or_b32 exec_lo, exec_lo, s5
	s_and_saveexec_b32 s5, s4
	s_cbranch_execz .LBB15_1213
.LBB15_1212:
	v_and_b32_e32 v1, 0xffff, v3
	v_lshlrev_b32_e32 v3, 24, v3
	v_and_b32_e32 v5, 3, v1
	v_bfe_u32 v14, v1, 2, 5
	v_and_b32_e32 v3, 0x80000000, v3
	v_ffbh_u32_e32 v8, v5
	v_cmp_eq_u32_e32 vcc_lo, 0, v14
	v_min_u32_e32 v8, 32, v8
	v_subrev_nc_u32_e32 v10, 29, v8
	v_sub_nc_u32_e32 v8, 30, v8
	v_lshlrev_b32_e32 v1, v10, v1
	v_cndmask_b32_e32 v8, v14, v8, vcc_lo
	v_and_b32_e32 v1, 3, v1
	v_cndmask_b32_e32 v1, v5, v1, vcc_lo
	v_lshl_add_u32 v5, v8, 23, 0x37800000
	v_lshlrev_b32_e32 v1, 21, v1
	v_or3_b32 v1, v3, v5, v1
.LBB15_1213:
	s_or_b32 exec_lo, exec_lo, s5
	s_mov_b32 s4, 0
	s_branch .LBB15_1219
.LBB15_1214:
                                        ; implicit-def: $vgpr1
	s_mov_b32 s4, 0
	s_branch .LBB15_1225
.LBB15_1215:
	s_or_saveexec_b32 s6, s6
	v_mov_b32_e32 v1, 0x7f800001
	s_xor_b32 exec_lo, exec_lo, s6
	s_cbranch_execz .LBB15_1199
.LBB15_1216:
	v_cmp_ne_u16_e32 vcc_lo, 0, v3
	v_mov_b32_e32 v1, 0
	s_andn2_b32 s5, s5, exec_lo
	s_and_b32 s7, vcc_lo, exec_lo
	s_or_b32 s5, s5, s7
	s_or_b32 exec_lo, exec_lo, s6
	s_and_saveexec_b32 s6, s5
	s_cbranch_execnz .LBB15_1200
	s_branch .LBB15_1201
.LBB15_1217:
	s_mov_b32 s4, -1
                                        ; implicit-def: $vgpr1
	s_branch .LBB15_1222
.LBB15_1218:
	s_mov_b32 s4, -1
                                        ; implicit-def: $vgpr1
.LBB15_1219:
	s_and_b32 vcc_lo, exec_lo, s4
	s_cbranch_vccz .LBB15_1221
; %bb.1220:
	global_load_ubyte v1, v[12:13], off
	s_waitcnt vmcnt(0)
	v_lshlrev_b32_e32 v1, 24, v1
	v_and_b32_e32 v3, 0x7f000000, v1
	v_ffbh_u32_e32 v5, v3
	v_add_nc_u32_e32 v10, 0x1000000, v3
	v_cmp_ne_u32_e32 vcc_lo, 0, v3
	v_min_u32_e32 v5, 32, v5
	v_sub_nc_u32_e64 v5, v5, 4 clamp
	v_lshlrev_b32_e32 v8, v5, v3
	v_lshlrev_b32_e32 v5, 23, v5
	v_lshrrev_b32_e32 v8, 4, v8
	v_sub_nc_u32_e32 v5, v8, v5
	v_ashrrev_i32_e32 v8, 8, v10
	v_add_nc_u32_e32 v5, 0x3c000000, v5
	v_and_or_b32 v5, 0x7f800000, v8, v5
	v_cndmask_b32_e32 v3, 0, v5, vcc_lo
	v_and_or_b32 v1, 0x80000000, v1, v3
.LBB15_1221:
	s_mov_b32 s4, 0
.LBB15_1222:
	s_andn2_b32 vcc_lo, exec_lo, s4
	s_cbranch_vccnz .LBB15_1224
; %bb.1223:
	global_load_ubyte v1, v[12:13], off
	s_waitcnt vmcnt(0)
	v_lshlrev_b32_e32 v3, 25, v1
	v_lshlrev_b16 v1, 8, v1
	v_lshrrev_b32_e32 v5, 4, v3
	v_and_or_b32 v8, 0x7f00, v1, 0.5
	v_cmp_gt_u32_e32 vcc_lo, 0x8000000, v3
	v_bfe_i32 v1, v1, 0, 16
	v_or_b32_e32 v5, 0x70000000, v5
	v_add_f32_e32 v8, -0.5, v8
	v_mul_f32_e32 v5, 0x7800000, v5
	v_cndmask_b32_e32 v3, v5, v8, vcc_lo
	v_and_or_b32 v1, 0x80000000, v1, v3
.LBB15_1224:
	s_mov_b32 s5, -1
	s_mov_b32 s4, 0
	s_cbranch_execnz .LBB15_1235
.LBB15_1225:
	s_cmp_gt_i32 s1, 14
	s_cbranch_scc0 .LBB15_1228
; %bb.1226:
	s_cmp_eq_u32 s1, 15
	s_cbranch_scc0 .LBB15_1231
; %bb.1227:
	global_load_ushort v1, v[12:13], off
	s_mov_b32 s2, 0
	s_mov_b32 s5, -1
	s_waitcnt vmcnt(0)
	v_lshlrev_b32_e32 v1, 16, v1
	s_branch .LBB15_1233
.LBB15_1228:
	s_mov_b32 s4, -1
	s_branch .LBB15_1232
.LBB15_1229:
	s_or_saveexec_b32 s5, s5
	v_mov_b32_e32 v1, 0x7f800001
	s_xor_b32 exec_lo, exec_lo, s5
	s_cbranch_execz .LBB15_1211
.LBB15_1230:
	v_cmp_ne_u16_e32 vcc_lo, 0, v3
	v_mov_b32_e32 v1, 0
	s_andn2_b32 s4, s4, exec_lo
	s_and_b32 s6, vcc_lo, exec_lo
	s_or_b32 s4, s4, s6
	s_or_b32 exec_lo, exec_lo, s5
	s_and_saveexec_b32 s5, s4
	s_cbranch_execnz .LBB15_1212
	s_branch .LBB15_1213
.LBB15_1231:
	s_mov_b32 s2, -1
.LBB15_1232:
                                        ; implicit-def: $vgpr1
.LBB15_1233:
	s_and_b32 vcc_lo, exec_lo, s4
	s_mov_b32 s4, 0
	s_cbranch_vccz .LBB15_1235
; %bb.1234:
	s_cmp_lg_u32 s1, 11
	s_mov_b32 s4, -1
	s_cselect_b32 s2, -1, 0
.LBB15_1235:
	s_and_b32 vcc_lo, exec_lo, s2
	s_mov_b32 s2, s12
	s_cbranch_vccnz .LBB15_1300
; %bb.1236:
	s_andn2_b32 vcc_lo, exec_lo, s4
	s_cbranch_vccnz .LBB15_1238
.LBB15_1237:
	global_load_ubyte v1, v[12:13], off
	s_mov_b32 s5, -1
	s_waitcnt vmcnt(0)
	v_cmp_ne_u16_e32 vcc_lo, 0, v1
	v_cndmask_b32_e64 v1, 0, 1.0, vcc_lo
.LBB15_1238:
	s_branch .LBB15_1167
.LBB15_1239:
	s_and_b32 s0, 0xffff, s0
	s_cmp_lt_i32 s0, 5
	s_cbranch_scc1 .LBB15_1244
; %bb.1240:
	s_cmp_lt_i32 s0, 8
	s_cbranch_scc1 .LBB15_1245
; %bb.1241:
	;; [unrolled: 3-line block ×3, first 2 shown]
	s_cmp_gt_i32 s0, 9
	s_cbranch_scc0 .LBB15_1247
; %bb.1243:
	global_load_dwordx2 v[14:15], v[12:13], off
	s_mov_b32 s1, 0
	s_waitcnt vmcnt(0)
	v_cvt_f32_f64_e32 v1, v[14:15]
	s_branch .LBB15_1248
.LBB15_1244:
                                        ; implicit-def: $vgpr1
	s_branch .LBB15_1265
.LBB15_1245:
                                        ; implicit-def: $vgpr1
	s_branch .LBB15_1254
.LBB15_1246:
	s_mov_b32 s1, -1
                                        ; implicit-def: $vgpr1
	s_branch .LBB15_1251
.LBB15_1247:
	s_mov_b32 s1, -1
                                        ; implicit-def: $vgpr1
.LBB15_1248:
	s_andn2_b32 vcc_lo, exec_lo, s1
	s_cbranch_vccnz .LBB15_1250
; %bb.1249:
	global_load_dword v1, v[12:13], off
.LBB15_1250:
	s_mov_b32 s1, 0
.LBB15_1251:
	s_andn2_b32 vcc_lo, exec_lo, s1
	s_cbranch_vccnz .LBB15_1253
; %bb.1252:
	global_load_dword v1, v[12:13], off
	s_waitcnt vmcnt(0)
	v_cvt_f32_f16_e32 v1, v1
.LBB15_1253:
	s_cbranch_execnz .LBB15_1264
.LBB15_1254:
	s_cmp_lt_i32 s0, 6
	s_cbranch_scc1 .LBB15_1257
; %bb.1255:
	s_cmp_gt_i32 s0, 6
	s_cbranch_scc0 .LBB15_1258
; %bb.1256:
	global_load_dwordx2 v[14:15], v[12:13], off
	s_mov_b32 s1, 0
	s_waitcnt vmcnt(0)
	v_cvt_f32_f64_e32 v1, v[14:15]
	s_branch .LBB15_1259
.LBB15_1257:
	s_mov_b32 s1, -1
                                        ; implicit-def: $vgpr1
	s_branch .LBB15_1262
.LBB15_1258:
	s_mov_b32 s1, -1
                                        ; implicit-def: $vgpr1
.LBB15_1259:
	s_andn2_b32 vcc_lo, exec_lo, s1
	s_cbranch_vccnz .LBB15_1261
; %bb.1260:
	global_load_dword v1, v[12:13], off
.LBB15_1261:
	s_mov_b32 s1, 0
.LBB15_1262:
	s_andn2_b32 vcc_lo, exec_lo, s1
	s_cbranch_vccnz .LBB15_1264
; %bb.1263:
	global_load_ushort v1, v[12:13], off
	s_waitcnt vmcnt(0)
	v_cvt_f32_f16_e32 v1, v1
.LBB15_1264:
	s_cbranch_execnz .LBB15_1283
.LBB15_1265:
	s_cmp_lt_i32 s0, 2
	s_cbranch_scc1 .LBB15_1269
; %bb.1266:
	s_cmp_lt_i32 s0, 3
	s_cbranch_scc1 .LBB15_1270
; %bb.1267:
	s_cmp_gt_i32 s0, 3
	s_cbranch_scc0 .LBB15_1271
; %bb.1268:
	global_load_dwordx2 v[14:15], v[12:13], off
	s_mov_b32 s1, 0
	s_waitcnt vmcnt(0)
	v_xor_b32_e32 v1, v14, v15
	v_ffbh_i32_e32 v3, v15
	v_ashrrev_i32_e32 v1, 31, v1
	v_add_nc_u32_e32 v3, -1, v3
	v_add_nc_u32_e32 v1, 32, v1
	v_min_u32_e32 v1, v3, v1
	v_lshlrev_b64 v[14:15], v1, v[14:15]
	v_sub_nc_u32_e32 v1, 32, v1
	v_min_u32_e32 v3, 1, v14
	v_or_b32_e32 v3, v15, v3
	v_cvt_f32_i32_e32 v3, v3
	v_ldexp_f32 v1, v3, v1
	s_branch .LBB15_1272
.LBB15_1269:
                                        ; implicit-def: $vgpr1
	s_branch .LBB15_1278
.LBB15_1270:
	s_mov_b32 s1, -1
                                        ; implicit-def: $vgpr1
	s_branch .LBB15_1275
.LBB15_1271:
	s_mov_b32 s1, -1
                                        ; implicit-def: $vgpr1
.LBB15_1272:
	s_andn2_b32 vcc_lo, exec_lo, s1
	s_cbranch_vccnz .LBB15_1274
; %bb.1273:
	global_load_dword v1, v[12:13], off
	s_waitcnt vmcnt(0)
	v_cvt_f32_i32_e32 v1, v1
.LBB15_1274:
	s_mov_b32 s1, 0
.LBB15_1275:
	s_andn2_b32 vcc_lo, exec_lo, s1
	s_cbranch_vccnz .LBB15_1277
; %bb.1276:
	global_load_sshort v1, v[12:13], off
	s_waitcnt vmcnt(0)
	v_cvt_f32_i32_e32 v1, v1
.LBB15_1277:
	s_cbranch_execnz .LBB15_1283
.LBB15_1278:
	s_cmp_gt_i32 s0, 0
	s_mov_b32 s0, 0
	s_cbranch_scc0 .LBB15_1280
; %bb.1279:
	global_load_sbyte v1, v[12:13], off
	s_waitcnt vmcnt(0)
	v_cvt_f32_i32_e32 v1, v1
	s_branch .LBB15_1281
.LBB15_1280:
	s_mov_b32 s0, -1
                                        ; implicit-def: $vgpr1
.LBB15_1281:
	s_andn2_b32 vcc_lo, exec_lo, s0
	s_cbranch_vccnz .LBB15_1283
; %bb.1282:
	global_load_ubyte v1, v[12:13], off
	s_waitcnt vmcnt(0)
	v_cvt_f32_ubyte0_e32 v1, v1
.LBB15_1283:
.LBB15_1284:
	s_waitcnt vmcnt(0)
	v_and_b32_e32 v5, 0x7fffffff, v1
                                        ; implicit-def: $vgpr13
                                        ; implicit-def: $vgpr12
	s_mov_b32 s1, exec_lo
	v_cmpx_ngt_f32_e64 0x48000000, |v1|
	s_xor_b32 s4, exec_lo, s1
	s_cbranch_execz .LBB15_1286
; %bb.1285:
	s_mov_b32 s0, 0x7fffff
	v_mov_b32_e32 v14, 0
	v_and_or_b32 v3, v5, s0, 0x800000
	v_lshrrev_b32_e32 v8, 23, v5
	v_mad_u64_u32 v[12:13], null, 0xfe5163ab, v3, 0
	v_add_nc_u32_e32 v8, 0xffffff88, v8
	v_cmp_lt_u32_e32 vcc_lo, 63, v8
	v_mad_u64_u32 v[15:16], null, 0x3c439041, v3, v[13:14]
	v_cndmask_b32_e64 v10, 0, 0xffffffc0, vcc_lo
	v_mov_b32_e32 v13, v16
	v_add_nc_u32_e32 v8, v10, v8
	v_mad_u64_u32 v[16:17], null, 0xdb629599, v3, v[13:14]
	v_cmp_lt_u32_e64 s0, 31, v8
	v_cndmask_b32_e64 v10, 0, 0xffffffe0, s0
	v_mov_b32_e32 v13, v17
	v_cndmask_b32_e32 v12, v16, v12, vcc_lo
	v_add_nc_u32_e32 v8, v10, v8
	v_mad_u64_u32 v[17:18], null, 0xf534ddc0, v3, v[13:14]
	v_cmp_lt_u32_e64 s1, 31, v8
	v_mov_b32_e32 v13, v18
	v_mad_u64_u32 v[18:19], null, 0xfc2757d1, v3, v[13:14]
	v_mov_b32_e32 v13, v19
	v_mad_u64_u32 v[19:20], null, 0x4e441529, v3, v[13:14]
	v_mov_b32_e32 v13, v20
	v_cndmask_b32_e32 v10, v19, v17, vcc_lo
	v_mad_u64_u32 v[13:14], null, 0xa2f9836e, v3, v[13:14]
	v_cndmask_b32_e64 v3, 0, 0xffffffe0, s1
	v_add_nc_u32_e32 v3, v3, v8
	v_cndmask_b32_e32 v13, v13, v18, vcc_lo
	v_cndmask_b32_e32 v14, v14, v19, vcc_lo
	;; [unrolled: 1-line block ×4, first 2 shown]
	v_cmp_eq_u32_e32 vcc_lo, 0, v3
	v_cndmask_b32_e64 v15, v13, v10, s0
	v_cndmask_b32_e64 v13, v14, v13, s0
	;; [unrolled: 1-line block ×3, first 2 shown]
	v_sub_nc_u32_e32 v14, 32, v3
	v_cndmask_b32_e64 v17, v18, v8, s0
	v_cndmask_b32_e64 v8, v8, v12, s0
	;; [unrolled: 1-line block ×6, first 2 shown]
	v_alignbit_b32 v18, v13, v15, v14
	v_alignbit_b32 v16, v15, v10, v14
	;; [unrolled: 1-line block ×3, first 2 shown]
	v_cndmask_b32_e32 v3, v18, v13, vcc_lo
	v_cndmask_b32_e32 v12, v16, v15, vcc_lo
	;; [unrolled: 1-line block ×3, first 2 shown]
	v_bfe_u32 v13, v3, 29, 1
	v_alignbit_b32 v15, v3, v12, 30
	v_alignbit_b32 v12, v12, v10, 30
	;; [unrolled: 1-line block ×3, first 2 shown]
	v_sub_nc_u32_e32 v16, 0, v13
	v_xor_b32_e32 v15, v15, v16
	v_xor_b32_e32 v10, v12, v16
	;; [unrolled: 1-line block ×3, first 2 shown]
	v_lshrrev_b32_e32 v16, 29, v3
	v_lshrrev_b32_e32 v3, 30, v3
	v_ffbh_u32_e32 v14, v15
	v_add_nc_u32_e32 v13, v13, v3
	v_min_u32_e32 v14, 32, v14
	v_sub_nc_u32_e32 v12, 31, v14
	v_lshlrev_b32_e32 v17, 23, v14
	v_alignbit_b32 v15, v15, v10, v12
	v_alignbit_b32 v8, v10, v8, v12
	v_lshlrev_b32_e32 v10, 31, v16
	v_alignbit_b32 v12, v15, v8, 9
	v_or_b32_e32 v16, 0.5, v10
	v_lshrrev_b32_e32 v15, 9, v15
	v_or_b32_e32 v10, 0x33000000, v10
	v_ffbh_u32_e32 v18, v12
	v_sub_nc_u32_e32 v16, v16, v17
	v_min_u32_e32 v17, 32, v18
	v_or_b32_e32 v15, v15, v16
	v_not_b32_e32 v16, v17
	v_mul_f32_e32 v18, 0x3fc90fda, v15
	v_add_lshl_u32 v14, v17, v14, 23
	v_alignbit_b32 v8, v12, v8, v16
	v_fma_f32 v12, 0x3fc90fda, v15, -v18
	v_sub_nc_u32_e32 v10, v10, v14
	v_lshrrev_b32_e32 v8, 9, v8
	v_fmamk_f32 v12, v15, 0x33a22168, v12
	v_or_b32_e32 v8, v10, v8
	v_fmac_f32_e32 v12, 0x3fc90fda, v8
	v_add_f32_e32 v12, v18, v12
.LBB15_1286:
	s_andn2_saveexec_b32 s0, s4
; %bb.1287:
	v_mul_f32_e64 v3, 0x3f22f983, |v1|
	v_rndne_f32_e32 v3, v3
	v_fma_f32 v8, 0xbfc90fda, v3, |v1|
	v_cvt_i32_f32_e32 v13, v3
	v_fmamk_f32 v8, v3, 0xb3a22168, v8
	v_fmamk_f32 v12, v3, 0xa7c234c4, v8
; %bb.1288:
	s_or_b32 exec_lo, exec_lo, s0
	v_add_co_u32 v10, s1, s10, v11
	s_lshr_b32 s0, s3, 16
	v_add_co_ci_u32_e64 v11, null, s11, 0, s1
	s_and_b32 s4, s0, 0xff
	s_cmp_lt_i32 s4, 11
	s_cbranch_scc1 .LBB15_1295
; %bb.1289:
	s_and_b32 s0, 0xffff, s4
	s_mov_b32 s5, 0
	s_cmp_gt_i32 s0, 25
	s_cbranch_scc0 .LBB15_1297
; %bb.1290:
	s_cmp_gt_i32 s0, 28
	s_cbranch_scc0 .LBB15_1298
; %bb.1291:
	;; [unrolled: 3-line block ×4, first 2 shown]
	s_cmp_eq_u32 s0, 46
	s_mov_b32 s7, 0
	s_cbranch_scc0 .LBB15_1304
; %bb.1294:
	global_load_dword v3, v[10:11], off
	s_mov_b32 s1, 0
	s_mov_b32 s6, -1
	s_waitcnt vmcnt(0)
	v_lshlrev_b32_e32 v3, 16, v3
	s_branch .LBB15_1306
.LBB15_1295:
	s_mov_b32 s6, 0
                                        ; implicit-def: $vgpr3
	s_cbranch_execnz .LBB15_1371
.LBB15_1296:
	s_andn2_b32 vcc_lo, exec_lo, s6
	s_cbranch_vccz .LBB15_1418
	s_branch .LBB15_2121
.LBB15_1297:
	s_mov_b32 s6, 0
	s_mov_b32 s1, 0
                                        ; implicit-def: $vgpr3
	s_cbranch_execnz .LBB15_1335
	s_branch .LBB15_1367
.LBB15_1298:
	s_mov_b32 s7, -1
	s_mov_b32 s6, 0
	s_mov_b32 s1, 0
                                        ; implicit-def: $vgpr3
	s_branch .LBB15_1316
.LBB15_1299:
	s_mov_b32 s7, -1
	s_mov_b32 s6, 0
	s_mov_b32 s1, 0
                                        ; implicit-def: $vgpr3
	s_branch .LBB15_1311
.LBB15_1300:
	s_or_b32 s2, s12, exec_lo
	s_trap 2
	s_cbranch_execz .LBB15_1237
	s_branch .LBB15_1238
.LBB15_1301:
	s_mov_b32 s7, -1
	s_mov_b32 s6, 0
	s_mov_b32 s1, 0
	s_branch .LBB15_1305
.LBB15_1302:
	s_andn2_saveexec_b32 s12, s12
	s_cbranch_execz .LBB15_1024
.LBB15_1303:
	v_add_f32_e64 v0, 0x42800000, |v3|
	s_andn2_b32 s11, s11, exec_lo
	v_and_b32_e32 v0, 0xff, v0
	v_cmp_ne_u32_e32 vcc_lo, 0, v0
	s_and_b32 s13, vcc_lo, exec_lo
	s_or_b32 s11, s11, s13
	s_or_b32 exec_lo, exec_lo, s12
	v_mov_b32_e32 v4, 0
	s_and_saveexec_b32 s12, s11
	s_cbranch_execnz .LBB15_1025
	s_branch .LBB15_1026
.LBB15_1304:
	s_mov_b32 s1, -1
	s_mov_b32 s6, 0
.LBB15_1305:
                                        ; implicit-def: $vgpr3
.LBB15_1306:
	s_and_b32 vcc_lo, exec_lo, s7
	s_cbranch_vccz .LBB15_1310
; %bb.1307:
	s_cmp_eq_u32 s0, 44
	s_cbranch_scc0 .LBB15_1309
; %bb.1308:
	global_load_ubyte v3, v[10:11], off
	s_mov_b32 s1, 0
	s_mov_b32 s6, -1
	s_waitcnt vmcnt(0)
	v_lshlrev_b32_e32 v8, 23, v3
	v_cmp_ne_u32_e32 vcc_lo, 0xff, v3
	v_cndmask_b32_e32 v8, 0x7f800001, v8, vcc_lo
	v_cmp_ne_u32_e32 vcc_lo, 0, v3
	v_cndmask_b32_e32 v3, 0x400000, v8, vcc_lo
	s_branch .LBB15_1310
.LBB15_1309:
	s_mov_b32 s1, -1
                                        ; implicit-def: $vgpr3
.LBB15_1310:
	s_mov_b32 s7, 0
.LBB15_1311:
	s_and_b32 vcc_lo, exec_lo, s7
	s_cbranch_vccz .LBB15_1315
; %bb.1312:
	s_cmp_eq_u32 s0, 29
	s_cbranch_scc0 .LBB15_1314
; %bb.1313:
	global_load_dwordx2 v[14:15], v[10:11], off
	s_mov_b32 s1, 0
	s_mov_b32 s6, -1
	s_mov_b32 s7, 0
	s_waitcnt vmcnt(0)
	v_ffbh_u32_e32 v3, v15
	v_min_u32_e32 v3, 32, v3
	v_lshlrev_b64 v[14:15], v3, v[14:15]
	v_sub_nc_u32_e32 v3, 32, v3
	v_min_u32_e32 v8, 1, v14
	v_or_b32_e32 v8, v15, v8
	v_cvt_f32_u32_e32 v8, v8
	v_ldexp_f32 v3, v8, v3
	s_branch .LBB15_1316
.LBB15_1314:
	s_mov_b32 s1, -1
                                        ; implicit-def: $vgpr3
.LBB15_1315:
	s_mov_b32 s7, 0
.LBB15_1316:
	s_and_b32 vcc_lo, exec_lo, s7
	s_cbranch_vccz .LBB15_1334
; %bb.1317:
	s_cmp_lt_i32 s0, 27
	s_cbranch_scc1 .LBB15_1320
; %bb.1318:
	s_cmp_gt_i32 s0, 27
	s_cbranch_scc0 .LBB15_1321
; %bb.1319:
	global_load_dword v3, v[10:11], off
	s_mov_b32 s6, 0
	s_waitcnt vmcnt(0)
	v_cvt_f32_u32_e32 v3, v3
	s_branch .LBB15_1322
.LBB15_1320:
	s_mov_b32 s6, -1
                                        ; implicit-def: $vgpr3
	s_branch .LBB15_1325
.LBB15_1321:
	s_mov_b32 s6, -1
                                        ; implicit-def: $vgpr3
.LBB15_1322:
	s_andn2_b32 vcc_lo, exec_lo, s6
	s_cbranch_vccnz .LBB15_1324
; %bb.1323:
	global_load_ushort v3, v[10:11], off
	s_waitcnt vmcnt(0)
	v_cvt_f32_u32_e32 v3, v3
.LBB15_1324:
	s_mov_b32 s6, 0
.LBB15_1325:
	s_andn2_b32 vcc_lo, exec_lo, s6
	s_cbranch_vccnz .LBB15_1333
; %bb.1326:
	global_load_ubyte v8, v[10:11], off
	s_mov_b32 s6, 0
	s_mov_b32 s7, exec_lo
	s_waitcnt vmcnt(0)
	v_cmpx_lt_i16_e32 0x7f, v8
	s_xor_b32 s7, exec_lo, s7
	s_cbranch_execz .LBB15_1346
; %bb.1327:
	s_mov_b32 s6, -1
	s_mov_b32 s14, exec_lo
	v_cmpx_eq_u16_e32 0x80, v8
; %bb.1328:
	s_xor_b32 s6, exec_lo, -1
; %bb.1329:
	s_or_b32 exec_lo, exec_lo, s14
	s_and_b32 s6, s6, exec_lo
	s_or_saveexec_b32 s7, s7
	v_mov_b32_e32 v3, 0x7f800001
	s_xor_b32 exec_lo, exec_lo, s7
	s_cbranch_execnz .LBB15_1347
.LBB15_1330:
	s_or_b32 exec_lo, exec_lo, s7
	s_and_saveexec_b32 s7, s6
	s_cbranch_execz .LBB15_1332
.LBB15_1331:
	v_and_b32_e32 v3, 0xffff, v8
	v_lshlrev_b32_e32 v8, 24, v8
	v_and_b32_e32 v14, 7, v3
	v_bfe_u32 v17, v3, 3, 4
	v_and_b32_e32 v8, 0x80000000, v8
	v_ffbh_u32_e32 v15, v14
	v_cmp_eq_u32_e32 vcc_lo, 0, v17
	v_min_u32_e32 v15, 32, v15
	v_subrev_nc_u32_e32 v16, 28, v15
	v_sub_nc_u32_e32 v15, 29, v15
	v_lshlrev_b32_e32 v3, v16, v3
	v_cndmask_b32_e32 v15, v17, v15, vcc_lo
	v_and_b32_e32 v3, 7, v3
	v_cndmask_b32_e32 v3, v14, v3, vcc_lo
	v_lshl_add_u32 v14, v15, 23, 0x3b800000
	v_lshlrev_b32_e32 v3, 20, v3
	v_or3_b32 v3, v8, v14, v3
.LBB15_1332:
	s_or_b32 exec_lo, exec_lo, s7
.LBB15_1333:
	s_mov_b32 s6, -1
.LBB15_1334:
	s_branch .LBB15_1367
.LBB15_1335:
	s_cmp_gt_i32 s0, 22
	s_cbranch_scc0 .LBB15_1345
; %bb.1336:
	s_cmp_lt_i32 s0, 24
	s_cbranch_scc1 .LBB15_1348
; %bb.1337:
	s_cmp_gt_i32 s0, 24
	s_cbranch_scc0 .LBB15_1349
; %bb.1338:
	global_load_ubyte v8, v[10:11], off
	s_mov_b32 s6, exec_lo
	s_waitcnt vmcnt(0)
	v_cmpx_lt_i16_e32 0x7f, v8
	s_xor_b32 s6, exec_lo, s6
	s_cbranch_execz .LBB15_1361
; %bb.1339:
	s_mov_b32 s5, -1
	s_mov_b32 s7, exec_lo
	v_cmpx_eq_u16_e32 0x80, v8
; %bb.1340:
	s_xor_b32 s5, exec_lo, -1
; %bb.1341:
	s_or_b32 exec_lo, exec_lo, s7
	s_and_b32 s5, s5, exec_lo
	s_or_saveexec_b32 s6, s6
	v_mov_b32_e32 v3, 0x7f800001
	s_xor_b32 exec_lo, exec_lo, s6
	s_cbranch_execnz .LBB15_1362
.LBB15_1342:
	s_or_b32 exec_lo, exec_lo, s6
	s_and_saveexec_b32 s6, s5
	s_cbranch_execz .LBB15_1344
.LBB15_1343:
	v_and_b32_e32 v3, 0xffff, v8
	v_lshlrev_b32_e32 v8, 24, v8
	v_and_b32_e32 v14, 3, v3
	v_bfe_u32 v17, v3, 2, 5
	v_and_b32_e32 v8, 0x80000000, v8
	v_ffbh_u32_e32 v15, v14
	v_cmp_eq_u32_e32 vcc_lo, 0, v17
	v_min_u32_e32 v15, 32, v15
	v_subrev_nc_u32_e32 v16, 29, v15
	v_sub_nc_u32_e32 v15, 30, v15
	v_lshlrev_b32_e32 v3, v16, v3
	v_cndmask_b32_e32 v15, v17, v15, vcc_lo
	v_and_b32_e32 v3, 3, v3
	v_cndmask_b32_e32 v3, v14, v3, vcc_lo
	v_lshl_add_u32 v14, v15, 23, 0x37800000
	v_lshlrev_b32_e32 v3, 21, v3
	v_or3_b32 v3, v8, v14, v3
.LBB15_1344:
	s_or_b32 exec_lo, exec_lo, s6
	s_mov_b32 s5, 0
	s_branch .LBB15_1350
.LBB15_1345:
	s_mov_b32 s5, -1
                                        ; implicit-def: $vgpr3
	s_branch .LBB15_1356
.LBB15_1346:
	s_or_saveexec_b32 s7, s7
	v_mov_b32_e32 v3, 0x7f800001
	s_xor_b32 exec_lo, exec_lo, s7
	s_cbranch_execz .LBB15_1330
.LBB15_1347:
	v_cmp_ne_u16_e32 vcc_lo, 0, v8
	v_mov_b32_e32 v3, 0
	s_andn2_b32 s6, s6, exec_lo
	s_and_b32 s14, vcc_lo, exec_lo
	s_or_b32 s6, s6, s14
	s_or_b32 exec_lo, exec_lo, s7
	s_and_saveexec_b32 s7, s6
	s_cbranch_execnz .LBB15_1331
	s_branch .LBB15_1332
.LBB15_1348:
	s_mov_b32 s5, -1
                                        ; implicit-def: $vgpr3
	s_branch .LBB15_1353
.LBB15_1349:
	s_mov_b32 s5, -1
                                        ; implicit-def: $vgpr3
.LBB15_1350:
	s_and_b32 vcc_lo, exec_lo, s5
	s_cbranch_vccz .LBB15_1352
; %bb.1351:
	global_load_ubyte v3, v[10:11], off
	s_waitcnt vmcnt(0)
	v_lshlrev_b32_e32 v3, 24, v3
	v_and_b32_e32 v8, 0x7f000000, v3
	v_ffbh_u32_e32 v14, v8
	v_add_nc_u32_e32 v16, 0x1000000, v8
	v_cmp_ne_u32_e32 vcc_lo, 0, v8
	v_min_u32_e32 v14, 32, v14
	v_sub_nc_u32_e64 v14, v14, 4 clamp
	v_lshlrev_b32_e32 v15, v14, v8
	v_lshlrev_b32_e32 v14, 23, v14
	v_lshrrev_b32_e32 v15, 4, v15
	v_sub_nc_u32_e32 v14, v15, v14
	v_ashrrev_i32_e32 v15, 8, v16
	v_add_nc_u32_e32 v14, 0x3c000000, v14
	v_and_or_b32 v14, 0x7f800000, v15, v14
	v_cndmask_b32_e32 v8, 0, v14, vcc_lo
	v_and_or_b32 v3, 0x80000000, v3, v8
.LBB15_1352:
	s_mov_b32 s5, 0
.LBB15_1353:
	s_andn2_b32 vcc_lo, exec_lo, s5
	s_cbranch_vccnz .LBB15_1355
; %bb.1354:
	global_load_ubyte v3, v[10:11], off
	s_waitcnt vmcnt(0)
	v_lshlrev_b32_e32 v8, 25, v3
	v_lshlrev_b16 v3, 8, v3
	v_lshrrev_b32_e32 v14, 4, v8
	v_and_or_b32 v15, 0x7f00, v3, 0.5
	v_cmp_gt_u32_e32 vcc_lo, 0x8000000, v8
	v_bfe_i32 v3, v3, 0, 16
	v_or_b32_e32 v14, 0x70000000, v14
	v_add_f32_e32 v15, -0.5, v15
	v_mul_f32_e32 v14, 0x7800000, v14
	v_cndmask_b32_e32 v8, v14, v15, vcc_lo
	v_and_or_b32 v3, 0x80000000, v3, v8
.LBB15_1355:
	s_mov_b32 s5, 0
	s_mov_b32 s6, -1
.LBB15_1356:
	s_andn2_b32 vcc_lo, exec_lo, s5
	s_mov_b32 s5, 0
	s_cbranch_vccnz .LBB15_1367
; %bb.1357:
	s_cmp_gt_i32 s0, 14
	s_cbranch_scc0 .LBB15_1360
; %bb.1358:
	s_cmp_eq_u32 s0, 15
	s_cbranch_scc0 .LBB15_1363
; %bb.1359:
	global_load_ushort v3, v[10:11], off
	s_mov_b32 s1, 0
	s_mov_b32 s6, -1
	s_waitcnt vmcnt(0)
	v_lshlrev_b32_e32 v3, 16, v3
	s_branch .LBB15_1365
.LBB15_1360:
	s_mov_b32 s5, -1
	s_branch .LBB15_1364
.LBB15_1361:
	s_or_saveexec_b32 s6, s6
	v_mov_b32_e32 v3, 0x7f800001
	s_xor_b32 exec_lo, exec_lo, s6
	s_cbranch_execz .LBB15_1342
.LBB15_1362:
	v_cmp_ne_u16_e32 vcc_lo, 0, v8
	v_mov_b32_e32 v3, 0
	s_andn2_b32 s5, s5, exec_lo
	s_and_b32 s7, vcc_lo, exec_lo
	s_or_b32 s5, s5, s7
	s_or_b32 exec_lo, exec_lo, s6
	s_and_saveexec_b32 s6, s5
	s_cbranch_execnz .LBB15_1343
	s_branch .LBB15_1344
.LBB15_1363:
	s_mov_b32 s1, -1
.LBB15_1364:
                                        ; implicit-def: $vgpr3
.LBB15_1365:
	s_and_b32 vcc_lo, exec_lo, s5
	s_mov_b32 s5, 0
	s_cbranch_vccz .LBB15_1367
; %bb.1366:
	s_cmp_lg_u32 s0, 11
	s_mov_b32 s5, -1
	s_cselect_b32 s1, -1, 0
.LBB15_1367:
	s_and_b32 vcc_lo, exec_lo, s1
	s_cbranch_vccnz .LBB15_1434
; %bb.1368:
	s_andn2_b32 vcc_lo, exec_lo, s5
	s_cbranch_vccnz .LBB15_1370
.LBB15_1369:
	global_load_ubyte v3, v[10:11], off
	s_mov_b32 s6, -1
	s_waitcnt vmcnt(0)
	v_cmp_ne_u16_e32 vcc_lo, 0, v3
	v_cndmask_b32_e64 v3, 0, 1.0, vcc_lo
.LBB15_1370:
	s_branch .LBB15_1296
.LBB15_1371:
	s_and_b32 s0, 0xffff, s4
	s_cmp_lt_i32 s0, 5
	s_cbranch_scc1 .LBB15_1376
; %bb.1372:
	s_cmp_lt_i32 s0, 8
	s_cbranch_scc1 .LBB15_1377
; %bb.1373:
	;; [unrolled: 3-line block ×3, first 2 shown]
	s_cmp_gt_i32 s0, 9
	s_cbranch_scc0 .LBB15_1379
; %bb.1375:
	global_load_dwordx2 v[14:15], v[10:11], off
	s_mov_b32 s1, 0
	s_waitcnt vmcnt(0)
	v_cvt_f32_f64_e32 v3, v[14:15]
	s_branch .LBB15_1380
.LBB15_1376:
                                        ; implicit-def: $vgpr3
	s_branch .LBB15_1398
.LBB15_1377:
	s_mov_b32 s1, -1
                                        ; implicit-def: $vgpr3
	s_branch .LBB15_1386
.LBB15_1378:
	s_mov_b32 s1, -1
                                        ; implicit-def: $vgpr3
	s_branch .LBB15_1383
.LBB15_1379:
	s_mov_b32 s1, -1
                                        ; implicit-def: $vgpr3
.LBB15_1380:
	s_andn2_b32 vcc_lo, exec_lo, s1
	s_cbranch_vccnz .LBB15_1382
; %bb.1381:
	global_load_dword v3, v[10:11], off
.LBB15_1382:
	s_mov_b32 s1, 0
.LBB15_1383:
	s_andn2_b32 vcc_lo, exec_lo, s1
	s_cbranch_vccnz .LBB15_1385
; %bb.1384:
	global_load_dword v3, v[10:11], off
	s_waitcnt vmcnt(0)
	v_cvt_f32_f16_e32 v3, v3
.LBB15_1385:
	s_mov_b32 s1, 0
.LBB15_1386:
	s_andn2_b32 vcc_lo, exec_lo, s1
	s_cbranch_vccnz .LBB15_1397
; %bb.1387:
	s_cmp_lt_i32 s0, 6
	s_cbranch_scc1 .LBB15_1390
; %bb.1388:
	s_cmp_gt_i32 s0, 6
	s_cbranch_scc0 .LBB15_1391
; %bb.1389:
	global_load_dwordx2 v[14:15], v[10:11], off
	s_mov_b32 s1, 0
	s_waitcnt vmcnt(0)
	v_cvt_f32_f64_e32 v3, v[14:15]
	s_branch .LBB15_1392
.LBB15_1390:
	s_mov_b32 s1, -1
                                        ; implicit-def: $vgpr3
	s_branch .LBB15_1395
.LBB15_1391:
	s_mov_b32 s1, -1
                                        ; implicit-def: $vgpr3
.LBB15_1392:
	s_andn2_b32 vcc_lo, exec_lo, s1
	s_cbranch_vccnz .LBB15_1394
; %bb.1393:
	global_load_dword v3, v[10:11], off
.LBB15_1394:
	s_mov_b32 s1, 0
.LBB15_1395:
	s_andn2_b32 vcc_lo, exec_lo, s1
	s_cbranch_vccnz .LBB15_1397
; %bb.1396:
	global_load_ushort v3, v[10:11], off
	s_waitcnt vmcnt(0)
	v_cvt_f32_f16_e32 v3, v3
.LBB15_1397:
	s_cbranch_execnz .LBB15_1417
.LBB15_1398:
	s_cmp_lt_i32 s0, 2
	s_cbranch_scc1 .LBB15_1402
; %bb.1399:
	s_cmp_lt_i32 s0, 3
	s_cbranch_scc1 .LBB15_1403
; %bb.1400:
	s_cmp_gt_i32 s0, 3
	s_cbranch_scc0 .LBB15_1404
; %bb.1401:
	global_load_dwordx2 v[14:15], v[10:11], off
	s_mov_b32 s1, 0
	s_waitcnt vmcnt(0)
	v_xor_b32_e32 v3, v14, v15
	v_ffbh_i32_e32 v8, v15
	v_ashrrev_i32_e32 v3, 31, v3
	v_add_nc_u32_e32 v8, -1, v8
	v_add_nc_u32_e32 v3, 32, v3
	v_min_u32_e32 v3, v8, v3
	v_lshlrev_b64 v[14:15], v3, v[14:15]
	v_sub_nc_u32_e32 v3, 32, v3
	v_min_u32_e32 v8, 1, v14
	v_or_b32_e32 v8, v15, v8
	v_cvt_f32_i32_e32 v8, v8
	v_ldexp_f32 v3, v8, v3
	s_branch .LBB15_1405
.LBB15_1402:
	s_mov_b32 s1, -1
                                        ; implicit-def: $vgpr3
	s_branch .LBB15_1411
.LBB15_1403:
	s_mov_b32 s1, -1
                                        ; implicit-def: $vgpr3
	s_branch .LBB15_1408
.LBB15_1404:
	s_mov_b32 s1, -1
                                        ; implicit-def: $vgpr3
.LBB15_1405:
	s_andn2_b32 vcc_lo, exec_lo, s1
	s_cbranch_vccnz .LBB15_1407
; %bb.1406:
	global_load_dword v3, v[10:11], off
	s_waitcnt vmcnt(0)
	v_cvt_f32_i32_e32 v3, v3
.LBB15_1407:
	s_mov_b32 s1, 0
.LBB15_1408:
	s_andn2_b32 vcc_lo, exec_lo, s1
	s_cbranch_vccnz .LBB15_1410
; %bb.1409:
	global_load_sshort v3, v[10:11], off
	s_waitcnt vmcnt(0)
	v_cvt_f32_i32_e32 v3, v3
.LBB15_1410:
	s_mov_b32 s1, 0
.LBB15_1411:
	s_andn2_b32 vcc_lo, exec_lo, s1
	s_cbranch_vccnz .LBB15_1417
; %bb.1412:
	s_cmp_gt_i32 s0, 0
	s_mov_b32 s0, 0
	s_cbranch_scc0 .LBB15_1414
; %bb.1413:
	global_load_sbyte v3, v[10:11], off
	s_waitcnt vmcnt(0)
	v_cvt_f32_i32_e32 v3, v3
	s_branch .LBB15_1415
.LBB15_1414:
	s_mov_b32 s0, -1
                                        ; implicit-def: $vgpr3
.LBB15_1415:
	s_andn2_b32 vcc_lo, exec_lo, s0
	s_cbranch_vccnz .LBB15_1417
; %bb.1416:
	global_load_ubyte v3, v[10:11], off
	s_waitcnt vmcnt(0)
	v_cvt_f32_ubyte0_e32 v3, v3
.LBB15_1417:
.LBB15_1418:
	s_waitcnt vmcnt(0)
	v_and_b32_e32 v11, 0x7fffffff, v3
                                        ; implicit-def: $vgpr15
                                        ; implicit-def: $vgpr14
	s_mov_b32 s1, exec_lo
	v_cmpx_ngt_f32_e64 0x48000000, |v3|
	s_xor_b32 s5, exec_lo, s1
	s_cbranch_execz .LBB15_1420
; %bb.1419:
	s_mov_b32 s0, 0x7fffff
	v_mov_b32_e32 v16, 0
	v_and_or_b32 v8, v11, s0, 0x800000
	v_lshrrev_b32_e32 v10, 23, v11
	v_mad_u64_u32 v[14:15], null, 0xfe5163ab, v8, 0
	v_add_nc_u32_e32 v10, 0xffffff88, v10
	v_cmp_lt_u32_e32 vcc_lo, 63, v10
	v_mad_u64_u32 v[17:18], null, 0x3c439041, v8, v[15:16]
	v_cndmask_b32_e64 v22, 0, 0xffffffc0, vcc_lo
	v_mov_b32_e32 v15, v18
	v_add_nc_u32_e32 v10, v22, v10
	v_mad_u64_u32 v[18:19], null, 0xdb629599, v8, v[15:16]
	v_cmp_lt_u32_e64 s0, 31, v10
	v_cndmask_b32_e64 v23, 0, 0xffffffe0, s0
	v_mov_b32_e32 v15, v19
	v_cndmask_b32_e32 v14, v18, v14, vcc_lo
	v_add_nc_u32_e32 v10, v23, v10
	v_mad_u64_u32 v[19:20], null, 0xf534ddc0, v8, v[15:16]
	v_cmp_lt_u32_e64 s1, 31, v10
	v_mov_b32_e32 v15, v20
	v_mad_u64_u32 v[20:21], null, 0xfc2757d1, v8, v[15:16]
	v_mov_b32_e32 v15, v21
	v_mad_u64_u32 v[21:22], null, 0x4e441529, v8, v[15:16]
	v_mov_b32_e32 v15, v22
	v_cndmask_b32_e32 v22, v21, v19, vcc_lo
	v_mad_u64_u32 v[15:16], null, 0xa2f9836e, v8, v[15:16]
	v_cndmask_b32_e64 v8, 0, 0xffffffe0, s1
	v_add_nc_u32_e32 v8, v8, v10
	v_cndmask_b32_e32 v15, v15, v20, vcc_lo
	v_cndmask_b32_e32 v16, v16, v21, vcc_lo
	v_cndmask_b32_e32 v20, v20, v18, vcc_lo
	v_cndmask_b32_e32 v10, v19, v17, vcc_lo
	v_sub_nc_u32_e32 v19, 32, v8
	v_cndmask_b32_e64 v17, v15, v22, s0
	v_cndmask_b32_e64 v15, v16, v15, s0
	;; [unrolled: 1-line block ×4, first 2 shown]
	v_cmp_eq_u32_e32 vcc_lo, 0, v8
	v_cndmask_b32_e64 v10, v10, v14, s0
	v_cndmask_b32_e64 v15, v15, v17, s1
	;; [unrolled: 1-line block ×5, first 2 shown]
	v_alignbit_b32 v21, v15, v17, v19
	v_alignbit_b32 v18, v17, v16, v19
	;; [unrolled: 1-line block ×3, first 2 shown]
	v_cndmask_b32_e32 v8, v21, v15, vcc_lo
	v_cndmask_b32_e32 v14, v18, v17, vcc_lo
	;; [unrolled: 1-line block ×3, first 2 shown]
	v_bfe_u32 v15, v8, 29, 1
	v_alignbit_b32 v17, v8, v14, 30
	v_alignbit_b32 v14, v14, v16, 30
	v_alignbit_b32 v10, v16, v10, 30
	v_sub_nc_u32_e32 v18, 0, v15
	v_xor_b32_e32 v17, v17, v18
	v_xor_b32_e32 v14, v14, v18
	;; [unrolled: 1-line block ×3, first 2 shown]
	v_lshrrev_b32_e32 v18, 29, v8
	v_lshrrev_b32_e32 v8, 30, v8
	v_ffbh_u32_e32 v19, v17
	v_add_nc_u32_e32 v15, v15, v8
	v_min_u32_e32 v19, 32, v19
	v_sub_nc_u32_e32 v16, 31, v19
	v_lshlrev_b32_e32 v20, 23, v19
	v_alignbit_b32 v17, v17, v14, v16
	v_alignbit_b32 v10, v14, v10, v16
	v_lshlrev_b32_e32 v14, 31, v18
	v_alignbit_b32 v16, v17, v10, 9
	v_or_b32_e32 v18, 0.5, v14
	v_lshrrev_b32_e32 v17, 9, v17
	v_or_b32_e32 v14, 0x33000000, v14
	v_ffbh_u32_e32 v21, v16
	v_sub_nc_u32_e32 v18, v18, v20
	v_min_u32_e32 v20, 32, v21
	v_or_b32_e32 v17, v17, v18
	v_not_b32_e32 v18, v20
	v_mul_f32_e32 v21, 0x3fc90fda, v17
	v_add_lshl_u32 v19, v20, v19, 23
	v_alignbit_b32 v10, v16, v10, v18
	v_fma_f32 v16, 0x3fc90fda, v17, -v21
	v_sub_nc_u32_e32 v14, v14, v19
	v_lshrrev_b32_e32 v10, 9, v10
	v_fmamk_f32 v16, v17, 0x33a22168, v16
	v_or_b32_e32 v10, v14, v10
	v_fmac_f32_e32 v16, 0x3fc90fda, v10
	v_add_f32_e32 v14, v21, v16
.LBB15_1420:
	s_andn2_saveexec_b32 s0, s5
; %bb.1421:
	v_mul_f32_e64 v8, 0x3f22f983, |v3|
	v_rndne_f32_e32 v8, v8
	v_fma_f32 v10, 0xbfc90fda, v8, |v3|
	v_cvt_i32_f32_e32 v15, v8
	v_fmamk_f32 v10, v8, 0xb3a22168, v10
	v_fmamk_f32 v14, v8, 0xa7c234c4, v10
; %bb.1422:
	s_or_b32 exec_lo, exec_lo, s0
	v_add_co_u32 v8, s0, s10, v9
	v_add_co_ci_u32_e64 v9, null, s11, 0, s0
	s_cmp_lt_i32 s4, 11
	s_cbranch_scc1 .LBB15_1429
; %bb.1423:
	s_and_b32 s0, 0xffff, s4
	s_mov_b32 s5, 0
	s_cmp_gt_i32 s0, 25
	s_cbranch_scc0 .LBB15_1431
; %bb.1424:
	s_cmp_gt_i32 s0, 28
	s_cbranch_scc0 .LBB15_1432
; %bb.1425:
	;; [unrolled: 3-line block ×4, first 2 shown]
	s_cmp_eq_u32 s0, 46
	s_mov_b32 s7, 0
	s_cbranch_scc0 .LBB15_1436
; %bb.1428:
	global_load_dword v10, v[8:9], off
	s_mov_b32 s1, 0
	s_mov_b32 s6, -1
	s_waitcnt vmcnt(0)
	v_lshlrev_b32_e32 v10, 16, v10
	s_branch .LBB15_1438
.LBB15_1429:
	s_mov_b32 s6, 0
                                        ; implicit-def: $vgpr10
	s_cbranch_execnz .LBB15_1504
.LBB15_1430:
	s_andn2_b32 vcc_lo, exec_lo, s6
	s_cbranch_vccz .LBB15_1552
	s_branch .LBB15_2121
.LBB15_1431:
	s_mov_b32 s7, -1
	s_mov_b32 s6, 0
	s_mov_b32 s1, 0
                                        ; implicit-def: $vgpr10
	s_branch .LBB15_1467
.LBB15_1432:
	s_mov_b32 s7, -1
	s_mov_b32 s6, 0
	s_mov_b32 s1, 0
                                        ; implicit-def: $vgpr10
	s_branch .LBB15_1448
.LBB15_1433:
	s_mov_b32 s7, -1
	s_mov_b32 s6, 0
	s_mov_b32 s1, 0
                                        ; implicit-def: $vgpr10
	s_branch .LBB15_1443
.LBB15_1434:
	s_or_b32 s2, s2, exec_lo
	s_trap 2
	s_cbranch_execz .LBB15_1369
	s_branch .LBB15_1370
.LBB15_1435:
	s_mov_b32 s7, -1
	s_mov_b32 s6, 0
	s_mov_b32 s1, 0
	s_branch .LBB15_1437
.LBB15_1436:
	s_mov_b32 s1, -1
	s_mov_b32 s6, 0
.LBB15_1437:
                                        ; implicit-def: $vgpr10
.LBB15_1438:
	s_and_b32 vcc_lo, exec_lo, s7
	s_cbranch_vccz .LBB15_1442
; %bb.1439:
	s_cmp_eq_u32 s0, 44
	s_cbranch_scc0 .LBB15_1441
; %bb.1440:
	global_load_ubyte v10, v[8:9], off
	s_mov_b32 s1, 0
	s_mov_b32 s6, -1
	s_waitcnt vmcnt(0)
	v_lshlrev_b32_e32 v16, 23, v10
	v_cmp_ne_u32_e32 vcc_lo, 0xff, v10
	v_cndmask_b32_e32 v16, 0x7f800001, v16, vcc_lo
	v_cmp_ne_u32_e32 vcc_lo, 0, v10
	v_cndmask_b32_e32 v10, 0x400000, v16, vcc_lo
	s_branch .LBB15_1442
.LBB15_1441:
	s_mov_b32 s1, -1
                                        ; implicit-def: $vgpr10
.LBB15_1442:
	s_mov_b32 s7, 0
.LBB15_1443:
	s_and_b32 vcc_lo, exec_lo, s7
	s_cbranch_vccz .LBB15_1447
; %bb.1444:
	s_cmp_eq_u32 s0, 29
	s_cbranch_scc0 .LBB15_1446
; %bb.1445:
	global_load_dwordx2 v[16:17], v[8:9], off
	s_mov_b32 s1, 0
	s_mov_b32 s6, -1
	s_mov_b32 s7, 0
	s_waitcnt vmcnt(0)
	v_ffbh_u32_e32 v10, v17
	v_min_u32_e32 v10, 32, v10
	v_lshlrev_b64 v[16:17], v10, v[16:17]
	v_sub_nc_u32_e32 v10, 32, v10
	v_min_u32_e32 v16, 1, v16
	v_or_b32_e32 v16, v17, v16
	v_cvt_f32_u32_e32 v16, v16
	v_ldexp_f32 v10, v16, v10
	s_branch .LBB15_1448
.LBB15_1446:
	s_mov_b32 s1, -1
                                        ; implicit-def: $vgpr10
.LBB15_1447:
	s_mov_b32 s7, 0
.LBB15_1448:
	s_and_b32 vcc_lo, exec_lo, s7
	s_cbranch_vccz .LBB15_1466
; %bb.1449:
	s_cmp_lt_i32 s0, 27
	s_cbranch_scc1 .LBB15_1452
; %bb.1450:
	s_cmp_gt_i32 s0, 27
	s_cbranch_scc0 .LBB15_1453
; %bb.1451:
	global_load_dword v10, v[8:9], off
	s_mov_b32 s6, 0
	s_waitcnt vmcnt(0)
	v_cvt_f32_u32_e32 v10, v10
	s_branch .LBB15_1454
.LBB15_1452:
	s_mov_b32 s6, -1
                                        ; implicit-def: $vgpr10
	s_branch .LBB15_1457
.LBB15_1453:
	s_mov_b32 s6, -1
                                        ; implicit-def: $vgpr10
.LBB15_1454:
	s_andn2_b32 vcc_lo, exec_lo, s6
	s_cbranch_vccnz .LBB15_1456
; %bb.1455:
	global_load_ushort v10, v[8:9], off
	s_waitcnt vmcnt(0)
	v_cvt_f32_u32_e32 v10, v10
.LBB15_1456:
	s_mov_b32 s6, 0
.LBB15_1457:
	s_andn2_b32 vcc_lo, exec_lo, s6
	s_cbranch_vccnz .LBB15_1465
; %bb.1458:
	global_load_ubyte v16, v[8:9], off
	s_mov_b32 s6, 0
	s_mov_b32 s7, exec_lo
	s_waitcnt vmcnt(0)
	v_cmpx_lt_i16_e32 0x7f, v16
	s_xor_b32 s7, exec_lo, s7
	s_cbranch_execz .LBB15_1479
; %bb.1459:
	s_mov_b32 s6, -1
	s_mov_b32 s14, exec_lo
	v_cmpx_eq_u16_e32 0x80, v16
; %bb.1460:
	s_xor_b32 s6, exec_lo, -1
; %bb.1461:
	s_or_b32 exec_lo, exec_lo, s14
	s_and_b32 s6, s6, exec_lo
	s_or_saveexec_b32 s7, s7
	v_mov_b32_e32 v10, 0x7f800001
	s_xor_b32 exec_lo, exec_lo, s7
	s_cbranch_execnz .LBB15_1480
.LBB15_1462:
	s_or_b32 exec_lo, exec_lo, s7
	s_and_saveexec_b32 s7, s6
	s_cbranch_execz .LBB15_1464
.LBB15_1463:
	v_and_b32_e32 v10, 0xffff, v16
	v_lshlrev_b32_e32 v16, 24, v16
	v_and_b32_e32 v17, 7, v10
	v_bfe_u32 v20, v10, 3, 4
	v_and_b32_e32 v16, 0x80000000, v16
	v_ffbh_u32_e32 v18, v17
	v_cmp_eq_u32_e32 vcc_lo, 0, v20
	v_min_u32_e32 v18, 32, v18
	v_subrev_nc_u32_e32 v19, 28, v18
	v_sub_nc_u32_e32 v18, 29, v18
	v_lshlrev_b32_e32 v10, v19, v10
	v_cndmask_b32_e32 v18, v20, v18, vcc_lo
	v_and_b32_e32 v10, 7, v10
	v_cndmask_b32_e32 v10, v17, v10, vcc_lo
	v_lshl_add_u32 v17, v18, 23, 0x3b800000
	v_lshlrev_b32_e32 v10, 20, v10
	v_or3_b32 v10, v16, v17, v10
.LBB15_1464:
	s_or_b32 exec_lo, exec_lo, s7
.LBB15_1465:
	s_mov_b32 s6, -1
.LBB15_1466:
	s_mov_b32 s7, 0
.LBB15_1467:
	s_and_b32 vcc_lo, exec_lo, s7
	s_cbranch_vccz .LBB15_1500
; %bb.1468:
	s_cmp_gt_i32 s0, 22
	s_cbranch_scc0 .LBB15_1478
; %bb.1469:
	s_cmp_lt_i32 s0, 24
	s_cbranch_scc1 .LBB15_1481
; %bb.1470:
	s_cmp_gt_i32 s0, 24
	s_cbranch_scc0 .LBB15_1482
; %bb.1471:
	global_load_ubyte v16, v[8:9], off
	s_mov_b32 s6, exec_lo
	s_waitcnt vmcnt(0)
	v_cmpx_lt_i16_e32 0x7f, v16
	s_xor_b32 s6, exec_lo, s6
	s_cbranch_execz .LBB15_1494
; %bb.1472:
	s_mov_b32 s5, -1
	s_mov_b32 s7, exec_lo
	v_cmpx_eq_u16_e32 0x80, v16
; %bb.1473:
	s_xor_b32 s5, exec_lo, -1
; %bb.1474:
	s_or_b32 exec_lo, exec_lo, s7
	s_and_b32 s5, s5, exec_lo
	s_or_saveexec_b32 s6, s6
	v_mov_b32_e32 v10, 0x7f800001
	s_xor_b32 exec_lo, exec_lo, s6
	s_cbranch_execnz .LBB15_1495
.LBB15_1475:
	s_or_b32 exec_lo, exec_lo, s6
	s_and_saveexec_b32 s6, s5
	s_cbranch_execz .LBB15_1477
.LBB15_1476:
	v_and_b32_e32 v10, 0xffff, v16
	v_lshlrev_b32_e32 v16, 24, v16
	v_and_b32_e32 v17, 3, v10
	v_bfe_u32 v20, v10, 2, 5
	v_and_b32_e32 v16, 0x80000000, v16
	v_ffbh_u32_e32 v18, v17
	v_cmp_eq_u32_e32 vcc_lo, 0, v20
	v_min_u32_e32 v18, 32, v18
	v_subrev_nc_u32_e32 v19, 29, v18
	v_sub_nc_u32_e32 v18, 30, v18
	v_lshlrev_b32_e32 v10, v19, v10
	v_cndmask_b32_e32 v18, v20, v18, vcc_lo
	v_and_b32_e32 v10, 3, v10
	v_cndmask_b32_e32 v10, v17, v10, vcc_lo
	v_lshl_add_u32 v17, v18, 23, 0x37800000
	v_lshlrev_b32_e32 v10, 21, v10
	v_or3_b32 v10, v16, v17, v10
.LBB15_1477:
	s_or_b32 exec_lo, exec_lo, s6
	s_mov_b32 s5, 0
	s_branch .LBB15_1483
.LBB15_1478:
	s_mov_b32 s5, -1
                                        ; implicit-def: $vgpr10
	s_branch .LBB15_1489
.LBB15_1479:
	s_or_saveexec_b32 s7, s7
	v_mov_b32_e32 v10, 0x7f800001
	s_xor_b32 exec_lo, exec_lo, s7
	s_cbranch_execz .LBB15_1462
.LBB15_1480:
	v_cmp_ne_u16_e32 vcc_lo, 0, v16
	v_mov_b32_e32 v10, 0
	s_andn2_b32 s6, s6, exec_lo
	s_and_b32 s14, vcc_lo, exec_lo
	s_or_b32 s6, s6, s14
	s_or_b32 exec_lo, exec_lo, s7
	s_and_saveexec_b32 s7, s6
	s_cbranch_execnz .LBB15_1463
	s_branch .LBB15_1464
.LBB15_1481:
	s_mov_b32 s5, -1
                                        ; implicit-def: $vgpr10
	s_branch .LBB15_1486
.LBB15_1482:
	s_mov_b32 s5, -1
                                        ; implicit-def: $vgpr10
.LBB15_1483:
	s_and_b32 vcc_lo, exec_lo, s5
	s_cbranch_vccz .LBB15_1485
; %bb.1484:
	global_load_ubyte v10, v[8:9], off
	s_waitcnt vmcnt(0)
	v_lshlrev_b32_e32 v10, 24, v10
	v_and_b32_e32 v16, 0x7f000000, v10
	v_ffbh_u32_e32 v17, v16
	v_add_nc_u32_e32 v19, 0x1000000, v16
	v_cmp_ne_u32_e32 vcc_lo, 0, v16
	v_min_u32_e32 v17, 32, v17
	v_sub_nc_u32_e64 v17, v17, 4 clamp
	v_lshlrev_b32_e32 v18, v17, v16
	v_lshlrev_b32_e32 v17, 23, v17
	v_lshrrev_b32_e32 v18, 4, v18
	v_sub_nc_u32_e32 v17, v18, v17
	v_ashrrev_i32_e32 v18, 8, v19
	v_add_nc_u32_e32 v17, 0x3c000000, v17
	v_and_or_b32 v17, 0x7f800000, v18, v17
	v_cndmask_b32_e32 v16, 0, v17, vcc_lo
	v_and_or_b32 v10, 0x80000000, v10, v16
.LBB15_1485:
	s_mov_b32 s5, 0
.LBB15_1486:
	s_andn2_b32 vcc_lo, exec_lo, s5
	s_cbranch_vccnz .LBB15_1488
; %bb.1487:
	global_load_ubyte v10, v[8:9], off
	s_waitcnt vmcnt(0)
	v_lshlrev_b32_e32 v16, 25, v10
	v_lshlrev_b16 v10, 8, v10
	v_lshrrev_b32_e32 v17, 4, v16
	v_and_or_b32 v18, 0x7f00, v10, 0.5
	v_cmp_gt_u32_e32 vcc_lo, 0x8000000, v16
	v_bfe_i32 v10, v10, 0, 16
	v_or_b32_e32 v17, 0x70000000, v17
	v_add_f32_e32 v18, -0.5, v18
	v_mul_f32_e32 v17, 0x7800000, v17
	v_cndmask_b32_e32 v16, v17, v18, vcc_lo
	v_and_or_b32 v10, 0x80000000, v10, v16
.LBB15_1488:
	s_mov_b32 s5, 0
	s_mov_b32 s6, -1
.LBB15_1489:
	s_andn2_b32 vcc_lo, exec_lo, s5
	s_mov_b32 s5, 0
	s_cbranch_vccnz .LBB15_1500
; %bb.1490:
	s_cmp_gt_i32 s0, 14
	s_cbranch_scc0 .LBB15_1493
; %bb.1491:
	s_cmp_eq_u32 s0, 15
	s_cbranch_scc0 .LBB15_1496
; %bb.1492:
	global_load_ushort v10, v[8:9], off
	s_mov_b32 s1, 0
	s_mov_b32 s6, -1
	s_waitcnt vmcnt(0)
	v_lshlrev_b32_e32 v10, 16, v10
	s_branch .LBB15_1498
.LBB15_1493:
	s_mov_b32 s5, -1
	s_branch .LBB15_1497
.LBB15_1494:
	s_or_saveexec_b32 s6, s6
	v_mov_b32_e32 v10, 0x7f800001
	s_xor_b32 exec_lo, exec_lo, s6
	s_cbranch_execz .LBB15_1475
.LBB15_1495:
	v_cmp_ne_u16_e32 vcc_lo, 0, v16
	v_mov_b32_e32 v10, 0
	s_andn2_b32 s5, s5, exec_lo
	s_and_b32 s7, vcc_lo, exec_lo
	s_or_b32 s5, s5, s7
	s_or_b32 exec_lo, exec_lo, s6
	s_and_saveexec_b32 s6, s5
	s_cbranch_execnz .LBB15_1476
	s_branch .LBB15_1477
.LBB15_1496:
	s_mov_b32 s1, -1
.LBB15_1497:
                                        ; implicit-def: $vgpr10
.LBB15_1498:
	s_and_b32 vcc_lo, exec_lo, s5
	s_mov_b32 s5, 0
	s_cbranch_vccz .LBB15_1500
; %bb.1499:
	s_cmp_lg_u32 s0, 11
	s_mov_b32 s5, -1
	s_cselect_b32 s1, -1, 0
.LBB15_1500:
	s_and_b32 vcc_lo, exec_lo, s1
	s_cbranch_vccnz .LBB15_1567
; %bb.1501:
	s_andn2_b32 vcc_lo, exec_lo, s5
	s_cbranch_vccnz .LBB15_1503
.LBB15_1502:
	global_load_ubyte v10, v[8:9], off
	s_mov_b32 s6, -1
	s_waitcnt vmcnt(0)
	v_cmp_ne_u16_e32 vcc_lo, 0, v10
	v_cndmask_b32_e64 v10, 0, 1.0, vcc_lo
.LBB15_1503:
	s_branch .LBB15_1430
.LBB15_1504:
	s_and_b32 s0, 0xffff, s4
	s_cmp_lt_i32 s0, 5
	s_cbranch_scc1 .LBB15_1509
; %bb.1505:
	s_cmp_lt_i32 s0, 8
	s_cbranch_scc1 .LBB15_1510
; %bb.1506:
	s_cmp_lt_i32 s0, 9
	s_cbranch_scc1 .LBB15_1511
; %bb.1507:
	s_cmp_gt_i32 s0, 9
	s_cbranch_scc0 .LBB15_1512
; %bb.1508:
	global_load_dwordx2 v[16:17], v[8:9], off
	s_mov_b32 s1, 0
	s_waitcnt vmcnt(0)
	v_cvt_f32_f64_e32 v10, v[16:17]
	s_branch .LBB15_1513
.LBB15_1509:
	s_mov_b32 s1, -1
                                        ; implicit-def: $vgpr10
	s_branch .LBB15_1531
.LBB15_1510:
	s_mov_b32 s1, -1
                                        ; implicit-def: $vgpr10
	s_branch .LBB15_1519
.LBB15_1511:
	s_mov_b32 s1, -1
                                        ; implicit-def: $vgpr10
	s_branch .LBB15_1516
.LBB15_1512:
	s_mov_b32 s1, -1
                                        ; implicit-def: $vgpr10
.LBB15_1513:
	s_andn2_b32 vcc_lo, exec_lo, s1
	s_cbranch_vccnz .LBB15_1515
; %bb.1514:
	global_load_dword v10, v[8:9], off
.LBB15_1515:
	s_mov_b32 s1, 0
.LBB15_1516:
	s_andn2_b32 vcc_lo, exec_lo, s1
	s_cbranch_vccnz .LBB15_1518
; %bb.1517:
	global_load_dword v10, v[8:9], off
	s_waitcnt vmcnt(0)
	v_cvt_f32_f16_e32 v10, v10
.LBB15_1518:
	s_mov_b32 s1, 0
.LBB15_1519:
	s_andn2_b32 vcc_lo, exec_lo, s1
	s_cbranch_vccnz .LBB15_1530
; %bb.1520:
	s_cmp_lt_i32 s0, 6
	s_cbranch_scc1 .LBB15_1523
; %bb.1521:
	s_cmp_gt_i32 s0, 6
	s_cbranch_scc0 .LBB15_1524
; %bb.1522:
	global_load_dwordx2 v[16:17], v[8:9], off
	s_mov_b32 s1, 0
	s_waitcnt vmcnt(0)
	v_cvt_f32_f64_e32 v10, v[16:17]
	s_branch .LBB15_1525
.LBB15_1523:
	s_mov_b32 s1, -1
                                        ; implicit-def: $vgpr10
	s_branch .LBB15_1528
.LBB15_1524:
	s_mov_b32 s1, -1
                                        ; implicit-def: $vgpr10
.LBB15_1525:
	s_andn2_b32 vcc_lo, exec_lo, s1
	s_cbranch_vccnz .LBB15_1527
; %bb.1526:
	global_load_dword v10, v[8:9], off
.LBB15_1527:
	s_mov_b32 s1, 0
.LBB15_1528:
	s_andn2_b32 vcc_lo, exec_lo, s1
	s_cbranch_vccnz .LBB15_1530
; %bb.1529:
	global_load_ushort v10, v[8:9], off
	s_waitcnt vmcnt(0)
	v_cvt_f32_f16_e32 v10, v10
.LBB15_1530:
	s_mov_b32 s1, 0
.LBB15_1531:
	s_andn2_b32 vcc_lo, exec_lo, s1
	s_cbranch_vccnz .LBB15_1551
; %bb.1532:
	s_cmp_lt_i32 s0, 2
	s_cbranch_scc1 .LBB15_1536
; %bb.1533:
	s_cmp_lt_i32 s0, 3
	s_cbranch_scc1 .LBB15_1537
; %bb.1534:
	s_cmp_gt_i32 s0, 3
	s_cbranch_scc0 .LBB15_1538
; %bb.1535:
	global_load_dwordx2 v[16:17], v[8:9], off
	s_mov_b32 s1, 0
	s_waitcnt vmcnt(0)
	v_xor_b32_e32 v10, v16, v17
	v_ffbh_i32_e32 v18, v17
	v_ashrrev_i32_e32 v10, 31, v10
	v_add_nc_u32_e32 v18, -1, v18
	v_add_nc_u32_e32 v10, 32, v10
	v_min_u32_e32 v10, v18, v10
	v_lshlrev_b64 v[16:17], v10, v[16:17]
	v_sub_nc_u32_e32 v10, 32, v10
	v_min_u32_e32 v16, 1, v16
	v_or_b32_e32 v16, v17, v16
	v_cvt_f32_i32_e32 v16, v16
	v_ldexp_f32 v10, v16, v10
	s_branch .LBB15_1539
.LBB15_1536:
	s_mov_b32 s1, -1
                                        ; implicit-def: $vgpr10
	s_branch .LBB15_1545
.LBB15_1537:
	s_mov_b32 s1, -1
                                        ; implicit-def: $vgpr10
	s_branch .LBB15_1542
.LBB15_1538:
	s_mov_b32 s1, -1
                                        ; implicit-def: $vgpr10
.LBB15_1539:
	s_andn2_b32 vcc_lo, exec_lo, s1
	s_cbranch_vccnz .LBB15_1541
; %bb.1540:
	global_load_dword v10, v[8:9], off
	s_waitcnt vmcnt(0)
	v_cvt_f32_i32_e32 v10, v10
.LBB15_1541:
	s_mov_b32 s1, 0
.LBB15_1542:
	s_andn2_b32 vcc_lo, exec_lo, s1
	s_cbranch_vccnz .LBB15_1544
; %bb.1543:
	global_load_sshort v10, v[8:9], off
	s_waitcnt vmcnt(0)
	v_cvt_f32_i32_e32 v10, v10
.LBB15_1544:
	s_mov_b32 s1, 0
.LBB15_1545:
	s_andn2_b32 vcc_lo, exec_lo, s1
	s_cbranch_vccnz .LBB15_1551
; %bb.1546:
	s_cmp_gt_i32 s0, 0
	s_mov_b32 s0, 0
	s_cbranch_scc0 .LBB15_1548
; %bb.1547:
	global_load_sbyte v10, v[8:9], off
	s_waitcnt vmcnt(0)
	v_cvt_f32_i32_e32 v10, v10
	s_branch .LBB15_1549
.LBB15_1548:
	s_mov_b32 s0, -1
                                        ; implicit-def: $vgpr10
.LBB15_1549:
	s_andn2_b32 vcc_lo, exec_lo, s0
	s_cbranch_vccnz .LBB15_1551
; %bb.1550:
	global_load_ubyte v8, v[8:9], off
	s_waitcnt vmcnt(0)
	v_cvt_f32_ubyte0_e32 v10, v8
.LBB15_1551:
.LBB15_1552:
	s_waitcnt vmcnt(0)
	v_and_b32_e32 v16, 0x7fffffff, v10
                                        ; implicit-def: $vgpr18
                                        ; implicit-def: $vgpr17
	s_mov_b32 s1, exec_lo
	v_cmpx_ngt_f32_e64 0x48000000, |v10|
	s_xor_b32 s5, exec_lo, s1
	s_cbranch_execz .LBB15_1554
; %bb.1553:
	s_mov_b32 s0, 0x7fffff
	v_mov_b32_e32 v18, 0
	v_and_or_b32 v25, v16, s0, 0x800000
	v_mad_u64_u32 v[8:9], null, 0xfe5163ab, v25, 0
	v_mov_b32_e32 v17, v9
	v_lshrrev_b32_e32 v9, 23, v16
	v_mad_u64_u32 v[19:20], null, 0x3c439041, v25, v[17:18]
	v_add_nc_u32_e32 v9, 0xffffff88, v9
	v_cmp_lt_u32_e32 vcc_lo, 63, v9
	v_mov_b32_e32 v17, v20
	v_cndmask_b32_e64 v24, 0, 0xffffffc0, vcc_lo
	v_mad_u64_u32 v[20:21], null, 0xdb629599, v25, v[17:18]
	v_add_nc_u32_e32 v9, v24, v9
	v_mov_b32_e32 v17, v21
	v_cmp_lt_u32_e64 s0, 31, v9
	v_cndmask_b32_e32 v8, v20, v8, vcc_lo
	v_mad_u64_u32 v[21:22], null, 0xf534ddc0, v25, v[17:18]
	v_cndmask_b32_e64 v26, 0, 0xffffffe0, s0
	v_add_nc_u32_e32 v9, v26, v9
	v_mov_b32_e32 v17, v22
	v_cndmask_b32_e32 v19, v21, v19, vcc_lo
	v_cmp_lt_u32_e64 s1, 31, v9
	v_mad_u64_u32 v[22:23], null, 0xfc2757d1, v25, v[17:18]
	v_cndmask_b32_e64 v8, v19, v8, s0
	v_mov_b32_e32 v17, v23
	v_mad_u64_u32 v[23:24], null, 0x4e441529, v25, v[17:18]
	v_mov_b32_e32 v17, v24
	v_cndmask_b32_e64 v24, 0, 0xffffffe0, s1
	v_mad_u64_u32 v[17:18], null, 0xa2f9836e, v25, v[17:18]
	v_cndmask_b32_e32 v25, v23, v21, vcc_lo
	v_add_nc_u32_e32 v9, v24, v9
	v_cndmask_b32_e32 v17, v17, v22, vcc_lo
	v_cndmask_b32_e32 v18, v18, v23, vcc_lo
	;; [unrolled: 1-line block ×3, first 2 shown]
	v_sub_nc_u32_e32 v23, 32, v9
	v_cmp_eq_u32_e32 vcc_lo, 0, v9
	v_cndmask_b32_e64 v21, v17, v25, s0
	v_cndmask_b32_e64 v17, v18, v17, s0
	;; [unrolled: 1-line block ×8, first 2 shown]
	v_alignbit_b32 v24, v17, v21, v23
	v_alignbit_b32 v20, v21, v18, v23
	;; [unrolled: 1-line block ×3, first 2 shown]
	v_cndmask_b32_e32 v9, v24, v17, vcc_lo
	v_cndmask_b32_e32 v17, v20, v21, vcc_lo
	;; [unrolled: 1-line block ×3, first 2 shown]
	v_bfe_u32 v19, v9, 29, 1
	v_alignbit_b32 v20, v9, v17, 30
	v_alignbit_b32 v17, v17, v18, 30
	;; [unrolled: 1-line block ×3, first 2 shown]
	v_sub_nc_u32_e32 v21, 0, v19
	v_xor_b32_e32 v20, v20, v21
	v_xor_b32_e32 v17, v17, v21
	;; [unrolled: 1-line block ×3, first 2 shown]
	v_lshrrev_b32_e32 v21, 29, v9
	v_ffbh_u32_e32 v22, v20
	v_min_u32_e32 v22, 32, v22
	v_sub_nc_u32_e32 v18, 31, v22
	v_lshlrev_b32_e32 v23, 23, v22
	v_alignbit_b32 v20, v20, v17, v18
	v_alignbit_b32 v8, v17, v8, v18
	v_lshlrev_b32_e32 v17, 31, v21
	v_alignbit_b32 v18, v20, v8, 9
	v_or_b32_e32 v21, 0.5, v17
	v_lshrrev_b32_e32 v20, 9, v20
	v_or_b32_e32 v17, 0x33000000, v17
	v_ffbh_u32_e32 v24, v18
	v_sub_nc_u32_e32 v21, v21, v23
	v_min_u32_e32 v23, 32, v24
	v_or_b32_e32 v20, v20, v21
	v_not_b32_e32 v21, v23
	v_mul_f32_e32 v24, 0x3fc90fda, v20
	v_add_lshl_u32 v22, v23, v22, 23
	v_alignbit_b32 v8, v18, v8, v21
	v_fma_f32 v18, 0x3fc90fda, v20, -v24
	v_sub_nc_u32_e32 v17, v17, v22
	v_lshrrev_b32_e32 v8, 9, v8
	v_fmamk_f32 v18, v20, 0x33a22168, v18
	v_or_b32_e32 v8, v17, v8
	v_fmac_f32_e32 v18, 0x3fc90fda, v8
	v_lshrrev_b32_e32 v8, 30, v9
	v_add_f32_e32 v17, v24, v18
	v_add_nc_u32_e32 v18, v19, v8
.LBB15_1554:
	s_andn2_saveexec_b32 s0, s5
; %bb.1555:
	v_mul_f32_e64 v8, 0x3f22f983, |v10|
	v_rndne_f32_e32 v8, v8
	v_fma_f32 v9, 0xbfc90fda, v8, |v10|
	v_cvt_i32_f32_e32 v18, v8
	v_fmamk_f32 v9, v8, 0xb3a22168, v9
	v_fmamk_f32 v17, v8, 0xa7c234c4, v9
; %bb.1556:
	s_or_b32 exec_lo, exec_lo, s0
	v_add_co_u32 v7, s0, s10, v7
	v_add_co_ci_u32_e64 v8, null, s11, 0, s0
	s_cmp_lt_i32 s4, 11
	s_cbranch_scc1 .LBB15_1563
; %bb.1557:
	s_and_b32 s0, 0xffff, s4
	s_mov_b32 s5, 0
	s_cmp_gt_i32 s0, 25
	s_cbranch_scc0 .LBB15_1564
; %bb.1558:
	s_cmp_gt_i32 s0, 28
	s_cbranch_scc0 .LBB15_1565
; %bb.1559:
	;; [unrolled: 3-line block ×4, first 2 shown]
	s_cmp_eq_u32 s0, 46
	s_mov_b32 s7, 0
	s_cbranch_scc0 .LBB15_1569
; %bb.1562:
	global_load_dword v9, v[7:8], off
	s_mov_b32 s1, 0
	s_mov_b32 s6, -1
	s_waitcnt vmcnt(0)
	v_lshlrev_b32_e32 v9, 16, v9
	s_branch .LBB15_1571
.LBB15_1563:
	s_mov_b32 s0, -1
	s_mov_b32 s6, 0
                                        ; implicit-def: $vgpr9
	s_branch .LBB15_1637
.LBB15_1564:
	s_mov_b32 s7, -1
	s_mov_b32 s6, 0
	s_mov_b32 s1, 0
                                        ; implicit-def: $vgpr9
	s_branch .LBB15_1600
.LBB15_1565:
	s_mov_b32 s7, -1
	s_mov_b32 s6, 0
	s_mov_b32 s1, 0
                                        ; implicit-def: $vgpr9
	s_branch .LBB15_1581
.LBB15_1566:
	s_mov_b32 s7, -1
	s_mov_b32 s6, 0
	s_mov_b32 s1, 0
                                        ; implicit-def: $vgpr9
	s_branch .LBB15_1576
.LBB15_1567:
	s_or_b32 s2, s2, exec_lo
	s_trap 2
	s_cbranch_execz .LBB15_1502
	s_branch .LBB15_1503
.LBB15_1568:
	s_mov_b32 s7, -1
	s_mov_b32 s6, 0
	s_mov_b32 s1, 0
	s_branch .LBB15_1570
.LBB15_1569:
	s_mov_b32 s1, -1
	s_mov_b32 s6, 0
.LBB15_1570:
                                        ; implicit-def: $vgpr9
.LBB15_1571:
	s_and_b32 vcc_lo, exec_lo, s7
	s_cbranch_vccz .LBB15_1575
; %bb.1572:
	s_cmp_eq_u32 s0, 44
	s_cbranch_scc0 .LBB15_1574
; %bb.1573:
	global_load_ubyte v9, v[7:8], off
	s_mov_b32 s1, 0
	s_mov_b32 s6, -1
	s_waitcnt vmcnt(0)
	v_lshlrev_b32_e32 v19, 23, v9
	v_cmp_ne_u32_e32 vcc_lo, 0xff, v9
	v_cndmask_b32_e32 v19, 0x7f800001, v19, vcc_lo
	v_cmp_ne_u32_e32 vcc_lo, 0, v9
	v_cndmask_b32_e32 v9, 0x400000, v19, vcc_lo
	s_branch .LBB15_1575
.LBB15_1574:
	s_mov_b32 s1, -1
                                        ; implicit-def: $vgpr9
.LBB15_1575:
	s_mov_b32 s7, 0
.LBB15_1576:
	s_and_b32 vcc_lo, exec_lo, s7
	s_cbranch_vccz .LBB15_1580
; %bb.1577:
	s_cmp_eq_u32 s0, 29
	s_cbranch_scc0 .LBB15_1579
; %bb.1578:
	global_load_dwordx2 v[19:20], v[7:8], off
	s_mov_b32 s1, 0
	s_mov_b32 s6, -1
	s_mov_b32 s7, 0
	s_waitcnt vmcnt(0)
	v_ffbh_u32_e32 v9, v20
	v_min_u32_e32 v9, 32, v9
	v_lshlrev_b64 v[19:20], v9, v[19:20]
	v_sub_nc_u32_e32 v9, 32, v9
	v_min_u32_e32 v19, 1, v19
	v_or_b32_e32 v19, v20, v19
	v_cvt_f32_u32_e32 v19, v19
	v_ldexp_f32 v9, v19, v9
	s_branch .LBB15_1581
.LBB15_1579:
	s_mov_b32 s1, -1
                                        ; implicit-def: $vgpr9
.LBB15_1580:
	s_mov_b32 s7, 0
.LBB15_1581:
	s_and_b32 vcc_lo, exec_lo, s7
	s_cbranch_vccz .LBB15_1599
; %bb.1582:
	s_cmp_lt_i32 s0, 27
	s_cbranch_scc1 .LBB15_1585
; %bb.1583:
	s_cmp_gt_i32 s0, 27
	s_cbranch_scc0 .LBB15_1586
; %bb.1584:
	global_load_dword v9, v[7:8], off
	s_mov_b32 s6, 0
	s_waitcnt vmcnt(0)
	v_cvt_f32_u32_e32 v9, v9
	s_branch .LBB15_1587
.LBB15_1585:
	s_mov_b32 s6, -1
                                        ; implicit-def: $vgpr9
	s_branch .LBB15_1590
.LBB15_1586:
	s_mov_b32 s6, -1
                                        ; implicit-def: $vgpr9
.LBB15_1587:
	s_andn2_b32 vcc_lo, exec_lo, s6
	s_cbranch_vccnz .LBB15_1589
; %bb.1588:
	global_load_ushort v9, v[7:8], off
	s_waitcnt vmcnt(0)
	v_cvt_f32_u32_e32 v9, v9
.LBB15_1589:
	s_mov_b32 s6, 0
.LBB15_1590:
	s_andn2_b32 vcc_lo, exec_lo, s6
	s_cbranch_vccnz .LBB15_1598
; %bb.1591:
	global_load_ubyte v19, v[7:8], off
	s_mov_b32 s6, 0
	s_mov_b32 s7, exec_lo
	s_waitcnt vmcnt(0)
	v_cmpx_lt_i16_e32 0x7f, v19
	s_xor_b32 s7, exec_lo, s7
	s_cbranch_execz .LBB15_1612
; %bb.1592:
	s_mov_b32 s6, -1
	s_mov_b32 s10, exec_lo
	v_cmpx_eq_u16_e32 0x80, v19
; %bb.1593:
	s_xor_b32 s6, exec_lo, -1
; %bb.1594:
	s_or_b32 exec_lo, exec_lo, s10
	s_and_b32 s6, s6, exec_lo
	s_or_saveexec_b32 s7, s7
	v_mov_b32_e32 v9, 0x7f800001
	s_xor_b32 exec_lo, exec_lo, s7
	s_cbranch_execnz .LBB15_1613
.LBB15_1595:
	s_or_b32 exec_lo, exec_lo, s7
	s_and_saveexec_b32 s7, s6
	s_cbranch_execz .LBB15_1597
.LBB15_1596:
	v_and_b32_e32 v9, 0xffff, v19
	v_lshlrev_b32_e32 v19, 24, v19
	v_and_b32_e32 v20, 7, v9
	v_bfe_u32 v23, v9, 3, 4
	v_and_b32_e32 v19, 0x80000000, v19
	v_ffbh_u32_e32 v21, v20
	v_cmp_eq_u32_e32 vcc_lo, 0, v23
	v_min_u32_e32 v21, 32, v21
	v_subrev_nc_u32_e32 v22, 28, v21
	v_sub_nc_u32_e32 v21, 29, v21
	v_lshlrev_b32_e32 v9, v22, v9
	v_cndmask_b32_e32 v21, v23, v21, vcc_lo
	v_and_b32_e32 v9, 7, v9
	v_cndmask_b32_e32 v9, v20, v9, vcc_lo
	v_lshl_add_u32 v20, v21, 23, 0x3b800000
	v_lshlrev_b32_e32 v9, 20, v9
	v_or3_b32 v9, v19, v20, v9
.LBB15_1597:
	s_or_b32 exec_lo, exec_lo, s7
.LBB15_1598:
	s_mov_b32 s6, -1
.LBB15_1599:
	s_mov_b32 s7, 0
.LBB15_1600:
	s_and_b32 vcc_lo, exec_lo, s7
	s_cbranch_vccz .LBB15_1633
; %bb.1601:
	s_cmp_gt_i32 s0, 22
	s_cbranch_scc0 .LBB15_1611
; %bb.1602:
	s_cmp_lt_i32 s0, 24
	s_cbranch_scc1 .LBB15_1614
; %bb.1603:
	s_cmp_gt_i32 s0, 24
	s_cbranch_scc0 .LBB15_1615
; %bb.1604:
	global_load_ubyte v19, v[7:8], off
	s_mov_b32 s6, exec_lo
	s_waitcnt vmcnt(0)
	v_cmpx_lt_i16_e32 0x7f, v19
	s_xor_b32 s6, exec_lo, s6
	s_cbranch_execz .LBB15_1627
; %bb.1605:
	s_mov_b32 s5, -1
	s_mov_b32 s7, exec_lo
	v_cmpx_eq_u16_e32 0x80, v19
; %bb.1606:
	s_xor_b32 s5, exec_lo, -1
; %bb.1607:
	s_or_b32 exec_lo, exec_lo, s7
	s_and_b32 s5, s5, exec_lo
	s_or_saveexec_b32 s6, s6
	v_mov_b32_e32 v9, 0x7f800001
	s_xor_b32 exec_lo, exec_lo, s6
	s_cbranch_execnz .LBB15_1628
.LBB15_1608:
	s_or_b32 exec_lo, exec_lo, s6
	s_and_saveexec_b32 s6, s5
	s_cbranch_execz .LBB15_1610
.LBB15_1609:
	v_and_b32_e32 v9, 0xffff, v19
	v_lshlrev_b32_e32 v19, 24, v19
	v_and_b32_e32 v20, 3, v9
	v_bfe_u32 v23, v9, 2, 5
	v_and_b32_e32 v19, 0x80000000, v19
	v_ffbh_u32_e32 v21, v20
	v_cmp_eq_u32_e32 vcc_lo, 0, v23
	v_min_u32_e32 v21, 32, v21
	v_subrev_nc_u32_e32 v22, 29, v21
	v_sub_nc_u32_e32 v21, 30, v21
	v_lshlrev_b32_e32 v9, v22, v9
	v_cndmask_b32_e32 v21, v23, v21, vcc_lo
	v_and_b32_e32 v9, 3, v9
	v_cndmask_b32_e32 v9, v20, v9, vcc_lo
	v_lshl_add_u32 v20, v21, 23, 0x37800000
	v_lshlrev_b32_e32 v9, 21, v9
	v_or3_b32 v9, v19, v20, v9
.LBB15_1610:
	s_or_b32 exec_lo, exec_lo, s6
	s_mov_b32 s5, 0
	s_branch .LBB15_1616
.LBB15_1611:
	s_mov_b32 s5, -1
                                        ; implicit-def: $vgpr9
	s_branch .LBB15_1622
.LBB15_1612:
	s_or_saveexec_b32 s7, s7
	v_mov_b32_e32 v9, 0x7f800001
	s_xor_b32 exec_lo, exec_lo, s7
	s_cbranch_execz .LBB15_1595
.LBB15_1613:
	v_cmp_ne_u16_e32 vcc_lo, 0, v19
	v_mov_b32_e32 v9, 0
	s_andn2_b32 s6, s6, exec_lo
	s_and_b32 s10, vcc_lo, exec_lo
	s_or_b32 s6, s6, s10
	s_or_b32 exec_lo, exec_lo, s7
	s_and_saveexec_b32 s7, s6
	s_cbranch_execnz .LBB15_1596
	s_branch .LBB15_1597
.LBB15_1614:
	s_mov_b32 s5, -1
                                        ; implicit-def: $vgpr9
	s_branch .LBB15_1619
.LBB15_1615:
	s_mov_b32 s5, -1
                                        ; implicit-def: $vgpr9
.LBB15_1616:
	s_and_b32 vcc_lo, exec_lo, s5
	s_cbranch_vccz .LBB15_1618
; %bb.1617:
	global_load_ubyte v9, v[7:8], off
	s_waitcnt vmcnt(0)
	v_lshlrev_b32_e32 v9, 24, v9
	v_and_b32_e32 v19, 0x7f000000, v9
	v_ffbh_u32_e32 v20, v19
	v_add_nc_u32_e32 v22, 0x1000000, v19
	v_cmp_ne_u32_e32 vcc_lo, 0, v19
	v_min_u32_e32 v20, 32, v20
	v_sub_nc_u32_e64 v20, v20, 4 clamp
	v_lshlrev_b32_e32 v21, v20, v19
	v_lshlrev_b32_e32 v20, 23, v20
	v_lshrrev_b32_e32 v21, 4, v21
	v_sub_nc_u32_e32 v20, v21, v20
	v_ashrrev_i32_e32 v21, 8, v22
	v_add_nc_u32_e32 v20, 0x3c000000, v20
	v_and_or_b32 v20, 0x7f800000, v21, v20
	v_cndmask_b32_e32 v19, 0, v20, vcc_lo
	v_and_or_b32 v9, 0x80000000, v9, v19
.LBB15_1618:
	s_mov_b32 s5, 0
.LBB15_1619:
	s_andn2_b32 vcc_lo, exec_lo, s5
	s_cbranch_vccnz .LBB15_1621
; %bb.1620:
	global_load_ubyte v9, v[7:8], off
	s_waitcnt vmcnt(0)
	v_lshlrev_b32_e32 v19, 25, v9
	v_lshlrev_b16 v9, 8, v9
	v_lshrrev_b32_e32 v20, 4, v19
	v_and_or_b32 v21, 0x7f00, v9, 0.5
	v_cmp_gt_u32_e32 vcc_lo, 0x8000000, v19
	v_bfe_i32 v9, v9, 0, 16
	v_or_b32_e32 v20, 0x70000000, v20
	v_add_f32_e32 v21, -0.5, v21
	v_mul_f32_e32 v20, 0x7800000, v20
	v_cndmask_b32_e32 v19, v20, v21, vcc_lo
	v_and_or_b32 v9, 0x80000000, v9, v19
.LBB15_1621:
	s_mov_b32 s5, 0
	s_mov_b32 s6, -1
.LBB15_1622:
	s_andn2_b32 vcc_lo, exec_lo, s5
	s_mov_b32 s5, 0
	s_cbranch_vccnz .LBB15_1633
; %bb.1623:
	s_cmp_gt_i32 s0, 14
	s_cbranch_scc0 .LBB15_1626
; %bb.1624:
	s_cmp_eq_u32 s0, 15
	s_cbranch_scc0 .LBB15_1629
; %bb.1625:
	global_load_ushort v9, v[7:8], off
	s_mov_b32 s1, 0
	s_mov_b32 s6, -1
	s_waitcnt vmcnt(0)
	v_lshlrev_b32_e32 v9, 16, v9
	s_branch .LBB15_1631
.LBB15_1626:
	s_mov_b32 s5, -1
	s_branch .LBB15_1630
.LBB15_1627:
	s_or_saveexec_b32 s6, s6
	v_mov_b32_e32 v9, 0x7f800001
	s_xor_b32 exec_lo, exec_lo, s6
	s_cbranch_execz .LBB15_1608
.LBB15_1628:
	v_cmp_ne_u16_e32 vcc_lo, 0, v19
	v_mov_b32_e32 v9, 0
	s_andn2_b32 s5, s5, exec_lo
	s_and_b32 s7, vcc_lo, exec_lo
	s_or_b32 s5, s5, s7
	s_or_b32 exec_lo, exec_lo, s6
	s_and_saveexec_b32 s6, s5
	s_cbranch_execnz .LBB15_1609
	s_branch .LBB15_1610
.LBB15_1629:
	s_mov_b32 s1, -1
.LBB15_1630:
                                        ; implicit-def: $vgpr9
.LBB15_1631:
	s_and_b32 vcc_lo, exec_lo, s5
	s_mov_b32 s5, 0
	s_cbranch_vccz .LBB15_1633
; %bb.1632:
	s_cmp_lg_u32 s0, 11
	s_mov_b32 s5, -1
	s_cselect_b32 s1, -1, 0
.LBB15_1633:
	s_and_b32 vcc_lo, exec_lo, s1
	s_cbranch_vccnz .LBB15_2166
; %bb.1634:
	s_andn2_b32 vcc_lo, exec_lo, s5
	s_cbranch_vccnz .LBB15_1636
.LBB15_1635:
	global_load_ubyte v9, v[7:8], off
	s_mov_b32 s6, -1
	s_waitcnt vmcnt(0)
	v_cmp_ne_u16_e32 vcc_lo, 0, v9
	v_cndmask_b32_e64 v9, 0, 1.0, vcc_lo
.LBB15_1636:
	s_mov_b32 s0, 0
.LBB15_1637:
	s_and_b32 vcc_lo, exec_lo, s0
	s_cbranch_vccz .LBB15_1686
; %bb.1638:
	s_and_b32 s0, 0xffff, s4
	s_cmp_lt_i32 s0, 5
	s_cbranch_scc1 .LBB15_1643
; %bb.1639:
	s_cmp_lt_i32 s0, 8
	s_cbranch_scc1 .LBB15_1644
; %bb.1640:
	s_cmp_lt_i32 s0, 9
	s_cbranch_scc1 .LBB15_1645
; %bb.1641:
	s_cmp_gt_i32 s0, 9
	s_cbranch_scc0 .LBB15_1646
; %bb.1642:
	global_load_dwordx2 v[19:20], v[7:8], off
	s_mov_b32 s1, 0
	s_waitcnt vmcnt(0)
	v_cvt_f32_f64_e32 v9, v[19:20]
	s_branch .LBB15_1647
.LBB15_1643:
	s_mov_b32 s1, -1
                                        ; implicit-def: $vgpr9
	s_branch .LBB15_1665
.LBB15_1644:
	s_mov_b32 s1, -1
                                        ; implicit-def: $vgpr9
	s_branch .LBB15_1653
.LBB15_1645:
	s_mov_b32 s1, -1
                                        ; implicit-def: $vgpr9
	s_branch .LBB15_1650
.LBB15_1646:
	s_mov_b32 s1, -1
                                        ; implicit-def: $vgpr9
.LBB15_1647:
	s_andn2_b32 vcc_lo, exec_lo, s1
	s_cbranch_vccnz .LBB15_1649
; %bb.1648:
	global_load_dword v9, v[7:8], off
.LBB15_1649:
	s_mov_b32 s1, 0
.LBB15_1650:
	s_andn2_b32 vcc_lo, exec_lo, s1
	s_cbranch_vccnz .LBB15_1652
; %bb.1651:
	global_load_dword v9, v[7:8], off
	s_waitcnt vmcnt(0)
	v_cvt_f32_f16_e32 v9, v9
.LBB15_1652:
	s_mov_b32 s1, 0
.LBB15_1653:
	s_andn2_b32 vcc_lo, exec_lo, s1
	s_cbranch_vccnz .LBB15_1664
; %bb.1654:
	s_cmp_lt_i32 s0, 6
	s_cbranch_scc1 .LBB15_1657
; %bb.1655:
	s_cmp_gt_i32 s0, 6
	s_cbranch_scc0 .LBB15_1658
; %bb.1656:
	global_load_dwordx2 v[19:20], v[7:8], off
	s_mov_b32 s1, 0
	s_waitcnt vmcnt(0)
	v_cvt_f32_f64_e32 v9, v[19:20]
	s_branch .LBB15_1659
.LBB15_1657:
	s_mov_b32 s1, -1
                                        ; implicit-def: $vgpr9
	s_branch .LBB15_1662
.LBB15_1658:
	s_mov_b32 s1, -1
                                        ; implicit-def: $vgpr9
.LBB15_1659:
	s_andn2_b32 vcc_lo, exec_lo, s1
	s_cbranch_vccnz .LBB15_1661
; %bb.1660:
	global_load_dword v9, v[7:8], off
.LBB15_1661:
	s_mov_b32 s1, 0
.LBB15_1662:
	s_andn2_b32 vcc_lo, exec_lo, s1
	s_cbranch_vccnz .LBB15_1664
; %bb.1663:
	global_load_ushort v9, v[7:8], off
	s_waitcnt vmcnt(0)
	v_cvt_f32_f16_e32 v9, v9
.LBB15_1664:
	s_mov_b32 s1, 0
.LBB15_1665:
	s_andn2_b32 vcc_lo, exec_lo, s1
	s_cbranch_vccnz .LBB15_1685
; %bb.1666:
	s_cmp_lt_i32 s0, 2
	s_cbranch_scc1 .LBB15_1670
; %bb.1667:
	s_cmp_lt_i32 s0, 3
	s_cbranch_scc1 .LBB15_1671
; %bb.1668:
	s_cmp_gt_i32 s0, 3
	s_cbranch_scc0 .LBB15_1672
; %bb.1669:
	global_load_dwordx2 v[19:20], v[7:8], off
	s_mov_b32 s1, 0
	s_waitcnt vmcnt(0)
	v_xor_b32_e32 v9, v19, v20
	v_ffbh_i32_e32 v21, v20
	v_ashrrev_i32_e32 v9, 31, v9
	v_add_nc_u32_e32 v21, -1, v21
	v_add_nc_u32_e32 v9, 32, v9
	v_min_u32_e32 v9, v21, v9
	v_lshlrev_b64 v[19:20], v9, v[19:20]
	v_sub_nc_u32_e32 v9, 32, v9
	v_min_u32_e32 v19, 1, v19
	v_or_b32_e32 v19, v20, v19
	v_cvt_f32_i32_e32 v19, v19
	v_ldexp_f32 v9, v19, v9
	s_branch .LBB15_1673
.LBB15_1670:
	s_mov_b32 s1, -1
                                        ; implicit-def: $vgpr9
	s_branch .LBB15_1679
.LBB15_1671:
	s_mov_b32 s1, -1
                                        ; implicit-def: $vgpr9
	s_branch .LBB15_1676
.LBB15_1672:
	s_mov_b32 s1, -1
                                        ; implicit-def: $vgpr9
.LBB15_1673:
	s_andn2_b32 vcc_lo, exec_lo, s1
	s_cbranch_vccnz .LBB15_1675
; %bb.1674:
	global_load_dword v9, v[7:8], off
	s_waitcnt vmcnt(0)
	v_cvt_f32_i32_e32 v9, v9
.LBB15_1675:
	s_mov_b32 s1, 0
.LBB15_1676:
	s_andn2_b32 vcc_lo, exec_lo, s1
	s_cbranch_vccnz .LBB15_1678
; %bb.1677:
	global_load_sshort v9, v[7:8], off
	s_waitcnt vmcnt(0)
	v_cvt_f32_i32_e32 v9, v9
.LBB15_1678:
	s_mov_b32 s1, 0
.LBB15_1679:
	s_andn2_b32 vcc_lo, exec_lo, s1
	s_cbranch_vccnz .LBB15_1685
; %bb.1680:
	s_cmp_gt_i32 s0, 0
	s_mov_b32 s0, 0
	s_cbranch_scc0 .LBB15_1682
; %bb.1681:
	global_load_sbyte v9, v[7:8], off
	s_waitcnt vmcnt(0)
	v_cvt_f32_i32_e32 v9, v9
	s_branch .LBB15_1683
.LBB15_1682:
	s_mov_b32 s0, -1
                                        ; implicit-def: $vgpr9
.LBB15_1683:
	s_andn2_b32 vcc_lo, exec_lo, s0
	s_cbranch_vccnz .LBB15_1685
; %bb.1684:
	global_load_ubyte v7, v[7:8], off
	s_waitcnt vmcnt(0)
	v_cvt_f32_ubyte0_e32 v9, v7
.LBB15_1685:
	s_mov_b32 s6, -1
.LBB15_1686:
	s_andn2_b32 vcc_lo, exec_lo, s6
	s_cbranch_vccnz .LBB15_2121
; %bb.1687:
	s_waitcnt vmcnt(0)
	v_and_b32_e32 v19, 0x7fffffff, v9
                                        ; implicit-def: $vgpr21
                                        ; implicit-def: $vgpr20
	s_mov_b32 s1, exec_lo
	v_cmpx_ngt_f32_e64 0x48000000, |v9|
	s_xor_b32 s4, exec_lo, s1
	s_cbranch_execz .LBB15_1689
; %bb.1688:
	s_mov_b32 s0, 0x7fffff
	v_mov_b32_e32 v21, 0
	v_and_or_b32 v28, v19, s0, 0x800000
	v_mad_u64_u32 v[7:8], null, 0xfe5163ab, v28, 0
	v_mov_b32_e32 v20, v8
	v_lshrrev_b32_e32 v8, 23, v19
	v_mad_u64_u32 v[22:23], null, 0x3c439041, v28, v[20:21]
	v_add_nc_u32_e32 v8, 0xffffff88, v8
	v_cmp_lt_u32_e32 vcc_lo, 63, v8
	v_mov_b32_e32 v20, v23
	v_cndmask_b32_e64 v27, 0, 0xffffffc0, vcc_lo
	v_mad_u64_u32 v[23:24], null, 0xdb629599, v28, v[20:21]
	v_add_nc_u32_e32 v8, v27, v8
	v_mov_b32_e32 v20, v24
	v_cmp_lt_u32_e64 s0, 31, v8
	v_cndmask_b32_e32 v7, v23, v7, vcc_lo
	v_mad_u64_u32 v[24:25], null, 0xf534ddc0, v28, v[20:21]
	v_cndmask_b32_e64 v29, 0, 0xffffffe0, s0
	v_add_nc_u32_e32 v8, v29, v8
	v_mov_b32_e32 v20, v25
	v_cndmask_b32_e32 v22, v24, v22, vcc_lo
	v_cmp_lt_u32_e64 s1, 31, v8
	v_mad_u64_u32 v[25:26], null, 0xfc2757d1, v28, v[20:21]
	v_cndmask_b32_e64 v7, v22, v7, s0
	v_mov_b32_e32 v20, v26
	v_mad_u64_u32 v[26:27], null, 0x4e441529, v28, v[20:21]
	v_mov_b32_e32 v20, v27
	v_cndmask_b32_e64 v27, 0, 0xffffffe0, s1
	v_mad_u64_u32 v[20:21], null, 0xa2f9836e, v28, v[20:21]
	v_cndmask_b32_e32 v28, v26, v24, vcc_lo
	v_add_nc_u32_e32 v8, v27, v8
	v_cndmask_b32_e32 v20, v20, v25, vcc_lo
	v_cndmask_b32_e32 v21, v21, v26, vcc_lo
	;; [unrolled: 1-line block ×3, first 2 shown]
	v_sub_nc_u32_e32 v26, 32, v8
	v_cmp_eq_u32_e32 vcc_lo, 0, v8
	v_cndmask_b32_e64 v24, v20, v28, s0
	v_cndmask_b32_e64 v20, v21, v20, s0
	;; [unrolled: 1-line block ×8, first 2 shown]
	v_alignbit_b32 v27, v20, v24, v26
	v_alignbit_b32 v23, v24, v21, v26
	;; [unrolled: 1-line block ×3, first 2 shown]
	v_cndmask_b32_e32 v8, v27, v20, vcc_lo
	v_cndmask_b32_e32 v20, v23, v24, vcc_lo
	;; [unrolled: 1-line block ×3, first 2 shown]
	v_bfe_u32 v22, v8, 29, 1
	v_alignbit_b32 v23, v8, v20, 30
	v_alignbit_b32 v20, v20, v21, 30
	;; [unrolled: 1-line block ×3, first 2 shown]
	v_sub_nc_u32_e32 v24, 0, v22
	v_xor_b32_e32 v23, v23, v24
	v_xor_b32_e32 v20, v20, v24
	;; [unrolled: 1-line block ×3, first 2 shown]
	v_lshrrev_b32_e32 v24, 29, v8
	v_ffbh_u32_e32 v25, v23
	v_min_u32_e32 v25, 32, v25
	v_sub_nc_u32_e32 v21, 31, v25
	v_lshlrev_b32_e32 v26, 23, v25
	v_alignbit_b32 v23, v23, v20, v21
	v_alignbit_b32 v7, v20, v7, v21
	v_lshlrev_b32_e32 v20, 31, v24
	v_alignbit_b32 v21, v23, v7, 9
	v_or_b32_e32 v24, 0.5, v20
	v_lshrrev_b32_e32 v23, 9, v23
	v_or_b32_e32 v20, 0x33000000, v20
	v_ffbh_u32_e32 v27, v21
	v_sub_nc_u32_e32 v24, v24, v26
	v_min_u32_e32 v26, 32, v27
	v_or_b32_e32 v23, v23, v24
	v_not_b32_e32 v24, v26
	v_mul_f32_e32 v27, 0x3fc90fda, v23
	v_add_lshl_u32 v25, v26, v25, 23
	v_alignbit_b32 v7, v21, v7, v24
	v_fma_f32 v21, 0x3fc90fda, v23, -v27
	v_sub_nc_u32_e32 v20, v20, v25
	v_lshrrev_b32_e32 v7, 9, v7
	v_fmamk_f32 v21, v23, 0x33a22168, v21
	v_or_b32_e32 v7, v20, v7
	v_fmac_f32_e32 v21, 0x3fc90fda, v7
	v_lshrrev_b32_e32 v7, 30, v8
	v_add_f32_e32 v20, v27, v21
	v_add_nc_u32_e32 v21, v22, v7
.LBB15_1689:
	s_andn2_saveexec_b32 s0, s4
; %bb.1690:
	v_mul_f32_e64 v7, 0x3f22f983, |v9|
	v_rndne_f32_e32 v7, v7
	v_fma_f32 v8, 0xbfc90fda, v7, |v9|
	v_cvt_i32_f32_e32 v21, v7
	v_fmamk_f32 v8, v7, 0xb3a22168, v8
	v_fmamk_f32 v20, v7, 0xa7c234c4, v8
; %bb.1691:
	s_or_b32 exec_lo, exec_lo, s0
	v_mul_f32_e32 v7, v12, v12
	s_mov_b32 s0, 0xb94c1982
	s_mov_b32 s1, 0x37d75334
	v_and_b32_e32 v23, 1, v13
	v_lshlrev_b32_e32 v13, 30, v13
	v_fmaak_f32 v8, s0, v7, 0x3c0881c4
	v_fmaak_f32 v22, s1, v7, 0xbab64f3b
	v_xor_b32_e32 v5, v5, v1
	v_cmp_eq_u32_e32 vcc_lo, 0, v23
	s_bfe_u32 s1, s3, 0x80008
	v_fmaak_f32 v8, v7, v8, 0xbe2aaa9d
	v_fmaak_f32 v22, v7, v22, 0x3d2aabf7
	s_mov_b32 s6, 0
	s_cmp_lt_i32 s1, 11
	v_mul_f32_e32 v8, v7, v8
	v_fmaak_f32 v22, v7, v22, 0xbf000004
	v_fmac_f32_e32 v12, v12, v8
	v_fma_f32 v7, v7, v22, 1.0
	v_and_b32_e32 v8, 0x80000000, v13
	v_cndmask_b32_e32 v7, v7, v12, vcc_lo
	v_cmp_class_f32_e64 vcc_lo, v1, 0x1f8
	v_xor3_b32 v5, v5, v8, v7
	v_cndmask_b32_e32 v7, 0x7fc00000, v5, vcc_lo
	v_add_co_u32 v5, s0, s8, v6
	v_add_co_ci_u32_e64 v6, null, s9, 0, s0
	s_mov_b32 s0, -1
	s_cbranch_scc1 .LBB15_1770
; %bb.1692:
	s_and_b32 s4, 0xffff, s1
	s_mov_b32 s7, -1
	s_mov_b32 s5, 0
	s_cmp_gt_i32 s4, 25
	s_mov_b32 s0, 0
	s_cbranch_scc0 .LBB15_1725
; %bb.1693:
	s_cmp_gt_i32 s4, 28
	s_cbranch_scc0 .LBB15_1708
; %bb.1694:
	s_cmp_gt_i32 s4, 43
	;; [unrolled: 3-line block ×3, first 2 shown]
	s_cbranch_scc0 .LBB15_1698
; %bb.1696:
	s_mov_b32 s0, -1
	s_mov_b32 s7, 0
	s_cmp_eq_u32 s4, 46
	s_cbranch_scc0 .LBB15_1698
; %bb.1697:
	v_bfe_u32 v1, v7, 16, 1
	v_cmp_o_f32_e32 vcc_lo, v7, v7
	v_mov_b32_e32 v8, 0x7fc0
	s_mov_b32 s0, 0
	s_mov_b32 s6, -1
	v_add3_u32 v1, v7, v1, 0x7fff
	v_cndmask_b32_sdwa v1, v8, v1, vcc_lo dst_sel:DWORD dst_unused:UNUSED_PAD src0_sel:DWORD src1_sel:WORD_1
	global_store_dword v[5:6], v1, off
.LBB15_1698:
	s_and_b32 vcc_lo, exec_lo, s7
	s_cbranch_vccz .LBB15_1703
; %bb.1699:
	s_cmp_eq_u32 s4, 44
	s_mov_b32 s0, -1
	s_cbranch_scc0 .LBB15_1703
; %bb.1700:
	v_bfe_u32 v8, v7, 23, 8
	v_mov_b32_e32 v1, 0xff
	s_mov_b32 s6, exec_lo
	v_cmpx_ne_u32_e32 0xff, v8
	s_cbranch_execz .LBB15_1702
; %bb.1701:
	v_and_b32_e32 v1, 0x400000, v7
	v_and_or_b32 v8, 0x3fffff, v7, v8
	v_cmp_ne_u32_e32 vcc_lo, 0, v1
	v_cmp_ne_u32_e64 s0, 0, v8
	v_lshrrev_b32_e32 v1, 23, v7
	s_and_b32 s0, vcc_lo, s0
	v_cndmask_b32_e64 v8, 0, 1, s0
	v_add_nc_u32_e32 v1, v1, v8
.LBB15_1702:
	s_or_b32 exec_lo, exec_lo, s6
	s_mov_b32 s0, 0
	s_mov_b32 s6, -1
	global_store_byte v[5:6], v1, off
.LBB15_1703:
	s_mov_b32 s7, 0
.LBB15_1704:
	s_and_b32 vcc_lo, exec_lo, s7
	s_cbranch_vccz .LBB15_1707
; %bb.1705:
	s_cmp_eq_u32 s4, 29
	s_mov_b32 s0, -1
	s_cbranch_scc0 .LBB15_1707
; %bb.1706:
	v_trunc_f32_e32 v1, v7
	s_mov_b32 s0, 0
	s_mov_b32 s6, -1
	v_mul_f32_e32 v8, 0x2f800000, v1
	v_floor_f32_e32 v8, v8
	v_fmamk_f32 v1, v8, 0xcf800000, v1
	v_cvt_u32_f32_e32 v13, v8
	v_cvt_u32_f32_e32 v12, v1
	global_store_dwordx2 v[5:6], v[12:13], off
.LBB15_1707:
	s_mov_b32 s7, 0
.LBB15_1708:
	s_and_b32 vcc_lo, exec_lo, s7
	s_cbranch_vccz .LBB15_1724
; %bb.1709:
	s_cmp_lt_i32 s4, 27
	s_mov_b32 s6, -1
	s_cbranch_scc1 .LBB15_1715
; %bb.1710:
	v_cvt_u32_f32_e32 v1, v7
	s_cmp_gt_i32 s4, 27
	s_cbranch_scc0 .LBB15_1712
; %bb.1711:
	s_mov_b32 s6, 0
	global_store_dword v[5:6], v1, off
.LBB15_1712:
	s_andn2_b32 vcc_lo, exec_lo, s6
	s_cbranch_vccnz .LBB15_1714
; %bb.1713:
	global_store_short v[5:6], v1, off
.LBB15_1714:
	s_mov_b32 s6, 0
.LBB15_1715:
	s_andn2_b32 vcc_lo, exec_lo, s6
	s_cbranch_vccnz .LBB15_1723
; %bb.1716:
	v_and_b32_e32 v1, 0x7fffffff, v7
	v_mov_b32_e32 v8, 0x80
	s_mov_b32 s6, exec_lo
	v_cmpx_gt_u32_e32 0x43800000, v1
	s_cbranch_execz .LBB15_1722
; %bb.1717:
	v_cmp_lt_u32_e32 vcc_lo, 0x3bffffff, v1
	s_mov_b32 s7, 0
                                        ; implicit-def: $vgpr1
	s_and_saveexec_b32 s10, vcc_lo
	s_xor_b32 s10, exec_lo, s10
	s_cbranch_execz .LBB15_2167
; %bb.1718:
	v_bfe_u32 v1, v7, 20, 1
	s_mov_b32 s7, exec_lo
	v_add3_u32 v1, v7, v1, 0x487ffff
	v_lshrrev_b32_e32 v1, 20, v1
	s_andn2_saveexec_b32 s10, s10
	s_cbranch_execnz .LBB15_2168
.LBB15_1719:
	s_or_b32 exec_lo, exec_lo, s10
	v_mov_b32_e32 v8, 0
	s_and_saveexec_b32 s10, s7
.LBB15_1720:
	v_lshrrev_b32_e32 v8, 24, v7
	v_and_or_b32 v8, 0x80, v8, v1
.LBB15_1721:
	s_or_b32 exec_lo, exec_lo, s10
.LBB15_1722:
	s_or_b32 exec_lo, exec_lo, s6
	global_store_byte v[5:6], v8, off
.LBB15_1723:
	s_mov_b32 s6, -1
.LBB15_1724:
	s_mov_b32 s7, 0
.LBB15_1725:
	s_and_b32 vcc_lo, exec_lo, s7
	s_cbranch_vccz .LBB15_1765
; %bb.1726:
	s_cmp_gt_i32 s4, 22
	s_mov_b32 s5, -1
	s_cbranch_scc0 .LBB15_1758
; %bb.1727:
	s_cmp_lt_i32 s4, 24
	s_cbranch_scc1 .LBB15_1747
; %bb.1728:
	s_cmp_gt_i32 s4, 24
	s_cbranch_scc0 .LBB15_1736
; %bb.1729:
	v_and_b32_e32 v1, 0x7fffffff, v7
	v_mov_b32_e32 v8, 0x80
	s_mov_b32 s5, exec_lo
	v_cmpx_gt_u32_e32 0x47800000, v1
	s_cbranch_execz .LBB15_1735
; %bb.1730:
	v_cmp_lt_u32_e32 vcc_lo, 0x37ffffff, v1
	s_mov_b32 s6, 0
                                        ; implicit-def: $vgpr1
	s_and_saveexec_b32 s7, vcc_lo
	s_xor_b32 s7, exec_lo, s7
	s_cbranch_execz .LBB15_2170
; %bb.1731:
	v_bfe_u32 v1, v7, 21, 1
	s_mov_b32 s6, exec_lo
	v_add3_u32 v1, v7, v1, 0x88fffff
	v_lshrrev_b32_e32 v1, 21, v1
	s_andn2_saveexec_b32 s7, s7
	s_cbranch_execnz .LBB15_2171
.LBB15_1732:
	s_or_b32 exec_lo, exec_lo, s7
	v_mov_b32_e32 v8, 0
	s_and_saveexec_b32 s7, s6
.LBB15_1733:
	v_lshrrev_b32_e32 v8, 24, v7
	v_and_or_b32 v8, 0x80, v8, v1
.LBB15_1734:
	s_or_b32 exec_lo, exec_lo, s7
.LBB15_1735:
	s_or_b32 exec_lo, exec_lo, s5
	s_mov_b32 s5, 0
	global_store_byte v[5:6], v8, off
.LBB15_1736:
	s_and_b32 vcc_lo, exec_lo, s5
	s_cbranch_vccz .LBB15_1746
; %bb.1737:
	v_and_b32_e32 v8, 0x7fffffff, v7
	s_mov_b32 s5, exec_lo
                                        ; implicit-def: $vgpr1
	v_cmpx_gt_u32_e32 0x43f00000, v8
	s_xor_b32 s5, exec_lo, s5
	s_cbranch_execz .LBB15_1743
; %bb.1738:
	s_mov_b32 s6, exec_lo
                                        ; implicit-def: $vgpr1
	v_cmpx_lt_u32_e32 0x3c7fffff, v8
	s_xor_b32 s6, exec_lo, s6
; %bb.1739:
	v_bfe_u32 v1, v7, 20, 1
	v_add3_u32 v1, v7, v1, 0x407ffff
	v_and_b32_e32 v8, 0xff00000, v1
	v_lshrrev_b32_e32 v1, 20, v1
	v_cmp_ne_u32_e32 vcc_lo, 0x7f00000, v8
	v_cndmask_b32_e32 v1, 0x7e, v1, vcc_lo
; %bb.1740:
	s_andn2_saveexec_b32 s6, s6
; %bb.1741:
	v_add_f32_e64 v1, 0x46800000, |v7|
; %bb.1742:
	s_or_b32 exec_lo, exec_lo, s6
                                        ; implicit-def: $vgpr8
.LBB15_1743:
	s_andn2_saveexec_b32 s5, s5
; %bb.1744:
	v_mov_b32_e32 v1, 0x7f
	v_cmp_lt_u32_e32 vcc_lo, 0x7f800000, v8
	v_cndmask_b32_e32 v1, 0x7e, v1, vcc_lo
; %bb.1745:
	s_or_b32 exec_lo, exec_lo, s5
	v_lshrrev_b32_e32 v8, 24, v7
	v_and_or_b32 v1, 0x80, v8, v1
	global_store_byte v[5:6], v1, off
.LBB15_1746:
	s_mov_b32 s5, 0
.LBB15_1747:
	s_andn2_b32 vcc_lo, exec_lo, s5
	s_cbranch_vccnz .LBB15_1757
; %bb.1748:
	v_and_b32_e32 v8, 0x7fffffff, v7
	s_mov_b32 s5, exec_lo
                                        ; implicit-def: $vgpr1
	v_cmpx_gt_u32_e32 0x47800000, v8
	s_xor_b32 s5, exec_lo, s5
	s_cbranch_execz .LBB15_1754
; %bb.1749:
	s_mov_b32 s6, exec_lo
                                        ; implicit-def: $vgpr1
	v_cmpx_lt_u32_e32 0x387fffff, v8
	s_xor_b32 s6, exec_lo, s6
; %bb.1750:
	v_bfe_u32 v1, v7, 21, 1
	v_add3_u32 v1, v7, v1, 0x80fffff
	v_lshrrev_b32_e32 v1, 21, v1
; %bb.1751:
	s_andn2_saveexec_b32 s6, s6
; %bb.1752:
	v_add_f32_e64 v1, 0x43000000, |v7|
; %bb.1753:
	s_or_b32 exec_lo, exec_lo, s6
                                        ; implicit-def: $vgpr8
.LBB15_1754:
	s_andn2_saveexec_b32 s5, s5
; %bb.1755:
	v_mov_b32_e32 v1, 0x7f
	v_cmp_lt_u32_e32 vcc_lo, 0x7f800000, v8
	v_cndmask_b32_e32 v1, 0x7c, v1, vcc_lo
; %bb.1756:
	s_or_b32 exec_lo, exec_lo, s5
	v_lshrrev_b32_e32 v8, 24, v7
	v_and_or_b32 v1, 0x80, v8, v1
	global_store_byte v[5:6], v1, off
.LBB15_1757:
	s_mov_b32 s5, 0
	s_mov_b32 s6, -1
.LBB15_1758:
	s_andn2_b32 vcc_lo, exec_lo, s5
	s_mov_b32 s5, 0
	s_cbranch_vccnz .LBB15_1765
; %bb.1759:
	s_cmp_gt_i32 s4, 14
	s_mov_b32 s5, -1
	s_cbranch_scc0 .LBB15_1763
; %bb.1760:
	s_cmp_eq_u32 s4, 15
	s_mov_b32 s0, -1
	s_cbranch_scc0 .LBB15_1762
; %bb.1761:
	v_bfe_u32 v1, v7, 16, 1
	v_cmp_o_f32_e32 vcc_lo, v7, v7
	v_mov_b32_e32 v8, 0x7fc0
	s_mov_b32 s0, 0
	s_mov_b32 s6, -1
	v_add3_u32 v1, v7, v1, 0x7fff
	v_cndmask_b32_sdwa v1, v8, v1, vcc_lo dst_sel:DWORD dst_unused:UNUSED_PAD src0_sel:DWORD src1_sel:WORD_1
	global_store_short v[5:6], v1, off
.LBB15_1762:
	s_mov_b32 s5, 0
.LBB15_1763:
	s_and_b32 vcc_lo, exec_lo, s5
	s_mov_b32 s5, 0
	s_cbranch_vccz .LBB15_1765
; %bb.1764:
	s_cmp_lg_u32 s4, 11
	s_mov_b32 s5, -1
	s_cselect_b32 s0, -1, 0
.LBB15_1765:
	s_and_b32 vcc_lo, exec_lo, s0
	s_cbranch_vccnz .LBB15_2169
; %bb.1766:
	s_andn2_b32 vcc_lo, exec_lo, s5
	s_cbranch_vccnz .LBB15_1768
.LBB15_1767:
	v_cmp_neq_f32_e32 vcc_lo, 0, v7
	s_mov_b32 s6, -1
	v_cndmask_b32_e64 v1, 0, 1, vcc_lo
	global_store_byte v[5:6], v1, off
.LBB15_1768:
.LBB15_1769:
	s_andn2_b32 vcc_lo, exec_lo, s6
	s_cbranch_vccz .LBB15_1809
	s_branch .LBB15_2121
.LBB15_1770:
	s_and_b32 vcc_lo, exec_lo, s0
	s_cbranch_vccz .LBB15_1769
; %bb.1771:
	s_and_b32 s0, 0xffff, s1
	s_mov_b32 s1, -1
	s_cmp_lt_i32 s0, 5
	s_cbranch_scc1 .LBB15_1792
; %bb.1772:
	s_cmp_lt_i32 s0, 8
	s_cbranch_scc1 .LBB15_1782
; %bb.1773:
	;; [unrolled: 3-line block ×3, first 2 shown]
	s_cmp_gt_i32 s0, 9
	s_cbranch_scc0 .LBB15_1776
; %bb.1775:
	v_cvt_f64_f32_e32 v[22:23], v7
	v_mov_b32_e32 v24, 0
	s_mov_b32 s1, 0
	v_mov_b32_e32 v25, v24
	global_store_dwordx4 v[5:6], v[22:25], off
.LBB15_1776:
	s_andn2_b32 vcc_lo, exec_lo, s1
	s_cbranch_vccnz .LBB15_1778
; %bb.1777:
	v_mov_b32_e32 v8, 0
	global_store_dwordx2 v[5:6], v[7:8], off
.LBB15_1778:
	s_mov_b32 s1, 0
.LBB15_1779:
	s_andn2_b32 vcc_lo, exec_lo, s1
	s_cbranch_vccnz .LBB15_1781
; %bb.1780:
	v_cvt_f16_f32_e32 v1, v7
	v_and_b32_e32 v1, 0xffff, v1
	global_store_dword v[5:6], v1, off
.LBB15_1781:
	s_mov_b32 s1, 0
.LBB15_1782:
	s_andn2_b32 vcc_lo, exec_lo, s1
	s_cbranch_vccnz .LBB15_1791
; %bb.1783:
	s_cmp_lt_i32 s0, 6
	s_mov_b32 s1, -1
	s_cbranch_scc1 .LBB15_1789
; %bb.1784:
	s_cmp_gt_i32 s0, 6
	s_cbranch_scc0 .LBB15_1786
; %bb.1785:
	v_cvt_f64_f32_e32 v[12:13], v7
	s_mov_b32 s1, 0
	global_store_dwordx2 v[5:6], v[12:13], off
.LBB15_1786:
	s_andn2_b32 vcc_lo, exec_lo, s1
	s_cbranch_vccnz .LBB15_1788
; %bb.1787:
	global_store_dword v[5:6], v7, off
.LBB15_1788:
	s_mov_b32 s1, 0
.LBB15_1789:
	s_andn2_b32 vcc_lo, exec_lo, s1
	s_cbranch_vccnz .LBB15_1791
; %bb.1790:
	v_cvt_f16_f32_e32 v1, v7
	global_store_short v[5:6], v1, off
.LBB15_1791:
	s_mov_b32 s1, 0
.LBB15_1792:
	s_andn2_b32 vcc_lo, exec_lo, s1
	s_cbranch_vccnz .LBB15_1808
; %bb.1793:
	s_cmp_lt_i32 s0, 2
	s_mov_b32 s1, -1
	s_cbranch_scc1 .LBB15_1803
; %bb.1794:
	s_cmp_lt_i32 s0, 3
	s_cbranch_scc1 .LBB15_1800
; %bb.1795:
	s_cmp_gt_i32 s0, 3
	s_cbranch_scc0 .LBB15_1797
; %bb.1796:
	v_trunc_f32_e32 v1, v7
	s_mov_b32 s1, 0
	v_mul_f32_e64 v8, 0x2f800000, |v1|
	v_floor_f32_e32 v8, v8
	v_fma_f32 v12, 0xcf800000, v8, |v1|
	v_ashrrev_i32_e32 v1, 31, v1
	v_cvt_u32_f32_e32 v8, v8
	v_cvt_u32_f32_e32 v12, v12
	v_xor_b32_e32 v8, v8, v1
	v_xor_b32_e32 v12, v12, v1
	v_sub_co_u32 v12, vcc_lo, v12, v1
	v_sub_co_ci_u32_e64 v13, null, v8, v1, vcc_lo
	global_store_dwordx2 v[5:6], v[12:13], off
.LBB15_1797:
	s_andn2_b32 vcc_lo, exec_lo, s1
	s_cbranch_vccnz .LBB15_1799
; %bb.1798:
	v_cvt_i32_f32_e32 v1, v7
	global_store_dword v[5:6], v1, off
.LBB15_1799:
	s_mov_b32 s1, 0
.LBB15_1800:
	s_andn2_b32 vcc_lo, exec_lo, s1
	s_cbranch_vccnz .LBB15_1802
; %bb.1801:
	v_cvt_i32_f32_e32 v1, v7
	global_store_short v[5:6], v1, off
.LBB15_1802:
	s_mov_b32 s1, 0
.LBB15_1803:
	s_andn2_b32 vcc_lo, exec_lo, s1
	s_cbranch_vccnz .LBB15_1808
; %bb.1804:
	s_cmp_gt_i32 s0, 0
	s_mov_b32 s0, -1
	s_cbranch_scc0 .LBB15_1806
; %bb.1805:
	v_cvt_i32_f32_e32 v1, v7
	s_mov_b32 s0, 0
	global_store_byte v[5:6], v1, off
.LBB15_1806:
	s_andn2_b32 vcc_lo, exec_lo, s0
	s_cbranch_vccnz .LBB15_1808
; %bb.1807:
	v_trunc_f32_e32 v1, v7
	v_mul_f32_e64 v7, 0x2f800000, |v1|
	v_floor_f32_e32 v7, v7
	v_fma_f32 v7, 0xcf800000, v7, |v1|
	v_ashrrev_i32_e32 v1, 31, v1
	v_cvt_u32_f32_e32 v7, v7
	v_xor_b32_e32 v7, v7, v1
	v_sub_nc_u32_e32 v1, v7, v1
	global_store_byte v[5:6], v1, off
.LBB15_1808:
.LBB15_1809:
	v_mul_f32_e32 v1, v14, v14
	s_mov_b32 s0, 0xb94c1982
	s_mov_b32 s1, 0x37d75334
	v_and_b32_e32 v7, 1, v15
	v_lshlrev_b32_e32 v8, 30, v15
	v_fmaak_f32 v5, s0, v1, 0x3c0881c4
	v_fmaak_f32 v6, s1, v1, 0xbab64f3b
	s_lshr_b32 s0, s3, 8
	v_cmp_eq_u32_e32 vcc_lo, 0, v7
	s_and_b32 s1, s0, 0xff
	v_fmaak_f32 v5, v1, v5, 0xbe2aaa9d
	v_fmaak_f32 v6, v1, v6, 0x3d2aabf7
	s_mov_b32 s5, 0
	s_cmp_lt_i32 s1, 11
	v_mul_f32_e32 v5, v1, v5
	v_fmaak_f32 v6, v1, v6, 0xbf000004
	v_fmac_f32_e32 v14, v14, v5
	v_fma_f32 v1, v1, v6, 1.0
	v_xor_b32_e32 v5, v11, v3
	v_and_b32_e32 v6, 0x80000000, v8
	v_cndmask_b32_e32 v1, v1, v14, vcc_lo
	v_cmp_class_f32_e64 vcc_lo, v3, 0x1f8
	v_add_co_u32 v3, s0, s8, v4
	v_add_co_ci_u32_e64 v4, null, s9, 0, s0
	v_xor3_b32 v1, v5, v6, v1
	s_mov_b32 s0, -1
	v_cndmask_b32_e32 v5, 0x7fc00000, v1, vcc_lo
	s_cbranch_scc1 .LBB15_1888
; %bb.1810:
	s_and_b32 s3, 0xffff, s1
	s_mov_b32 s6, -1
	s_mov_b32 s4, 0
	s_cmp_gt_i32 s3, 25
	s_mov_b32 s0, 0
	s_cbranch_scc0 .LBB15_1843
; %bb.1811:
	s_cmp_gt_i32 s3, 28
	s_cbranch_scc0 .LBB15_1826
; %bb.1812:
	s_cmp_gt_i32 s3, 43
	;; [unrolled: 3-line block ×3, first 2 shown]
	s_cbranch_scc0 .LBB15_1816
; %bb.1814:
	s_mov_b32 s0, -1
	s_mov_b32 s6, 0
	s_cmp_eq_u32 s3, 46
	s_cbranch_scc0 .LBB15_1816
; %bb.1815:
	v_bfe_u32 v1, v5, 16, 1
	v_cmp_o_f32_e32 vcc_lo, v5, v5
	v_mov_b32_e32 v6, 0x7fc0
	s_mov_b32 s0, 0
	s_mov_b32 s5, -1
	v_add3_u32 v1, v5, v1, 0x7fff
	v_cndmask_b32_sdwa v1, v6, v1, vcc_lo dst_sel:DWORD dst_unused:UNUSED_PAD src0_sel:DWORD src1_sel:WORD_1
	global_store_dword v[3:4], v1, off
.LBB15_1816:
	s_and_b32 vcc_lo, exec_lo, s6
	s_cbranch_vccz .LBB15_1821
; %bb.1817:
	s_cmp_eq_u32 s3, 44
	s_mov_b32 s0, -1
	s_cbranch_scc0 .LBB15_1821
; %bb.1818:
	v_bfe_u32 v6, v5, 23, 8
	v_mov_b32_e32 v1, 0xff
	s_mov_b32 s5, exec_lo
	v_cmpx_ne_u32_e32 0xff, v6
	s_cbranch_execz .LBB15_1820
; %bb.1819:
	v_and_b32_e32 v1, 0x400000, v5
	v_and_or_b32 v6, 0x3fffff, v5, v6
	v_cmp_ne_u32_e32 vcc_lo, 0, v1
	v_cmp_ne_u32_e64 s0, 0, v6
	v_lshrrev_b32_e32 v1, 23, v5
	s_and_b32 s0, vcc_lo, s0
	v_cndmask_b32_e64 v6, 0, 1, s0
	v_add_nc_u32_e32 v1, v1, v6
.LBB15_1820:
	s_or_b32 exec_lo, exec_lo, s5
	s_mov_b32 s0, 0
	s_mov_b32 s5, -1
	global_store_byte v[3:4], v1, off
.LBB15_1821:
	s_mov_b32 s6, 0
.LBB15_1822:
	s_and_b32 vcc_lo, exec_lo, s6
	s_cbranch_vccz .LBB15_1825
; %bb.1823:
	s_cmp_eq_u32 s3, 29
	s_mov_b32 s0, -1
	s_cbranch_scc0 .LBB15_1825
; %bb.1824:
	v_trunc_f32_e32 v1, v5
	s_mov_b32 s0, 0
	s_mov_b32 s5, -1
	v_mul_f32_e32 v6, 0x2f800000, v1
	v_floor_f32_e32 v6, v6
	v_fmamk_f32 v1, v6, 0xcf800000, v1
	v_cvt_u32_f32_e32 v7, v6
	v_cvt_u32_f32_e32 v6, v1
	global_store_dwordx2 v[3:4], v[6:7], off
.LBB15_1825:
	s_mov_b32 s6, 0
.LBB15_1826:
	s_and_b32 vcc_lo, exec_lo, s6
	s_cbranch_vccz .LBB15_1842
; %bb.1827:
	s_cmp_lt_i32 s3, 27
	s_mov_b32 s5, -1
	s_cbranch_scc1 .LBB15_1833
; %bb.1828:
	s_cmp_gt_i32 s3, 27
	s_cbranch_scc0 .LBB15_1830
; %bb.1829:
	v_cvt_u32_f32_e32 v1, v5
	s_mov_b32 s5, 0
	global_store_dword v[3:4], v1, off
.LBB15_1830:
	s_andn2_b32 vcc_lo, exec_lo, s5
	s_cbranch_vccnz .LBB15_1832
; %bb.1831:
	v_cvt_u32_f32_e32 v1, v5
	global_store_short v[3:4], v1, off
.LBB15_1832:
	s_mov_b32 s5, 0
.LBB15_1833:
	s_andn2_b32 vcc_lo, exec_lo, s5
	s_cbranch_vccnz .LBB15_1841
; %bb.1834:
	v_and_b32_e32 v1, 0x7fffffff, v5
	v_mov_b32_e32 v6, 0x80
	s_mov_b32 s5, exec_lo
	v_cmpx_gt_u32_e32 0x43800000, v1
	s_cbranch_execz .LBB15_1840
; %bb.1835:
	v_cmp_lt_u32_e32 vcc_lo, 0x3bffffff, v1
	s_mov_b32 s6, 0
                                        ; implicit-def: $vgpr1
	s_and_saveexec_b32 s7, vcc_lo
	s_xor_b32 s7, exec_lo, s7
	s_cbranch_execz .LBB15_2172
; %bb.1836:
	v_bfe_u32 v1, v5, 20, 1
	s_mov_b32 s6, exec_lo
	v_add3_u32 v1, v5, v1, 0x487ffff
	v_lshrrev_b32_e32 v1, 20, v1
	s_andn2_saveexec_b32 s7, s7
	s_cbranch_execnz .LBB15_2173
.LBB15_1837:
	s_or_b32 exec_lo, exec_lo, s7
	v_mov_b32_e32 v6, 0
	s_and_saveexec_b32 s7, s6
.LBB15_1838:
	v_lshrrev_b32_e32 v6, 24, v5
	v_and_or_b32 v6, 0x80, v6, v1
.LBB15_1839:
	s_or_b32 exec_lo, exec_lo, s7
.LBB15_1840:
	s_or_b32 exec_lo, exec_lo, s5
	global_store_byte v[3:4], v6, off
.LBB15_1841:
	s_mov_b32 s5, -1
.LBB15_1842:
	s_mov_b32 s6, 0
.LBB15_1843:
	s_and_b32 vcc_lo, exec_lo, s6
	s_cbranch_vccz .LBB15_1883
; %bb.1844:
	s_cmp_gt_i32 s3, 22
	s_mov_b32 s4, -1
	s_cbranch_scc0 .LBB15_1876
; %bb.1845:
	s_cmp_lt_i32 s3, 24
	s_cbranch_scc1 .LBB15_1865
; %bb.1846:
	s_cmp_gt_i32 s3, 24
	s_cbranch_scc0 .LBB15_1854
; %bb.1847:
	v_and_b32_e32 v1, 0x7fffffff, v5
	v_mov_b32_e32 v6, 0x80
	s_mov_b32 s4, exec_lo
	v_cmpx_gt_u32_e32 0x47800000, v1
	s_cbranch_execz .LBB15_1853
; %bb.1848:
	v_cmp_lt_u32_e32 vcc_lo, 0x37ffffff, v1
	s_mov_b32 s5, 0
                                        ; implicit-def: $vgpr1
	s_and_saveexec_b32 s6, vcc_lo
	s_xor_b32 s6, exec_lo, s6
	s_cbranch_execz .LBB15_2175
; %bb.1849:
	v_bfe_u32 v1, v5, 21, 1
	s_mov_b32 s5, exec_lo
	v_add3_u32 v1, v5, v1, 0x88fffff
	v_lshrrev_b32_e32 v1, 21, v1
	s_andn2_saveexec_b32 s6, s6
	s_cbranch_execnz .LBB15_2176
.LBB15_1850:
	s_or_b32 exec_lo, exec_lo, s6
	v_mov_b32_e32 v6, 0
	s_and_saveexec_b32 s6, s5
.LBB15_1851:
	v_lshrrev_b32_e32 v6, 24, v5
	v_and_or_b32 v6, 0x80, v6, v1
.LBB15_1852:
	s_or_b32 exec_lo, exec_lo, s6
.LBB15_1853:
	s_or_b32 exec_lo, exec_lo, s4
	s_mov_b32 s4, 0
	global_store_byte v[3:4], v6, off
.LBB15_1854:
	s_and_b32 vcc_lo, exec_lo, s4
	s_cbranch_vccz .LBB15_1864
; %bb.1855:
	v_and_b32_e32 v6, 0x7fffffff, v5
	s_mov_b32 s4, exec_lo
                                        ; implicit-def: $vgpr1
	v_cmpx_gt_u32_e32 0x43f00000, v6
	s_xor_b32 s4, exec_lo, s4
	s_cbranch_execz .LBB15_1861
; %bb.1856:
	s_mov_b32 s5, exec_lo
                                        ; implicit-def: $vgpr1
	v_cmpx_lt_u32_e32 0x3c7fffff, v6
	s_xor_b32 s5, exec_lo, s5
; %bb.1857:
	v_bfe_u32 v1, v5, 20, 1
	v_add3_u32 v1, v5, v1, 0x407ffff
	v_and_b32_e32 v6, 0xff00000, v1
	v_lshrrev_b32_e32 v1, 20, v1
	v_cmp_ne_u32_e32 vcc_lo, 0x7f00000, v6
	v_cndmask_b32_e32 v1, 0x7e, v1, vcc_lo
; %bb.1858:
	s_andn2_saveexec_b32 s5, s5
; %bb.1859:
	v_add_f32_e64 v1, 0x46800000, |v5|
; %bb.1860:
	s_or_b32 exec_lo, exec_lo, s5
                                        ; implicit-def: $vgpr6
.LBB15_1861:
	s_andn2_saveexec_b32 s4, s4
; %bb.1862:
	v_mov_b32_e32 v1, 0x7f
	v_cmp_lt_u32_e32 vcc_lo, 0x7f800000, v6
	v_cndmask_b32_e32 v1, 0x7e, v1, vcc_lo
; %bb.1863:
	s_or_b32 exec_lo, exec_lo, s4
	v_lshrrev_b32_e32 v6, 24, v5
	v_and_or_b32 v1, 0x80, v6, v1
	global_store_byte v[3:4], v1, off
.LBB15_1864:
	s_mov_b32 s4, 0
.LBB15_1865:
	s_andn2_b32 vcc_lo, exec_lo, s4
	s_cbranch_vccnz .LBB15_1875
; %bb.1866:
	v_and_b32_e32 v6, 0x7fffffff, v5
	s_mov_b32 s4, exec_lo
                                        ; implicit-def: $vgpr1
	v_cmpx_gt_u32_e32 0x47800000, v6
	s_xor_b32 s4, exec_lo, s4
	s_cbranch_execz .LBB15_1872
; %bb.1867:
	s_mov_b32 s5, exec_lo
                                        ; implicit-def: $vgpr1
	v_cmpx_lt_u32_e32 0x387fffff, v6
	s_xor_b32 s5, exec_lo, s5
; %bb.1868:
	v_bfe_u32 v1, v5, 21, 1
	v_add3_u32 v1, v5, v1, 0x80fffff
	v_lshrrev_b32_e32 v1, 21, v1
; %bb.1869:
	s_andn2_saveexec_b32 s5, s5
; %bb.1870:
	v_add_f32_e64 v1, 0x43000000, |v5|
; %bb.1871:
	s_or_b32 exec_lo, exec_lo, s5
                                        ; implicit-def: $vgpr6
.LBB15_1872:
	s_andn2_saveexec_b32 s4, s4
; %bb.1873:
	v_mov_b32_e32 v1, 0x7f
	v_cmp_lt_u32_e32 vcc_lo, 0x7f800000, v6
	v_cndmask_b32_e32 v1, 0x7c, v1, vcc_lo
; %bb.1874:
	s_or_b32 exec_lo, exec_lo, s4
	v_lshrrev_b32_e32 v6, 24, v5
	v_and_or_b32 v1, 0x80, v6, v1
	global_store_byte v[3:4], v1, off
.LBB15_1875:
	s_mov_b32 s4, 0
	s_mov_b32 s5, -1
.LBB15_1876:
	s_andn2_b32 vcc_lo, exec_lo, s4
	s_mov_b32 s4, 0
	s_cbranch_vccnz .LBB15_1883
; %bb.1877:
	s_cmp_gt_i32 s3, 14
	s_mov_b32 s4, -1
	s_cbranch_scc0 .LBB15_1881
; %bb.1878:
	s_cmp_eq_u32 s3, 15
	s_mov_b32 s0, -1
	s_cbranch_scc0 .LBB15_1880
; %bb.1879:
	v_bfe_u32 v1, v5, 16, 1
	v_cmp_o_f32_e32 vcc_lo, v5, v5
	v_mov_b32_e32 v6, 0x7fc0
	s_mov_b32 s0, 0
	s_mov_b32 s5, -1
	v_add3_u32 v1, v5, v1, 0x7fff
	v_cndmask_b32_sdwa v1, v6, v1, vcc_lo dst_sel:DWORD dst_unused:UNUSED_PAD src0_sel:DWORD src1_sel:WORD_1
	global_store_short v[3:4], v1, off
.LBB15_1880:
	s_mov_b32 s4, 0
.LBB15_1881:
	s_and_b32 vcc_lo, exec_lo, s4
	s_mov_b32 s4, 0
	s_cbranch_vccz .LBB15_1883
; %bb.1882:
	s_cmp_lg_u32 s3, 11
	s_mov_b32 s4, -1
	s_cselect_b32 s0, -1, 0
.LBB15_1883:
	s_and_b32 vcc_lo, exec_lo, s0
	s_cbranch_vccnz .LBB15_2174
; %bb.1884:
	s_andn2_b32 vcc_lo, exec_lo, s4
	s_cbranch_vccnz .LBB15_1886
.LBB15_1885:
	v_cmp_neq_f32_e32 vcc_lo, 0, v5
	s_mov_b32 s5, -1
	v_cndmask_b32_e64 v1, 0, 1, vcc_lo
	global_store_byte v[3:4], v1, off
.LBB15_1886:
.LBB15_1887:
	s_andn2_b32 vcc_lo, exec_lo, s5
	s_cbranch_vccz .LBB15_1927
	s_branch .LBB15_2121
.LBB15_1888:
	s_and_b32 vcc_lo, exec_lo, s0
	s_cbranch_vccz .LBB15_1887
; %bb.1889:
	s_and_b32 s0, 0xffff, s1
	s_mov_b32 s3, -1
	s_cmp_lt_i32 s0, 5
	s_cbranch_scc1 .LBB15_1910
; %bb.1890:
	s_cmp_lt_i32 s0, 8
	s_cbranch_scc1 .LBB15_1900
; %bb.1891:
	;; [unrolled: 3-line block ×3, first 2 shown]
	s_cmp_gt_i32 s0, 9
	s_cbranch_scc0 .LBB15_1894
; %bb.1893:
	v_cvt_f64_f32_e32 v[11:12], v5
	v_mov_b32_e32 v13, 0
	s_mov_b32 s3, 0
	v_mov_b32_e32 v14, v13
	global_store_dwordx4 v[3:4], v[11:14], off
.LBB15_1894:
	s_andn2_b32 vcc_lo, exec_lo, s3
	s_cbranch_vccnz .LBB15_1896
; %bb.1895:
	v_mov_b32_e32 v6, 0
	global_store_dwordx2 v[3:4], v[5:6], off
.LBB15_1896:
	s_mov_b32 s3, 0
.LBB15_1897:
	s_andn2_b32 vcc_lo, exec_lo, s3
	s_cbranch_vccnz .LBB15_1899
; %bb.1898:
	v_cvt_f16_f32_e32 v1, v5
	v_and_b32_e32 v1, 0xffff, v1
	global_store_dword v[3:4], v1, off
.LBB15_1899:
	s_mov_b32 s3, 0
.LBB15_1900:
	s_andn2_b32 vcc_lo, exec_lo, s3
	s_cbranch_vccnz .LBB15_1909
; %bb.1901:
	s_cmp_lt_i32 s0, 6
	s_mov_b32 s3, -1
	s_cbranch_scc1 .LBB15_1907
; %bb.1902:
	s_cmp_gt_i32 s0, 6
	s_cbranch_scc0 .LBB15_1904
; %bb.1903:
	v_cvt_f64_f32_e32 v[6:7], v5
	s_mov_b32 s3, 0
	global_store_dwordx2 v[3:4], v[6:7], off
.LBB15_1904:
	s_andn2_b32 vcc_lo, exec_lo, s3
	s_cbranch_vccnz .LBB15_1906
; %bb.1905:
	global_store_dword v[3:4], v5, off
.LBB15_1906:
	s_mov_b32 s3, 0
.LBB15_1907:
	s_andn2_b32 vcc_lo, exec_lo, s3
	s_cbranch_vccnz .LBB15_1909
; %bb.1908:
	v_cvt_f16_f32_e32 v1, v5
	global_store_short v[3:4], v1, off
.LBB15_1909:
	s_mov_b32 s3, 0
.LBB15_1910:
	s_andn2_b32 vcc_lo, exec_lo, s3
	s_cbranch_vccnz .LBB15_1926
; %bb.1911:
	s_cmp_lt_i32 s0, 2
	s_mov_b32 s3, -1
	s_cbranch_scc1 .LBB15_1921
; %bb.1912:
	s_cmp_lt_i32 s0, 3
	s_cbranch_scc1 .LBB15_1918
; %bb.1913:
	s_cmp_gt_i32 s0, 3
	s_cbranch_scc0 .LBB15_1915
; %bb.1914:
	v_trunc_f32_e32 v1, v5
	s_mov_b32 s3, 0
	v_mul_f32_e64 v6, 0x2f800000, |v1|
	v_floor_f32_e32 v6, v6
	v_fma_f32 v7, 0xcf800000, v6, |v1|
	v_ashrrev_i32_e32 v1, 31, v1
	v_cvt_u32_f32_e32 v6, v6
	v_cvt_u32_f32_e32 v7, v7
	v_xor_b32_e32 v8, v6, v1
	v_xor_b32_e32 v7, v7, v1
	v_sub_co_u32 v6, vcc_lo, v7, v1
	v_sub_co_ci_u32_e64 v7, null, v8, v1, vcc_lo
	global_store_dwordx2 v[3:4], v[6:7], off
.LBB15_1915:
	s_andn2_b32 vcc_lo, exec_lo, s3
	s_cbranch_vccnz .LBB15_1917
; %bb.1916:
	v_cvt_i32_f32_e32 v1, v5
	global_store_dword v[3:4], v1, off
.LBB15_1917:
	s_mov_b32 s3, 0
.LBB15_1918:
	s_andn2_b32 vcc_lo, exec_lo, s3
	s_cbranch_vccnz .LBB15_1920
; %bb.1919:
	v_cvt_i32_f32_e32 v1, v5
	global_store_short v[3:4], v1, off
.LBB15_1920:
	s_mov_b32 s3, 0
.LBB15_1921:
	s_andn2_b32 vcc_lo, exec_lo, s3
	s_cbranch_vccnz .LBB15_1926
; %bb.1922:
	s_cmp_gt_i32 s0, 0
	s_mov_b32 s0, -1
	s_cbranch_scc0 .LBB15_1924
; %bb.1923:
	v_cvt_i32_f32_e32 v1, v5
	s_mov_b32 s0, 0
	global_store_byte v[3:4], v1, off
.LBB15_1924:
	s_andn2_b32 vcc_lo, exec_lo, s0
	s_cbranch_vccnz .LBB15_1926
; %bb.1925:
	v_trunc_f32_e32 v1, v5
	v_mul_f32_e64 v5, 0x2f800000, |v1|
	v_floor_f32_e32 v5, v5
	v_fma_f32 v5, 0xcf800000, v5, |v1|
	v_ashrrev_i32_e32 v1, 31, v1
	v_cvt_u32_f32_e32 v5, v5
	v_xor_b32_e32 v5, v5, v1
	v_sub_nc_u32_e32 v1, v5, v1
	global_store_byte v[3:4], v1, off
.LBB15_1926:
.LBB15_1927:
	v_mul_f32_e32 v1, v17, v17
	s_mov_b32 s0, 0xb94c1982
	s_mov_b32 s3, 0x37d75334
	v_and_b32_e32 v5, 1, v18
	v_lshlrev_b32_e32 v6, 30, v18
	v_fmaak_f32 v3, s0, v1, 0x3c0881c4
	v_fmaak_f32 v4, s3, v1, 0xbab64f3b
	s_mov_b32 s5, 0
	v_cmp_eq_u32_e32 vcc_lo, 0, v5
	s_cmp_lt_i32 s1, 11
	v_fmaak_f32 v3, v1, v3, 0xbe2aaa9d
	v_fmaak_f32 v4, v1, v4, 0x3d2aabf7
	v_mul_f32_e32 v3, v1, v3
	v_fmaak_f32 v4, v1, v4, 0xbf000004
	v_fmac_f32_e32 v17, v17, v3
	v_fma_f32 v1, v1, v4, 1.0
	v_xor_b32_e32 v3, v16, v10
	v_and_b32_e32 v4, 0x80000000, v6
	v_cndmask_b32_e32 v1, v1, v17, vcc_lo
	v_cmp_class_f32_e64 vcc_lo, v10, 0x1f8
	v_xor3_b32 v1, v3, v4, v1
	v_cndmask_b32_e32 v3, 0x7fc00000, v1, vcc_lo
	v_add_co_u32 v1, s0, s8, v2
	v_add_co_ci_u32_e64 v2, null, s9, 0, s0
	s_mov_b32 s0, -1
	s_cbranch_scc1 .LBB15_2082
; %bb.1928:
	s_and_b32 s3, 0xffff, s1
	s_mov_b32 s6, -1
	s_mov_b32 s4, 0
	s_cmp_gt_i32 s3, 25
	s_mov_b32 s0, 0
	s_cbranch_scc0 .LBB15_1961
; %bb.1929:
	s_cmp_gt_i32 s3, 28
	s_cbranch_scc0 .LBB15_1944
; %bb.1930:
	s_cmp_gt_i32 s3, 43
	;; [unrolled: 3-line block ×3, first 2 shown]
	s_cbranch_scc0 .LBB15_1934
; %bb.1932:
	s_mov_b32 s0, -1
	s_mov_b32 s6, 0
	s_cmp_eq_u32 s3, 46
	s_cbranch_scc0 .LBB15_1934
; %bb.1933:
	v_bfe_u32 v4, v3, 16, 1
	v_cmp_o_f32_e32 vcc_lo, v3, v3
	v_mov_b32_e32 v5, 0x7fc0
	s_mov_b32 s0, 0
	s_mov_b32 s5, -1
	v_add3_u32 v4, v3, v4, 0x7fff
	v_cndmask_b32_sdwa v4, v5, v4, vcc_lo dst_sel:DWORD dst_unused:UNUSED_PAD src0_sel:DWORD src1_sel:WORD_1
	global_store_dword v[1:2], v4, off
.LBB15_1934:
	s_and_b32 vcc_lo, exec_lo, s6
	s_cbranch_vccz .LBB15_1939
; %bb.1935:
	s_cmp_eq_u32 s3, 44
	s_mov_b32 s0, -1
	s_cbranch_scc0 .LBB15_1939
; %bb.1936:
	v_bfe_u32 v5, v3, 23, 8
	v_mov_b32_e32 v4, 0xff
	s_mov_b32 s5, exec_lo
	v_cmpx_ne_u32_e32 0xff, v5
	s_cbranch_execz .LBB15_1938
; %bb.1937:
	v_and_b32_e32 v4, 0x400000, v3
	v_and_or_b32 v5, 0x3fffff, v3, v5
	v_cmp_ne_u32_e32 vcc_lo, 0, v4
	v_cmp_ne_u32_e64 s0, 0, v5
	v_lshrrev_b32_e32 v4, 23, v3
	s_and_b32 s0, vcc_lo, s0
	v_cndmask_b32_e64 v5, 0, 1, s0
	v_add_nc_u32_e32 v4, v4, v5
.LBB15_1938:
	s_or_b32 exec_lo, exec_lo, s5
	s_mov_b32 s0, 0
	s_mov_b32 s5, -1
	global_store_byte v[1:2], v4, off
.LBB15_1939:
	s_mov_b32 s6, 0
.LBB15_1940:
	s_and_b32 vcc_lo, exec_lo, s6
	s_cbranch_vccz .LBB15_1943
; %bb.1941:
	s_cmp_eq_u32 s3, 29
	s_mov_b32 s0, -1
	s_cbranch_scc0 .LBB15_1943
; %bb.1942:
	v_trunc_f32_e32 v4, v3
	s_mov_b32 s0, 0
	s_mov_b32 s5, -1
	v_mul_f32_e32 v5, 0x2f800000, v4
	v_floor_f32_e32 v5, v5
	v_fmamk_f32 v4, v5, 0xcf800000, v4
	v_cvt_u32_f32_e32 v5, v5
	v_cvt_u32_f32_e32 v4, v4
	global_store_dwordx2 v[1:2], v[4:5], off
.LBB15_1943:
	s_mov_b32 s6, 0
.LBB15_1944:
	s_and_b32 vcc_lo, exec_lo, s6
	s_cbranch_vccz .LBB15_1960
; %bb.1945:
	s_cmp_lt_i32 s3, 27
	s_mov_b32 s5, -1
	s_cbranch_scc1 .LBB15_1951
; %bb.1946:
	v_cvt_u32_f32_e32 v4, v3
	s_cmp_gt_i32 s3, 27
	s_cbranch_scc0 .LBB15_1948
; %bb.1947:
	s_mov_b32 s5, 0
	global_store_dword v[1:2], v4, off
.LBB15_1948:
	s_andn2_b32 vcc_lo, exec_lo, s5
	s_cbranch_vccnz .LBB15_1950
; %bb.1949:
	global_store_short v[1:2], v4, off
.LBB15_1950:
	s_mov_b32 s5, 0
.LBB15_1951:
	s_andn2_b32 vcc_lo, exec_lo, s5
	s_cbranch_vccnz .LBB15_1959
; %bb.1952:
	v_and_b32_e32 v4, 0x7fffffff, v3
	v_mov_b32_e32 v5, 0x80
	s_mov_b32 s5, exec_lo
	v_cmpx_gt_u32_e32 0x43800000, v4
	s_cbranch_execz .LBB15_1958
; %bb.1953:
	v_cmp_lt_u32_e32 vcc_lo, 0x3bffffff, v4
	s_mov_b32 s6, 0
                                        ; implicit-def: $vgpr4
	s_and_saveexec_b32 s7, vcc_lo
	s_xor_b32 s7, exec_lo, s7
	s_cbranch_execz .LBB15_2177
; %bb.1954:
	v_bfe_u32 v4, v3, 20, 1
	s_mov_b32 s6, exec_lo
	v_add3_u32 v4, v3, v4, 0x487ffff
	v_lshrrev_b32_e32 v4, 20, v4
	s_andn2_saveexec_b32 s7, s7
	s_cbranch_execnz .LBB15_2178
.LBB15_1955:
	s_or_b32 exec_lo, exec_lo, s7
	v_mov_b32_e32 v5, 0
	s_and_saveexec_b32 s7, s6
.LBB15_1956:
	v_lshrrev_b32_e32 v5, 24, v3
	v_and_or_b32 v5, 0x80, v5, v4
.LBB15_1957:
	s_or_b32 exec_lo, exec_lo, s7
.LBB15_1958:
	s_or_b32 exec_lo, exec_lo, s5
	global_store_byte v[1:2], v5, off
.LBB15_1959:
	s_mov_b32 s5, -1
.LBB15_1960:
	s_mov_b32 s6, 0
.LBB15_1961:
	s_and_b32 vcc_lo, exec_lo, s6
	s_cbranch_vccz .LBB15_2001
; %bb.1962:
	s_cmp_gt_i32 s3, 22
	s_mov_b32 s4, -1
	s_cbranch_scc0 .LBB15_1994
; %bb.1963:
	s_cmp_lt_i32 s3, 24
	s_cbranch_scc1 .LBB15_1983
; %bb.1964:
	s_cmp_gt_i32 s3, 24
	s_cbranch_scc0 .LBB15_1972
; %bb.1965:
	v_and_b32_e32 v4, 0x7fffffff, v3
	v_mov_b32_e32 v5, 0x80
	s_mov_b32 s4, exec_lo
	v_cmpx_gt_u32_e32 0x47800000, v4
	s_cbranch_execz .LBB15_1971
; %bb.1966:
	v_cmp_lt_u32_e32 vcc_lo, 0x37ffffff, v4
	s_mov_b32 s5, 0
                                        ; implicit-def: $vgpr4
	s_and_saveexec_b32 s6, vcc_lo
	s_xor_b32 s6, exec_lo, s6
	s_cbranch_execz .LBB15_2180
; %bb.1967:
	v_bfe_u32 v4, v3, 21, 1
	s_mov_b32 s5, exec_lo
	v_add3_u32 v4, v3, v4, 0x88fffff
	v_lshrrev_b32_e32 v4, 21, v4
	s_andn2_saveexec_b32 s6, s6
	s_cbranch_execnz .LBB15_2181
.LBB15_1968:
	s_or_b32 exec_lo, exec_lo, s6
	v_mov_b32_e32 v5, 0
	s_and_saveexec_b32 s6, s5
.LBB15_1969:
	v_lshrrev_b32_e32 v5, 24, v3
	v_and_or_b32 v5, 0x80, v5, v4
.LBB15_1970:
	s_or_b32 exec_lo, exec_lo, s6
.LBB15_1971:
	s_or_b32 exec_lo, exec_lo, s4
	s_mov_b32 s4, 0
	global_store_byte v[1:2], v5, off
.LBB15_1972:
	s_and_b32 vcc_lo, exec_lo, s4
	s_cbranch_vccz .LBB15_1982
; %bb.1973:
	v_and_b32_e32 v5, 0x7fffffff, v3
	s_mov_b32 s4, exec_lo
                                        ; implicit-def: $vgpr4
	v_cmpx_gt_u32_e32 0x43f00000, v5
	s_xor_b32 s4, exec_lo, s4
	s_cbranch_execz .LBB15_1979
; %bb.1974:
	s_mov_b32 s5, exec_lo
                                        ; implicit-def: $vgpr4
	v_cmpx_lt_u32_e32 0x3c7fffff, v5
	s_xor_b32 s5, exec_lo, s5
; %bb.1975:
	v_bfe_u32 v4, v3, 20, 1
	v_add3_u32 v4, v3, v4, 0x407ffff
	v_and_b32_e32 v5, 0xff00000, v4
	v_lshrrev_b32_e32 v4, 20, v4
	v_cmp_ne_u32_e32 vcc_lo, 0x7f00000, v5
	v_cndmask_b32_e32 v4, 0x7e, v4, vcc_lo
; %bb.1976:
	s_andn2_saveexec_b32 s5, s5
; %bb.1977:
	v_add_f32_e64 v4, 0x46800000, |v3|
; %bb.1978:
	s_or_b32 exec_lo, exec_lo, s5
                                        ; implicit-def: $vgpr5
.LBB15_1979:
	s_andn2_saveexec_b32 s4, s4
; %bb.1980:
	v_mov_b32_e32 v4, 0x7f
	v_cmp_lt_u32_e32 vcc_lo, 0x7f800000, v5
	v_cndmask_b32_e32 v4, 0x7e, v4, vcc_lo
; %bb.1981:
	s_or_b32 exec_lo, exec_lo, s4
	v_lshrrev_b32_e32 v5, 24, v3
	v_and_or_b32 v4, 0x80, v5, v4
	global_store_byte v[1:2], v4, off
.LBB15_1982:
	s_mov_b32 s4, 0
.LBB15_1983:
	s_andn2_b32 vcc_lo, exec_lo, s4
	s_cbranch_vccnz .LBB15_1993
; %bb.1984:
	v_and_b32_e32 v5, 0x7fffffff, v3
	s_mov_b32 s4, exec_lo
                                        ; implicit-def: $vgpr4
	v_cmpx_gt_u32_e32 0x47800000, v5
	s_xor_b32 s4, exec_lo, s4
	s_cbranch_execz .LBB15_1990
; %bb.1985:
	s_mov_b32 s5, exec_lo
                                        ; implicit-def: $vgpr4
	v_cmpx_lt_u32_e32 0x387fffff, v5
	s_xor_b32 s5, exec_lo, s5
; %bb.1986:
	v_bfe_u32 v4, v3, 21, 1
	v_add3_u32 v4, v3, v4, 0x80fffff
	v_lshrrev_b32_e32 v4, 21, v4
; %bb.1987:
	s_andn2_saveexec_b32 s5, s5
; %bb.1988:
	v_add_f32_e64 v4, 0x43000000, |v3|
; %bb.1989:
	s_or_b32 exec_lo, exec_lo, s5
                                        ; implicit-def: $vgpr5
.LBB15_1990:
	s_andn2_saveexec_b32 s4, s4
; %bb.1991:
	v_mov_b32_e32 v4, 0x7f
	v_cmp_lt_u32_e32 vcc_lo, 0x7f800000, v5
	v_cndmask_b32_e32 v4, 0x7c, v4, vcc_lo
; %bb.1992:
	s_or_b32 exec_lo, exec_lo, s4
	v_lshrrev_b32_e32 v5, 24, v3
	v_and_or_b32 v4, 0x80, v5, v4
	global_store_byte v[1:2], v4, off
.LBB15_1993:
	s_mov_b32 s4, 0
	s_mov_b32 s5, -1
.LBB15_1994:
	s_andn2_b32 vcc_lo, exec_lo, s4
	s_mov_b32 s4, 0
	s_cbranch_vccnz .LBB15_2001
; %bb.1995:
	s_cmp_gt_i32 s3, 14
	s_mov_b32 s4, -1
	s_cbranch_scc0 .LBB15_1999
; %bb.1996:
	s_cmp_eq_u32 s3, 15
	s_mov_b32 s0, -1
	s_cbranch_scc0 .LBB15_1998
; %bb.1997:
	v_bfe_u32 v4, v3, 16, 1
	v_cmp_o_f32_e32 vcc_lo, v3, v3
	v_mov_b32_e32 v5, 0x7fc0
	s_mov_b32 s0, 0
	s_mov_b32 s5, -1
	v_add3_u32 v4, v3, v4, 0x7fff
	v_cndmask_b32_sdwa v4, v5, v4, vcc_lo dst_sel:DWORD dst_unused:UNUSED_PAD src0_sel:DWORD src1_sel:WORD_1
	global_store_short v[1:2], v4, off
.LBB15_1998:
	s_mov_b32 s4, 0
.LBB15_1999:
	s_and_b32 vcc_lo, exec_lo, s4
	s_mov_b32 s4, 0
	s_cbranch_vccz .LBB15_2001
; %bb.2000:
	s_cmp_lg_u32 s3, 11
	s_mov_b32 s4, -1
	s_cselect_b32 s0, -1, 0
.LBB15_2001:
	s_and_b32 vcc_lo, exec_lo, s0
	s_cbranch_vccnz .LBB15_2179
; %bb.2002:
	s_andn2_b32 vcc_lo, exec_lo, s4
	s_cbranch_vccnz .LBB15_2004
.LBB15_2003:
	v_cmp_neq_f32_e32 vcc_lo, 0, v3
	s_mov_b32 s5, -1
	v_cndmask_b32_e64 v4, 0, 1, vcc_lo
	global_store_byte v[1:2], v4, off
.LBB15_2004:
.LBB15_2005:
	s_andn2_b32 vcc_lo, exec_lo, s5
	s_cbranch_vccnz .LBB15_2121
.LBB15_2006:
	v_mul_f32_e32 v1, v20, v20
	s_mov_b32 s0, 0xb94c1982
	s_mov_b32 s3, 0x37d75334
	v_and_b32_e32 v4, 1, v21
	v_lshlrev_b32_e32 v5, 30, v21
	v_fmaak_f32 v2, s0, v1, 0x3c0881c4
	v_fmaak_f32 v3, s3, v1, 0xbab64f3b
	v_add_co_u32 v0, s0, s8, v0
	v_cmp_eq_u32_e32 vcc_lo, 0, v4
	v_fmaak_f32 v2, v1, v2, 0xbe2aaa9d
	v_fmaak_f32 v3, v1, v3, 0x3d2aabf7
	s_mov_b32 s4, 0
	s_cmp_lt_i32 s1, 11
	v_mul_f32_e32 v2, v1, v2
	v_fmaak_f32 v3, v1, v3, 0xbf000004
	v_fmac_f32_e32 v20, v20, v2
	v_fma_f32 v1, v1, v3, 1.0
	v_xor_b32_e32 v2, v19, v9
	v_and_b32_e32 v3, 0x80000000, v5
	v_cndmask_b32_e32 v1, v1, v20, vcc_lo
	v_cmp_class_f32_e64 vcc_lo, v9, 0x1f8
	v_xor3_b32 v1, v2, v3, v1
	v_cndmask_b32_e32 v2, 0x7fc00000, v1, vcc_lo
	v_add_co_ci_u32_e64 v1, null, s9, 0, s0
	s_mov_b32 s0, -1
	s_cbranch_scc1 .LBB15_2122
; %bb.2007:
	s_and_b32 s3, 0xffff, s1
	s_mov_b32 s5, -1
	s_cmp_gt_i32 s3, 25
	s_mov_b32 s0, 0
	s_cbranch_scc0 .LBB15_2040
; %bb.2008:
	s_cmp_gt_i32 s3, 28
	s_cbranch_scc0 .LBB15_2024
; %bb.2009:
	s_cmp_gt_i32 s3, 43
	;; [unrolled: 3-line block ×3, first 2 shown]
	s_cbranch_scc0 .LBB15_2014
; %bb.2011:
	s_cmp_eq_u32 s3, 46
	s_mov_b32 s0, -1
	s_cbranch_scc0 .LBB15_2013
; %bb.2012:
	v_bfe_u32 v3, v2, 16, 1
	v_cmp_o_f32_e32 vcc_lo, v2, v2
	v_mov_b32_e32 v4, 0x7fc0
	s_mov_b32 s0, 0
	v_add3_u32 v3, v2, v3, 0x7fff
	v_cndmask_b32_sdwa v3, v4, v3, vcc_lo dst_sel:DWORD dst_unused:UNUSED_PAD src0_sel:DWORD src1_sel:WORD_1
	global_store_dword v[0:1], v3, off
.LBB15_2013:
	s_mov_b32 s5, 0
.LBB15_2014:
	s_and_b32 vcc_lo, exec_lo, s5
	s_cbranch_vccz .LBB15_2019
; %bb.2015:
	s_cmp_eq_u32 s3, 44
	s_mov_b32 s0, -1
	s_cbranch_scc0 .LBB15_2019
; %bb.2016:
	v_bfe_u32 v4, v2, 23, 8
	v_mov_b32_e32 v3, 0xff
	s_mov_b32 s5, exec_lo
	v_cmpx_ne_u32_e32 0xff, v4
	s_cbranch_execz .LBB15_2018
; %bb.2017:
	v_and_b32_e32 v3, 0x400000, v2
	v_and_or_b32 v4, 0x3fffff, v2, v4
	v_cmp_ne_u32_e32 vcc_lo, 0, v3
	v_cmp_ne_u32_e64 s0, 0, v4
	v_lshrrev_b32_e32 v3, 23, v2
	s_and_b32 s0, vcc_lo, s0
	v_cndmask_b32_e64 v4, 0, 1, s0
	v_add_nc_u32_e32 v3, v3, v4
.LBB15_2018:
	s_or_b32 exec_lo, exec_lo, s5
	s_mov_b32 s0, 0
	global_store_byte v[0:1], v3, off
.LBB15_2019:
	s_mov_b32 s5, 0
.LBB15_2020:
	s_and_b32 vcc_lo, exec_lo, s5
	s_cbranch_vccz .LBB15_2023
; %bb.2021:
	s_cmp_eq_u32 s3, 29
	s_mov_b32 s0, -1
	s_cbranch_scc0 .LBB15_2023
; %bb.2022:
	v_trunc_f32_e32 v3, v2
	s_mov_b32 s0, 0
	v_mul_f32_e32 v4, 0x2f800000, v3
	v_floor_f32_e32 v4, v4
	v_fmamk_f32 v3, v4, 0xcf800000, v3
	v_cvt_u32_f32_e32 v4, v4
	v_cvt_u32_f32_e32 v3, v3
	global_store_dwordx2 v[0:1], v[3:4], off
.LBB15_2023:
	s_mov_b32 s5, 0
.LBB15_2024:
	s_and_b32 vcc_lo, exec_lo, s5
	s_cbranch_vccz .LBB15_2039
; %bb.2025:
	s_cmp_lt_i32 s3, 27
	s_mov_b32 s5, -1
	s_cbranch_scc1 .LBB15_2031
; %bb.2026:
	s_cmp_gt_i32 s3, 27
	s_cbranch_scc0 .LBB15_2028
; %bb.2027:
	v_cvt_u32_f32_e32 v3, v2
	s_mov_b32 s5, 0
	global_store_dword v[0:1], v3, off
.LBB15_2028:
	s_andn2_b32 vcc_lo, exec_lo, s5
	s_cbranch_vccnz .LBB15_2030
; %bb.2029:
	v_cvt_u32_f32_e32 v3, v2
	global_store_short v[0:1], v3, off
.LBB15_2030:
	s_mov_b32 s5, 0
.LBB15_2031:
	s_andn2_b32 vcc_lo, exec_lo, s5
	s_cbranch_vccnz .LBB15_2039
; %bb.2032:
	v_and_b32_e32 v3, 0x7fffffff, v2
	v_mov_b32_e32 v4, 0x80
	s_mov_b32 s5, exec_lo
	v_cmpx_gt_u32_e32 0x43800000, v3
	s_cbranch_execz .LBB15_2038
; %bb.2033:
	v_cmp_lt_u32_e32 vcc_lo, 0x3bffffff, v3
	s_mov_b32 s6, 0
                                        ; implicit-def: $vgpr3
	s_and_saveexec_b32 s7, vcc_lo
	s_xor_b32 s7, exec_lo, s7
	s_cbranch_execz .LBB15_2182
; %bb.2034:
	v_bfe_u32 v3, v2, 20, 1
	s_mov_b32 s6, exec_lo
	v_add3_u32 v3, v2, v3, 0x487ffff
	v_lshrrev_b32_e32 v3, 20, v3
	s_andn2_saveexec_b32 s7, s7
	s_cbranch_execnz .LBB15_2183
.LBB15_2035:
	s_or_b32 exec_lo, exec_lo, s7
	v_mov_b32_e32 v4, 0
	s_and_saveexec_b32 s7, s6
.LBB15_2036:
	v_lshrrev_b32_e32 v4, 24, v2
	v_and_or_b32 v4, 0x80, v4, v3
.LBB15_2037:
	s_or_b32 exec_lo, exec_lo, s7
.LBB15_2038:
	s_or_b32 exec_lo, exec_lo, s5
	global_store_byte v[0:1], v4, off
.LBB15_2039:
	s_mov_b32 s5, 0
.LBB15_2040:
	s_and_b32 vcc_lo, exec_lo, s5
	s_cbranch_vccz .LBB15_2080
; %bb.2041:
	s_cmp_gt_i32 s3, 22
	s_mov_b32 s4, -1
	s_cbranch_scc0 .LBB15_2073
; %bb.2042:
	s_cmp_lt_i32 s3, 24
	s_cbranch_scc1 .LBB15_2062
; %bb.2043:
	s_cmp_gt_i32 s3, 24
	s_cbranch_scc0 .LBB15_2051
; %bb.2044:
	v_and_b32_e32 v3, 0x7fffffff, v2
	v_mov_b32_e32 v4, 0x80
	s_mov_b32 s4, exec_lo
	v_cmpx_gt_u32_e32 0x47800000, v3
	s_cbranch_execz .LBB15_2050
; %bb.2045:
	v_cmp_lt_u32_e32 vcc_lo, 0x37ffffff, v3
	s_mov_b32 s5, 0
                                        ; implicit-def: $vgpr3
	s_and_saveexec_b32 s6, vcc_lo
	s_xor_b32 s6, exec_lo, s6
	s_cbranch_execz .LBB15_2185
; %bb.2046:
	v_bfe_u32 v3, v2, 21, 1
	s_mov_b32 s5, exec_lo
	v_add3_u32 v3, v2, v3, 0x88fffff
	v_lshrrev_b32_e32 v3, 21, v3
	s_andn2_saveexec_b32 s6, s6
	s_cbranch_execnz .LBB15_2186
.LBB15_2047:
	s_or_b32 exec_lo, exec_lo, s6
	v_mov_b32_e32 v4, 0
	s_and_saveexec_b32 s6, s5
.LBB15_2048:
	v_lshrrev_b32_e32 v4, 24, v2
	v_and_or_b32 v4, 0x80, v4, v3
.LBB15_2049:
	s_or_b32 exec_lo, exec_lo, s6
.LBB15_2050:
	s_or_b32 exec_lo, exec_lo, s4
	s_mov_b32 s4, 0
	global_store_byte v[0:1], v4, off
.LBB15_2051:
	s_and_b32 vcc_lo, exec_lo, s4
	s_cbranch_vccz .LBB15_2061
; %bb.2052:
	v_and_b32_e32 v4, 0x7fffffff, v2
	s_mov_b32 s4, exec_lo
                                        ; implicit-def: $vgpr3
	v_cmpx_gt_u32_e32 0x43f00000, v4
	s_xor_b32 s4, exec_lo, s4
	s_cbranch_execz .LBB15_2058
; %bb.2053:
	s_mov_b32 s5, exec_lo
                                        ; implicit-def: $vgpr3
	v_cmpx_lt_u32_e32 0x3c7fffff, v4
	s_xor_b32 s5, exec_lo, s5
; %bb.2054:
	v_bfe_u32 v3, v2, 20, 1
	v_add3_u32 v3, v2, v3, 0x407ffff
	v_and_b32_e32 v4, 0xff00000, v3
	v_lshrrev_b32_e32 v3, 20, v3
	v_cmp_ne_u32_e32 vcc_lo, 0x7f00000, v4
	v_cndmask_b32_e32 v3, 0x7e, v3, vcc_lo
; %bb.2055:
	s_andn2_saveexec_b32 s5, s5
; %bb.2056:
	v_add_f32_e64 v3, 0x46800000, |v2|
; %bb.2057:
	s_or_b32 exec_lo, exec_lo, s5
                                        ; implicit-def: $vgpr4
.LBB15_2058:
	s_andn2_saveexec_b32 s4, s4
; %bb.2059:
	v_mov_b32_e32 v3, 0x7f
	v_cmp_lt_u32_e32 vcc_lo, 0x7f800000, v4
	v_cndmask_b32_e32 v3, 0x7e, v3, vcc_lo
; %bb.2060:
	s_or_b32 exec_lo, exec_lo, s4
	v_lshrrev_b32_e32 v4, 24, v2
	v_and_or_b32 v3, 0x80, v4, v3
	global_store_byte v[0:1], v3, off
.LBB15_2061:
	s_mov_b32 s4, 0
.LBB15_2062:
	s_andn2_b32 vcc_lo, exec_lo, s4
	s_cbranch_vccnz .LBB15_2072
; %bb.2063:
	v_and_b32_e32 v4, 0x7fffffff, v2
	s_mov_b32 s4, exec_lo
                                        ; implicit-def: $vgpr3
	v_cmpx_gt_u32_e32 0x47800000, v4
	s_xor_b32 s4, exec_lo, s4
	s_cbranch_execz .LBB15_2069
; %bb.2064:
	s_mov_b32 s5, exec_lo
                                        ; implicit-def: $vgpr3
	v_cmpx_lt_u32_e32 0x387fffff, v4
	s_xor_b32 s5, exec_lo, s5
; %bb.2065:
	v_bfe_u32 v3, v2, 21, 1
	v_add3_u32 v3, v2, v3, 0x80fffff
	v_lshrrev_b32_e32 v3, 21, v3
; %bb.2066:
	s_andn2_saveexec_b32 s5, s5
; %bb.2067:
	v_add_f32_e64 v3, 0x43000000, |v2|
; %bb.2068:
	s_or_b32 exec_lo, exec_lo, s5
                                        ; implicit-def: $vgpr4
.LBB15_2069:
	s_andn2_saveexec_b32 s4, s4
; %bb.2070:
	v_mov_b32_e32 v3, 0x7f
	v_cmp_lt_u32_e32 vcc_lo, 0x7f800000, v4
	v_cndmask_b32_e32 v3, 0x7c, v3, vcc_lo
; %bb.2071:
	s_or_b32 exec_lo, exec_lo, s4
	v_lshrrev_b32_e32 v4, 24, v2
	v_and_or_b32 v3, 0x80, v4, v3
	global_store_byte v[0:1], v3, off
.LBB15_2072:
	s_mov_b32 s4, 0
.LBB15_2073:
	s_andn2_b32 vcc_lo, exec_lo, s4
	s_mov_b32 s4, 0
	s_cbranch_vccnz .LBB15_2080
; %bb.2074:
	s_cmp_gt_i32 s3, 14
	s_mov_b32 s4, -1
	s_cbranch_scc0 .LBB15_2078
; %bb.2075:
	s_cmp_eq_u32 s3, 15
	s_mov_b32 s0, -1
	s_cbranch_scc0 .LBB15_2077
; %bb.2076:
	v_bfe_u32 v3, v2, 16, 1
	v_cmp_o_f32_e32 vcc_lo, v2, v2
	v_mov_b32_e32 v4, 0x7fc0
	s_mov_b32 s0, 0
	v_add3_u32 v3, v2, v3, 0x7fff
	v_cndmask_b32_sdwa v3, v4, v3, vcc_lo dst_sel:DWORD dst_unused:UNUSED_PAD src0_sel:DWORD src1_sel:WORD_1
	global_store_short v[0:1], v3, off
.LBB15_2077:
	s_mov_b32 s4, 0
.LBB15_2078:
	s_and_b32 vcc_lo, exec_lo, s4
	s_mov_b32 s4, 0
	s_cbranch_vccz .LBB15_2080
; %bb.2079:
	s_cmp_lg_u32 s3, 11
	s_mov_b32 s4, -1
	s_cselect_b32 s0, -1, 0
.LBB15_2080:
	s_and_b32 vcc_lo, exec_lo, s0
	s_cbranch_vccnz .LBB15_2184
.LBB15_2081:
	s_mov_b32 s0, 0
	s_branch .LBB15_2122
.LBB15_2082:
	s_and_b32 vcc_lo, exec_lo, s0
	s_cbranch_vccz .LBB15_2005
; %bb.2083:
	s_and_b32 s0, 0xffff, s1
	s_mov_b32 s3, -1
	s_cmp_lt_i32 s0, 5
	s_cbranch_scc1 .LBB15_2104
; %bb.2084:
	s_cmp_lt_i32 s0, 8
	s_cbranch_scc1 .LBB15_2094
; %bb.2085:
	;; [unrolled: 3-line block ×3, first 2 shown]
	s_cmp_gt_i32 s0, 9
	s_cbranch_scc0 .LBB15_2088
; %bb.2087:
	v_cvt_f64_f32_e32 v[4:5], v3
	v_mov_b32_e32 v6, 0
	s_mov_b32 s3, 0
	v_mov_b32_e32 v7, v6
	global_store_dwordx4 v[1:2], v[4:7], off
.LBB15_2088:
	s_andn2_b32 vcc_lo, exec_lo, s3
	s_cbranch_vccnz .LBB15_2090
; %bb.2089:
	v_mov_b32_e32 v4, 0
	global_store_dwordx2 v[1:2], v[3:4], off
.LBB15_2090:
	s_mov_b32 s3, 0
.LBB15_2091:
	s_andn2_b32 vcc_lo, exec_lo, s3
	s_cbranch_vccnz .LBB15_2093
; %bb.2092:
	v_cvt_f16_f32_e32 v4, v3
	v_and_b32_e32 v4, 0xffff, v4
	global_store_dword v[1:2], v4, off
.LBB15_2093:
	s_mov_b32 s3, 0
.LBB15_2094:
	s_andn2_b32 vcc_lo, exec_lo, s3
	s_cbranch_vccnz .LBB15_2103
; %bb.2095:
	s_cmp_lt_i32 s0, 6
	s_mov_b32 s3, -1
	s_cbranch_scc1 .LBB15_2101
; %bb.2096:
	s_cmp_gt_i32 s0, 6
	s_cbranch_scc0 .LBB15_2098
; %bb.2097:
	v_cvt_f64_f32_e32 v[4:5], v3
	s_mov_b32 s3, 0
	global_store_dwordx2 v[1:2], v[4:5], off
.LBB15_2098:
	s_andn2_b32 vcc_lo, exec_lo, s3
	s_cbranch_vccnz .LBB15_2100
; %bb.2099:
	global_store_dword v[1:2], v3, off
.LBB15_2100:
	s_mov_b32 s3, 0
.LBB15_2101:
	s_andn2_b32 vcc_lo, exec_lo, s3
	s_cbranch_vccnz .LBB15_2103
; %bb.2102:
	v_cvt_f16_f32_e32 v4, v3
	global_store_short v[1:2], v4, off
.LBB15_2103:
	s_mov_b32 s3, 0
.LBB15_2104:
	s_andn2_b32 vcc_lo, exec_lo, s3
	s_cbranch_vccnz .LBB15_2120
; %bb.2105:
	s_cmp_lt_i32 s0, 2
	s_mov_b32 s3, -1
	s_cbranch_scc1 .LBB15_2115
; %bb.2106:
	s_cmp_lt_i32 s0, 3
	s_cbranch_scc1 .LBB15_2112
; %bb.2107:
	s_cmp_gt_i32 s0, 3
	s_cbranch_scc0 .LBB15_2109
; %bb.2108:
	v_trunc_f32_e32 v4, v3
	s_mov_b32 s3, 0
	v_mul_f32_e64 v5, 0x2f800000, |v4|
	v_ashrrev_i32_e32 v7, 31, v4
	v_floor_f32_e32 v5, v5
	v_fma_f32 v6, 0xcf800000, v5, |v4|
	v_cvt_u32_f32_e32 v5, v5
	v_cvt_u32_f32_e32 v4, v6
	v_xor_b32_e32 v5, v5, v7
	v_xor_b32_e32 v4, v4, v7
	v_sub_co_u32 v4, vcc_lo, v4, v7
	v_sub_co_ci_u32_e64 v5, null, v5, v7, vcc_lo
	global_store_dwordx2 v[1:2], v[4:5], off
.LBB15_2109:
	s_andn2_b32 vcc_lo, exec_lo, s3
	s_cbranch_vccnz .LBB15_2111
; %bb.2110:
	v_cvt_i32_f32_e32 v4, v3
	global_store_dword v[1:2], v4, off
.LBB15_2111:
	s_mov_b32 s3, 0
.LBB15_2112:
	s_andn2_b32 vcc_lo, exec_lo, s3
	s_cbranch_vccnz .LBB15_2114
; %bb.2113:
	v_cvt_i32_f32_e32 v4, v3
	global_store_short v[1:2], v4, off
.LBB15_2114:
	s_mov_b32 s3, 0
.LBB15_2115:
	s_andn2_b32 vcc_lo, exec_lo, s3
	s_cbranch_vccnz .LBB15_2120
; %bb.2116:
	s_cmp_gt_i32 s0, 0
	s_mov_b32 s0, -1
	s_cbranch_scc0 .LBB15_2118
; %bb.2117:
	v_cvt_i32_f32_e32 v4, v3
	s_mov_b32 s0, 0
	global_store_byte v[1:2], v4, off
.LBB15_2118:
	s_andn2_b32 vcc_lo, exec_lo, s0
	s_cbranch_vccnz .LBB15_2120
; %bb.2119:
	v_trunc_f32_e32 v3, v3
	v_mul_f32_e64 v4, 0x2f800000, |v3|
	v_floor_f32_e32 v4, v4
	v_fma_f32 v4, 0xcf800000, v4, |v3|
	v_ashrrev_i32_e32 v3, 31, v3
	v_cvt_u32_f32_e32 v4, v4
	v_xor_b32_e32 v4, v4, v3
	v_sub_nc_u32_e32 v3, v4, v3
	global_store_byte v[1:2], v3, off
.LBB15_2120:
	s_branch .LBB15_2006
.LBB15_2121:
	s_mov_b32 s0, 0
	s_mov_b32 s4, 0
                                        ; implicit-def: $vgpr0_vgpr1
                                        ; implicit-def: $sgpr1
                                        ; implicit-def: $vgpr2
.LBB15_2122:
	s_andn2_b32 s3, s12, exec_lo
	s_and_b32 s2, s2, exec_lo
	s_and_b32 s0, s0, exec_lo
	;; [unrolled: 1-line block ×3, first 2 shown]
	s_or_b32 s12, s3, s2
.LBB15_2123:
	s_or_b32 exec_lo, exec_lo, s13
	s_and_saveexec_b32 s2, s12
	s_cbranch_execz .LBB15_2126
; %bb.2124:
	; divergent unreachable
	s_or_b32 exec_lo, exec_lo, s2
	s_and_saveexec_b32 s2, s26
	s_xor_b32 s2, exec_lo, s2
	s_cbranch_execnz .LBB15_2127
.LBB15_2125:
	s_or_b32 exec_lo, exec_lo, s2
	s_and_saveexec_b32 s2, s0
	s_cbranch_execnz .LBB15_2128
	s_branch .LBB15_2165
.LBB15_2126:
	s_or_b32 exec_lo, exec_lo, s2
	s_and_saveexec_b32 s2, s26
	s_xor_b32 s2, exec_lo, s2
	s_cbranch_execz .LBB15_2125
.LBB15_2127:
	v_cmp_neq_f32_e32 vcc_lo, 0, v2
	s_waitcnt vmcnt(0)
	v_cndmask_b32_e64 v3, 0, 1, vcc_lo
	global_store_byte v[0:1], v3, off
	s_or_b32 exec_lo, exec_lo, s2
	s_and_saveexec_b32 s2, s0
	s_cbranch_execz .LBB15_2165
.LBB15_2128:
	s_sext_i32_i16 s2, s1
	s_mov_b32 s0, -1
	s_cmp_lt_i32 s2, 5
	s_cbranch_scc1 .LBB15_2149
; %bb.2129:
	s_cmp_lt_i32 s2, 8
	s_cbranch_scc1 .LBB15_2139
; %bb.2130:
	s_cmp_lt_i32 s2, 9
	s_cbranch_scc1 .LBB15_2136
; %bb.2131:
	s_cmp_gt_i32 s2, 9
	s_cbranch_scc0 .LBB15_2133
; %bb.2132:
	s_waitcnt vmcnt(0)
	v_cvt_f64_f32_e32 v[3:4], v2
	v_mov_b32_e32 v5, 0
	s_mov_b32 s0, 0
	v_mov_b32_e32 v6, v5
	global_store_dwordx4 v[0:1], v[3:6], off
.LBB15_2133:
	s_andn2_b32 vcc_lo, exec_lo, s0
	s_cbranch_vccnz .LBB15_2135
; %bb.2134:
	s_waitcnt vmcnt(0)
	v_mov_b32_e32 v3, 0
	global_store_dwordx2 v[0:1], v[2:3], off
.LBB15_2135:
	s_mov_b32 s0, 0
.LBB15_2136:
	s_andn2_b32 vcc_lo, exec_lo, s0
	s_cbranch_vccnz .LBB15_2138
; %bb.2137:
	s_waitcnt vmcnt(0)
	v_cvt_f16_f32_e32 v3, v2
	v_and_b32_e32 v3, 0xffff, v3
	global_store_dword v[0:1], v3, off
.LBB15_2138:
	s_mov_b32 s0, 0
.LBB15_2139:
	s_andn2_b32 vcc_lo, exec_lo, s0
	s_cbranch_vccnz .LBB15_2148
; %bb.2140:
	s_sext_i32_i16 s2, s1
	s_mov_b32 s0, -1
	s_cmp_lt_i32 s2, 6
	s_cbranch_scc1 .LBB15_2146
; %bb.2141:
	s_cmp_gt_i32 s2, 6
	s_cbranch_scc0 .LBB15_2143
; %bb.2142:
	s_waitcnt vmcnt(0)
	v_cvt_f64_f32_e32 v[3:4], v2
	s_mov_b32 s0, 0
	global_store_dwordx2 v[0:1], v[3:4], off
.LBB15_2143:
	s_andn2_b32 vcc_lo, exec_lo, s0
	s_cbranch_vccnz .LBB15_2145
; %bb.2144:
	s_waitcnt vmcnt(0)
	global_store_dword v[0:1], v2, off
.LBB15_2145:
	s_mov_b32 s0, 0
.LBB15_2146:
	s_andn2_b32 vcc_lo, exec_lo, s0
	s_cbranch_vccnz .LBB15_2148
; %bb.2147:
	s_waitcnt vmcnt(0)
	v_cvt_f16_f32_e32 v3, v2
	global_store_short v[0:1], v3, off
.LBB15_2148:
	s_mov_b32 s0, 0
.LBB15_2149:
	s_andn2_b32 vcc_lo, exec_lo, s0
	s_cbranch_vccnz .LBB15_2165
; %bb.2150:
	s_sext_i32_i16 s2, s1
	s_mov_b32 s0, -1
	s_cmp_lt_i32 s2, 2
	s_cbranch_scc1 .LBB15_2160
; %bb.2151:
	s_cmp_lt_i32 s2, 3
	s_cbranch_scc1 .LBB15_2157
; %bb.2152:
	s_cmp_gt_i32 s2, 3
	s_cbranch_scc0 .LBB15_2154
; %bb.2153:
	s_waitcnt vmcnt(0)
	v_trunc_f32_e32 v3, v2
	s_mov_b32 s0, 0
	v_mul_f32_e64 v4, 0x2f800000, |v3|
	v_ashrrev_i32_e32 v6, 31, v3
	v_floor_f32_e32 v4, v4
	v_fma_f32 v5, 0xcf800000, v4, |v3|
	v_cvt_u32_f32_e32 v4, v4
	v_cvt_u32_f32_e32 v3, v5
	v_xor_b32_e32 v4, v4, v6
	v_xor_b32_e32 v3, v3, v6
	v_sub_co_u32 v3, vcc_lo, v3, v6
	v_sub_co_ci_u32_e64 v4, null, v4, v6, vcc_lo
	global_store_dwordx2 v[0:1], v[3:4], off
.LBB15_2154:
	s_andn2_b32 vcc_lo, exec_lo, s0
	s_cbranch_vccnz .LBB15_2156
; %bb.2155:
	s_waitcnt vmcnt(0)
	v_cvt_i32_f32_e32 v3, v2
	global_store_dword v[0:1], v3, off
.LBB15_2156:
	s_mov_b32 s0, 0
.LBB15_2157:
	s_andn2_b32 vcc_lo, exec_lo, s0
	s_cbranch_vccnz .LBB15_2159
; %bb.2158:
	s_waitcnt vmcnt(0)
	v_cvt_i32_f32_e32 v3, v2
	global_store_short v[0:1], v3, off
.LBB15_2159:
	s_mov_b32 s0, 0
.LBB15_2160:
	s_andn2_b32 vcc_lo, exec_lo, s0
	s_cbranch_vccnz .LBB15_2165
; %bb.2161:
	s_sext_i32_i16 s0, s1
	s_cmp_gt_i32 s0, 0
	s_mov_b32 s0, -1
	s_cbranch_scc0 .LBB15_2163
; %bb.2162:
	s_waitcnt vmcnt(0)
	v_cvt_i32_f32_e32 v3, v2
	s_mov_b32 s0, 0
	global_store_byte v[0:1], v3, off
.LBB15_2163:
	s_andn2_b32 vcc_lo, exec_lo, s0
	s_cbranch_vccnz .LBB15_2165
; %bb.2164:
	v_trunc_f32_e32 v2, v2
	s_waitcnt vmcnt(0)
	v_mul_f32_e64 v3, 0x2f800000, |v2|
	v_floor_f32_e32 v3, v3
	v_fma_f32 v3, 0xcf800000, v3, |v2|
	v_ashrrev_i32_e32 v2, 31, v2
	v_cvt_u32_f32_e32 v3, v3
	v_xor_b32_e32 v3, v3, v2
	v_sub_nc_u32_e32 v2, v3, v2
	global_store_byte v[0:1], v2, off
	s_endpgm
.LBB15_2165:
	s_endpgm
.LBB15_2166:
	s_or_b32 s2, s2, exec_lo
	s_trap 2
	s_cbranch_execz .LBB15_1635
	s_branch .LBB15_1636
.LBB15_2167:
	s_andn2_saveexec_b32 s10, s10
	s_cbranch_execz .LBB15_1719
.LBB15_2168:
	v_add_f32_e64 v1, 0x46000000, |v7|
	s_andn2_b32 s7, s7, exec_lo
	v_and_b32_e32 v1, 0xff, v1
	v_cmp_ne_u32_e32 vcc_lo, 0, v1
	s_and_b32 s11, vcc_lo, exec_lo
	s_or_b32 s7, s7, s11
	s_or_b32 exec_lo, exec_lo, s10
	v_mov_b32_e32 v8, 0
	s_and_saveexec_b32 s10, s7
	s_cbranch_execnz .LBB15_1720
	s_branch .LBB15_1721
.LBB15_2169:
	s_or_b32 s2, s2, exec_lo
	s_trap 2
	s_cbranch_execz .LBB15_1767
	s_branch .LBB15_1768
.LBB15_2170:
	s_andn2_saveexec_b32 s7, s7
	s_cbranch_execz .LBB15_1732
.LBB15_2171:
	v_add_f32_e64 v1, 0x42800000, |v7|
	s_andn2_b32 s6, s6, exec_lo
	v_and_b32_e32 v1, 0xff, v1
	v_cmp_ne_u32_e32 vcc_lo, 0, v1
	s_and_b32 s10, vcc_lo, exec_lo
	s_or_b32 s6, s6, s10
	s_or_b32 exec_lo, exec_lo, s7
	v_mov_b32_e32 v8, 0
	s_and_saveexec_b32 s7, s6
	s_cbranch_execnz .LBB15_1733
	s_branch .LBB15_1734
.LBB15_2172:
	s_andn2_saveexec_b32 s7, s7
	s_cbranch_execz .LBB15_1837
.LBB15_2173:
	v_add_f32_e64 v1, 0x46000000, |v5|
	s_andn2_b32 s6, s6, exec_lo
	v_and_b32_e32 v1, 0xff, v1
	v_cmp_ne_u32_e32 vcc_lo, 0, v1
	s_and_b32 s10, vcc_lo, exec_lo
	s_or_b32 s6, s6, s10
	s_or_b32 exec_lo, exec_lo, s7
	v_mov_b32_e32 v6, 0
	s_and_saveexec_b32 s7, s6
	s_cbranch_execnz .LBB15_1838
	s_branch .LBB15_1839
.LBB15_2174:
	s_or_b32 s2, s2, exec_lo
	s_trap 2
	s_cbranch_execz .LBB15_1885
	s_branch .LBB15_1886
.LBB15_2175:
	s_andn2_saveexec_b32 s6, s6
	s_cbranch_execz .LBB15_1850
.LBB15_2176:
	v_add_f32_e64 v1, 0x42800000, |v5|
	s_andn2_b32 s5, s5, exec_lo
	v_and_b32_e32 v1, 0xff, v1
	v_cmp_ne_u32_e32 vcc_lo, 0, v1
	s_and_b32 s7, vcc_lo, exec_lo
	s_or_b32 s5, s5, s7
	s_or_b32 exec_lo, exec_lo, s6
	v_mov_b32_e32 v6, 0
	s_and_saveexec_b32 s6, s5
	s_cbranch_execnz .LBB15_1851
	s_branch .LBB15_1852
.LBB15_2177:
	s_andn2_saveexec_b32 s7, s7
	s_cbranch_execz .LBB15_1955
.LBB15_2178:
	v_add_f32_e64 v4, 0x46000000, |v3|
	s_andn2_b32 s6, s6, exec_lo
	v_and_b32_e32 v4, 0xff, v4
	v_cmp_ne_u32_e32 vcc_lo, 0, v4
	s_and_b32 s10, vcc_lo, exec_lo
	s_or_b32 s6, s6, s10
	s_or_b32 exec_lo, exec_lo, s7
	v_mov_b32_e32 v5, 0
	s_and_saveexec_b32 s7, s6
	s_cbranch_execnz .LBB15_1956
	s_branch .LBB15_1957
.LBB15_2179:
	s_or_b32 s2, s2, exec_lo
	s_trap 2
	s_cbranch_execz .LBB15_2003
	s_branch .LBB15_2004
.LBB15_2180:
	s_andn2_saveexec_b32 s6, s6
	s_cbranch_execz .LBB15_1968
.LBB15_2181:
	v_add_f32_e64 v4, 0x42800000, |v3|
	s_andn2_b32 s5, s5, exec_lo
	v_and_b32_e32 v4, 0xff, v4
	v_cmp_ne_u32_e32 vcc_lo, 0, v4
	s_and_b32 s7, vcc_lo, exec_lo
	s_or_b32 s5, s5, s7
	s_or_b32 exec_lo, exec_lo, s6
	v_mov_b32_e32 v5, 0
	s_and_saveexec_b32 s6, s5
	s_cbranch_execnz .LBB15_1969
	s_branch .LBB15_1970
.LBB15_2182:
	s_andn2_saveexec_b32 s7, s7
	s_cbranch_execz .LBB15_2035
.LBB15_2183:
	v_add_f32_e64 v3, 0x46000000, |v2|
	s_andn2_b32 s6, s6, exec_lo
	v_and_b32_e32 v3, 0xff, v3
	v_cmp_ne_u32_e32 vcc_lo, 0, v3
	s_and_b32 s8, vcc_lo, exec_lo
	s_or_b32 s6, s6, s8
	s_or_b32 exec_lo, exec_lo, s7
	v_mov_b32_e32 v4, 0
	s_and_saveexec_b32 s7, s6
	s_cbranch_execnz .LBB15_2036
	s_branch .LBB15_2037
.LBB15_2184:
	s_mov_b32 s4, 0
	s_or_b32 s2, s2, exec_lo
	s_trap 2
	s_branch .LBB15_2081
.LBB15_2185:
	s_andn2_saveexec_b32 s6, s6
	s_cbranch_execz .LBB15_2047
.LBB15_2186:
	v_add_f32_e64 v3, 0x42800000, |v2|
	s_andn2_b32 s5, s5, exec_lo
	v_and_b32_e32 v3, 0xff, v3
	v_cmp_ne_u32_e32 vcc_lo, 0, v3
	s_and_b32 s7, vcc_lo, exec_lo
	s_or_b32 s5, s5, s7
	s_or_b32 exec_lo, exec_lo, s6
	v_mov_b32_e32 v4, 0
	s_and_saveexec_b32 s6, s5
	s_cbranch_execnz .LBB15_2048
	s_branch .LBB15_2049
	.section	.rodata,"a",@progbits
	.p2align	6, 0x0
	.amdhsa_kernel _ZN2at6native32elementwise_kernel_manual_unrollILi128ELi4EZNS0_15gpu_kernel_implIZZZNS0_15sin_kernel_cudaERNS_18TensorIteratorBaseEENKUlvE0_clEvENKUlvE0_clEvEUlfE_EEvS4_RKT_EUlibE0_EEviT1_
		.amdhsa_group_segment_fixed_size 0
		.amdhsa_private_segment_fixed_size 0
		.amdhsa_kernarg_size 360
		.amdhsa_user_sgpr_count 6
		.amdhsa_user_sgpr_private_segment_buffer 1
		.amdhsa_user_sgpr_dispatch_ptr 0
		.amdhsa_user_sgpr_queue_ptr 0
		.amdhsa_user_sgpr_kernarg_segment_ptr 1
		.amdhsa_user_sgpr_dispatch_id 0
		.amdhsa_user_sgpr_flat_scratch_init 0
		.amdhsa_user_sgpr_private_segment_size 0
		.amdhsa_wavefront_size32 1
		.amdhsa_uses_dynamic_stack 0
		.amdhsa_system_sgpr_private_segment_wavefront_offset 0
		.amdhsa_system_sgpr_workgroup_id_x 1
		.amdhsa_system_sgpr_workgroup_id_y 0
		.amdhsa_system_sgpr_workgroup_id_z 0
		.amdhsa_system_sgpr_workgroup_info 0
		.amdhsa_system_vgpr_workitem_id 0
		.amdhsa_next_free_vgpr 30
		.amdhsa_next_free_sgpr 68
		.amdhsa_reserve_vcc 1
		.amdhsa_reserve_flat_scratch 0
		.amdhsa_float_round_mode_32 0
		.amdhsa_float_round_mode_16_64 0
		.amdhsa_float_denorm_mode_32 3
		.amdhsa_float_denorm_mode_16_64 3
		.amdhsa_dx10_clamp 1
		.amdhsa_ieee_mode 1
		.amdhsa_fp16_overflow 0
		.amdhsa_workgroup_processor_mode 1
		.amdhsa_memory_ordered 1
		.amdhsa_forward_progress 1
		.amdhsa_shared_vgpr_count 0
		.amdhsa_exception_fp_ieee_invalid_op 0
		.amdhsa_exception_fp_denorm_src 0
		.amdhsa_exception_fp_ieee_div_zero 0
		.amdhsa_exception_fp_ieee_overflow 0
		.amdhsa_exception_fp_ieee_underflow 0
		.amdhsa_exception_fp_ieee_inexact 0
		.amdhsa_exception_int_div_zero 0
	.end_amdhsa_kernel
	.section	.text._ZN2at6native32elementwise_kernel_manual_unrollILi128ELi4EZNS0_15gpu_kernel_implIZZZNS0_15sin_kernel_cudaERNS_18TensorIteratorBaseEENKUlvE0_clEvENKUlvE0_clEvEUlfE_EEvS4_RKT_EUlibE0_EEviT1_,"axG",@progbits,_ZN2at6native32elementwise_kernel_manual_unrollILi128ELi4EZNS0_15gpu_kernel_implIZZZNS0_15sin_kernel_cudaERNS_18TensorIteratorBaseEENKUlvE0_clEvENKUlvE0_clEvEUlfE_EEvS4_RKT_EUlibE0_EEviT1_,comdat
.Lfunc_end15:
	.size	_ZN2at6native32elementwise_kernel_manual_unrollILi128ELi4EZNS0_15gpu_kernel_implIZZZNS0_15sin_kernel_cudaERNS_18TensorIteratorBaseEENKUlvE0_clEvENKUlvE0_clEvEUlfE_EEvS4_RKT_EUlibE0_EEviT1_, .Lfunc_end15-_ZN2at6native32elementwise_kernel_manual_unrollILi128ELi4EZNS0_15gpu_kernel_implIZZZNS0_15sin_kernel_cudaERNS_18TensorIteratorBaseEENKUlvE0_clEvENKUlvE0_clEvEUlfE_EEvS4_RKT_EUlibE0_EEviT1_
                                        ; -- End function
	.set _ZN2at6native32elementwise_kernel_manual_unrollILi128ELi4EZNS0_15gpu_kernel_implIZZZNS0_15sin_kernel_cudaERNS_18TensorIteratorBaseEENKUlvE0_clEvENKUlvE0_clEvEUlfE_EEvS4_RKT_EUlibE0_EEviT1_.num_vgpr, 30
	.set _ZN2at6native32elementwise_kernel_manual_unrollILi128ELi4EZNS0_15gpu_kernel_implIZZZNS0_15sin_kernel_cudaERNS_18TensorIteratorBaseEENKUlvE0_clEvENKUlvE0_clEvEUlfE_EEvS4_RKT_EUlibE0_EEviT1_.num_agpr, 0
	.set _ZN2at6native32elementwise_kernel_manual_unrollILi128ELi4EZNS0_15gpu_kernel_implIZZZNS0_15sin_kernel_cudaERNS_18TensorIteratorBaseEENKUlvE0_clEvENKUlvE0_clEvEUlfE_EEvS4_RKT_EUlibE0_EEviT1_.numbered_sgpr, 68
	.set _ZN2at6native32elementwise_kernel_manual_unrollILi128ELi4EZNS0_15gpu_kernel_implIZZZNS0_15sin_kernel_cudaERNS_18TensorIteratorBaseEENKUlvE0_clEvENKUlvE0_clEvEUlfE_EEvS4_RKT_EUlibE0_EEviT1_.num_named_barrier, 0
	.set _ZN2at6native32elementwise_kernel_manual_unrollILi128ELi4EZNS0_15gpu_kernel_implIZZZNS0_15sin_kernel_cudaERNS_18TensorIteratorBaseEENKUlvE0_clEvENKUlvE0_clEvEUlfE_EEvS4_RKT_EUlibE0_EEviT1_.private_seg_size, 0
	.set _ZN2at6native32elementwise_kernel_manual_unrollILi128ELi4EZNS0_15gpu_kernel_implIZZZNS0_15sin_kernel_cudaERNS_18TensorIteratorBaseEENKUlvE0_clEvENKUlvE0_clEvEUlfE_EEvS4_RKT_EUlibE0_EEviT1_.uses_vcc, 1
	.set _ZN2at6native32elementwise_kernel_manual_unrollILi128ELi4EZNS0_15gpu_kernel_implIZZZNS0_15sin_kernel_cudaERNS_18TensorIteratorBaseEENKUlvE0_clEvENKUlvE0_clEvEUlfE_EEvS4_RKT_EUlibE0_EEviT1_.uses_flat_scratch, 0
	.set _ZN2at6native32elementwise_kernel_manual_unrollILi128ELi4EZNS0_15gpu_kernel_implIZZZNS0_15sin_kernel_cudaERNS_18TensorIteratorBaseEENKUlvE0_clEvENKUlvE0_clEvEUlfE_EEvS4_RKT_EUlibE0_EEviT1_.has_dyn_sized_stack, 0
	.set _ZN2at6native32elementwise_kernel_manual_unrollILi128ELi4EZNS0_15gpu_kernel_implIZZZNS0_15sin_kernel_cudaERNS_18TensorIteratorBaseEENKUlvE0_clEvENKUlvE0_clEvEUlfE_EEvS4_RKT_EUlibE0_EEviT1_.has_recursion, 0
	.set _ZN2at6native32elementwise_kernel_manual_unrollILi128ELi4EZNS0_15gpu_kernel_implIZZZNS0_15sin_kernel_cudaERNS_18TensorIteratorBaseEENKUlvE0_clEvENKUlvE0_clEvEUlfE_EEvS4_RKT_EUlibE0_EEviT1_.has_indirect_call, 0
	.section	.AMDGPU.csdata,"",@progbits
; Kernel info:
; codeLenInByte = 43292
; TotalNumSgprs: 70
; NumVgprs: 30
; ScratchSize: 0
; MemoryBound: 1
; FloatMode: 240
; IeeeMode: 1
; LDSByteSize: 0 bytes/workgroup (compile time only)
; SGPRBlocks: 0
; VGPRBlocks: 3
; NumSGPRsForWavesPerEU: 70
; NumVGPRsForWavesPerEU: 30
; Occupancy: 16
; WaveLimiterHint : 1
; COMPUTE_PGM_RSRC2:SCRATCH_EN: 0
; COMPUTE_PGM_RSRC2:USER_SGPR: 6
; COMPUTE_PGM_RSRC2:TRAP_HANDLER: 0
; COMPUTE_PGM_RSRC2:TGID_X_EN: 1
; COMPUTE_PGM_RSRC2:TGID_Y_EN: 0
; COMPUTE_PGM_RSRC2:TGID_Z_EN: 0
; COMPUTE_PGM_RSRC2:TIDIG_COMP_CNT: 0
	.text
	.p2align	2                               ; -- Begin function _ZN2at6native25elementwise_kernel_helperILb0EZZZNS0_15sin_kernel_cudaERNS_18TensorIteratorBaseEENKUlvE0_clEvENKUlvE1_clEvEUlN3c104HalfEE_NS0_6memory8policies11unroll_baseILi256ESt5arrayIPcLm2EE23TrivialOffsetCalculatorILi1EjESG_NS9_15LoadWithoutCastENS9_16StoreWithoutCastELi8ELi1EEEEEvT0_T1_
	.type	_ZN2at6native25elementwise_kernel_helperILb0EZZZNS0_15sin_kernel_cudaERNS_18TensorIteratorBaseEENKUlvE0_clEvENKUlvE1_clEvEUlN3c104HalfEE_NS0_6memory8policies11unroll_baseILi256ESt5arrayIPcLm2EE23TrivialOffsetCalculatorILi1EjESG_NS9_15LoadWithoutCastENS9_16StoreWithoutCastELi8ELi1EEEEEvT0_T1_,@function
_ZN2at6native25elementwise_kernel_helperILb0EZZZNS0_15sin_kernel_cudaERNS_18TensorIteratorBaseEENKUlvE0_clEvENKUlvE1_clEvEUlN3c104HalfEE_NS0_6memory8policies11unroll_baseILi256ESt5arrayIPcLm2EE23TrivialOffsetCalculatorILi1EjESG_NS9_15LoadWithoutCastENS9_16StoreWithoutCastELi8ELi1EEEEEvT0_T1_: ; @_ZN2at6native25elementwise_kernel_helperILb0EZZZNS0_15sin_kernel_cudaERNS_18TensorIteratorBaseEENKUlvE0_clEvENKUlvE1_clEvEUlN3c104HalfEE_NS0_6memory8policies11unroll_baseILi256ESt5arrayIPcLm2EE23TrivialOffsetCalculatorILi1EjESG_NS9_15LoadWithoutCastENS9_16StoreWithoutCastELi8ELi1EEEEEvT0_T1_
; %bb.0:
	s_waitcnt vmcnt(0) expcnt(0) lgkmcnt(0)
	v_and_b32_e32 v7, 0x3ff, v31
	s_lshl_b32 s7, s12, 11
	v_mov_b32_e32 v12, 0
	v_mov_b32_e32 v15, 0
	v_cmp_lt_i32_e32 vcc_lo, v7, v4
	v_or_b32_e32 v5, s7, v7
	v_add_nc_u32_e32 v8, 0x100, v7
	v_mov_b32_e32 v16, v7
	s_and_saveexec_b32 s5, vcc_lo
	s_cbranch_execz .LBB16_2
; %bb.1:
	v_mov_b32_e32 v6, 0
	v_add_nc_u32_e32 v16, 0x100, v7
	v_lshlrev_b64 v[9:10], 1, v[5:6]
	v_add_co_u32 v9, s4, v2, v9
	v_add_co_ci_u32_e64 v10, null, v3, v10, s4
	flat_load_ushort v6, v[9:10]
	s_waitcnt vmcnt(0) lgkmcnt(0)
	v_cvt_f32_f16_e32 v15, v6
.LBB16_2:
	s_or_b32 exec_lo, exec_lo, s5
	s_mov_b32 s5, exec_lo
	v_cmpx_lt_i32_e64 v16, v4
	s_cbranch_execz .LBB16_4
; %bb.3:
	v_add_nc_u32_e32 v9, s7, v16
	v_mov_b32_e32 v10, 0
	v_add_nc_u32_e32 v16, 0x100, v16
	v_lshlrev_b64 v[9:10], 1, v[9:10]
	v_add_co_u32 v9, s4, v2, v9
	v_add_co_ci_u32_e64 v10, null, v3, v10, s4
	flat_load_ushort v6, v[9:10]
	s_waitcnt vmcnt(0) lgkmcnt(0)
	v_cvt_f32_f16_e32 v12, v6
.LBB16_4:
	s_or_b32 exec_lo, exec_lo, s5
	v_mov_b32_e32 v13, 0
	v_mov_b32_e32 v14, 0
	s_mov_b32 s5, exec_lo
	v_cmpx_lt_i32_e64 v16, v4
	s_cbranch_execz .LBB16_6
; %bb.5:
	v_add_nc_u32_e32 v9, s7, v16
	v_mov_b32_e32 v10, 0
	v_add_nc_u32_e32 v16, 0x100, v16
	v_lshlrev_b64 v[9:10], 1, v[9:10]
	v_add_co_u32 v9, s4, v2, v9
	v_add_co_ci_u32_e64 v10, null, v3, v10, s4
	flat_load_ushort v6, v[9:10]
	s_waitcnt vmcnt(0) lgkmcnt(0)
	v_cvt_f32_f16_e32 v14, v6
.LBB16_6:
	s_or_b32 exec_lo, exec_lo, s5
	s_mov_b32 s5, exec_lo
	v_cmpx_lt_i32_e64 v16, v4
	s_cbranch_execz .LBB16_8
; %bb.7:
	v_add_nc_u32_e32 v9, s7, v16
	v_mov_b32_e32 v10, 0
	v_add_nc_u32_e32 v16, 0x100, v16
	v_lshlrev_b64 v[9:10], 1, v[9:10]
	v_add_co_u32 v9, s4, v2, v9
	v_add_co_ci_u32_e64 v10, null, v3, v10, s4
	flat_load_ushort v6, v[9:10]
	s_waitcnt vmcnt(0) lgkmcnt(0)
	v_cvt_f32_f16_e32 v13, v6
.LBB16_8:
	s_or_b32 exec_lo, exec_lo, s5
	v_mov_b32_e32 v10, 0
	v_mov_b32_e32 v11, 0
	s_mov_b32 s5, exec_lo
	v_cmpx_lt_i32_e64 v16, v4
	s_cbranch_execz .LBB16_10
; %bb.9:
	v_add_nc_u32_e32 v17, s7, v16
	v_mov_b32_e32 v18, 0
	v_add_nc_u32_e32 v16, 0x100, v16
	v_lshlrev_b64 v[17:18], 1, v[17:18]
	v_add_co_u32 v17, s4, v2, v17
	v_add_co_ci_u32_e64 v18, null, v3, v18, s4
	flat_load_ushort v6, v[17:18]
	s_waitcnt vmcnt(0) lgkmcnt(0)
	v_cvt_f32_f16_e32 v11, v6
.LBB16_10:
	s_or_b32 exec_lo, exec_lo, s5
	s_mov_b32 s5, exec_lo
	v_cmpx_lt_i32_e64 v16, v4
	s_cbranch_execz .LBB16_12
; %bb.11:
	v_add_nc_u32_e32 v9, s7, v16
	v_mov_b32_e32 v10, 0
	v_add_nc_u32_e32 v16, 0x100, v16
	v_lshlrev_b64 v[9:10], 1, v[9:10]
	v_add_co_u32 v9, s4, v2, v9
	v_add_co_ci_u32_e64 v10, null, v3, v10, s4
	flat_load_ushort v6, v[9:10]
	s_waitcnt vmcnt(0) lgkmcnt(0)
	v_cvt_f32_f16_e32 v10, v6
.LBB16_12:
	s_or_b32 exec_lo, exec_lo, s5
	v_mov_b32_e32 v6, 0
	v_mov_b32_e32 v9, 0
	s_mov_b32 s5, exec_lo
	v_cmpx_lt_i32_e64 v16, v4
	s_cbranch_execz .LBB16_16
; %bb.13:
	v_add_nc_u32_e32 v17, s7, v16
	v_mov_b32_e32 v18, 0
	v_add_nc_u32_e32 v16, 0x100, v16
	v_lshlrev_b64 v[17:18], 1, v[17:18]
	v_add_co_u32 v17, s4, v2, v17
	v_add_co_ci_u32_e64 v18, null, v3, v18, s4
	flat_load_ushort v9, v[17:18]
	s_waitcnt vmcnt(0) lgkmcnt(0)
	v_cvt_f32_f16_e32 v9, v9
	s_or_b32 exec_lo, exec_lo, s5
	s_mov_b32 s5, exec_lo
	v_cmpx_lt_i32_e64 v16, v4
	s_cbranch_execnz .LBB16_17
.LBB16_14:
	s_or_b32 exec_lo, exec_lo, s5
                                        ; implicit-def: $vgpr2
	s_and_saveexec_b32 s8, vcc_lo
	s_cbranch_execnz .LBB16_18
.LBB16_15:
	s_or_b32 exec_lo, exec_lo, s8
	s_mov_b32 s8, exec_lo
                                        ; implicit-def: $vgpr3
	v_cmpx_lt_i32_e64 v8, v4
	s_cbranch_execz .LBB16_28
	s_branch .LBB16_23
.LBB16_16:
	s_or_b32 exec_lo, exec_lo, s5
	s_mov_b32 s5, exec_lo
	v_cmpx_lt_i32_e64 v16, v4
	s_cbranch_execz .LBB16_14
.LBB16_17:
	v_add_nc_u32_e32 v16, s7, v16
	v_mov_b32_e32 v17, 0
	v_lshlrev_b64 v[16:17], 1, v[16:17]
	v_add_co_u32 v2, s4, v2, v16
	v_add_co_ci_u32_e64 v3, null, v3, v17, s4
	flat_load_ushort v2, v[2:3]
	s_waitcnt vmcnt(0) lgkmcnt(0)
	v_cvt_f32_f16_e32 v6, v2
	s_or_b32 exec_lo, exec_lo, s5
                                        ; implicit-def: $vgpr2
	s_and_saveexec_b32 s8, vcc_lo
	s_cbranch_execz .LBB16_15
.LBB16_18:
	v_and_b32_e32 v2, 0x7fffffff, v15
                                        ; implicit-def: $vgpr16
                                        ; implicit-def: $vgpr3
	s_mov_b32 s5, exec_lo
	v_cmpx_ngt_f32_e64 0x48000000, |v15|
	s_xor_b32 s9, exec_lo, s5
	s_cbranch_execz .LBB16_20
; %bb.19:
	s_mov_b32 s4, 0x7fffff
	v_mov_b32_e32 v18, 0
	v_and_or_b32 v3, v2, s4, 0x800000
	v_lshrrev_b32_e32 v23, 23, v2
	v_mad_u64_u32 v[16:17], null, 0xfe5163ab, v3, 0
	v_add_nc_u32_e32 v24, 0xffffff88, v23
	v_cmp_lt_u32_e64 s4, 63, v24
	v_mad_u64_u32 v[19:20], null, 0x3c439041, v3, v[17:18]
	v_cndmask_b32_e64 v25, 0, 0xffffffc0, s4
	v_mov_b32_e32 v17, v20
	v_add_nc_u32_e32 v25, v25, v24
	v_mad_u64_u32 v[20:21], null, 0xdb629599, v3, v[17:18]
	v_cmp_lt_u32_e64 s5, 31, v25
	v_cndmask_b32_e64 v26, 0, 0xffffffe0, s5
	v_mov_b32_e32 v17, v21
	v_cndmask_b32_e64 v16, v20, v16, s4
	v_mad_u64_u32 v[21:22], null, 0xf534ddc0, v3, v[17:18]
	v_mov_b32_e32 v17, v22
	v_cndmask_b32_e64 v19, v21, v19, s4
	v_mad_u64_u32 v[22:23], null, 0xfc2757d1, v3, v[17:18]
	v_cndmask_b32_e64 v16, v19, v16, s5
	v_mov_b32_e32 v17, v23
	v_mad_u64_u32 v[23:24], null, 0x4e441529, v3, v[17:18]
	v_mov_b32_e32 v17, v24
	v_add_nc_u32_e32 v24, v26, v25
	v_cndmask_b32_e64 v25, v23, v21, s4
	v_mad_u64_u32 v[17:18], null, 0xa2f9836e, v3, v[17:18]
	v_cmp_lt_u32_e64 s6, 31, v24
	v_cndmask_b32_e64 v3, 0, 0xffffffe0, s6
	v_cndmask_b32_e64 v17, v17, v22, s4
	;; [unrolled: 1-line block ×4, first 2 shown]
	v_add_nc_u32_e32 v3, v3, v24
	v_cndmask_b32_e64 v21, v17, v25, s5
	v_cndmask_b32_e64 v17, v18, v17, s5
	;; [unrolled: 1-line block ×4, first 2 shown]
	v_sub_nc_u32_e32 v23, 32, v3
	v_cmp_eq_u32_e64 s4, 0, v3
	v_cndmask_b32_e64 v17, v17, v21, s6
	v_cndmask_b32_e64 v21, v21, v18, s6
	;; [unrolled: 1-line block ×4, first 2 shown]
	v_alignbit_b32 v24, v17, v21, v23
	v_alignbit_b32 v20, v21, v18, v23
	;; [unrolled: 1-line block ×3, first 2 shown]
	v_cndmask_b32_e64 v3, v24, v17, s4
	v_cndmask_b32_e64 v17, v20, v21, s4
	;; [unrolled: 1-line block ×3, first 2 shown]
	v_bfe_u32 v19, v3, 29, 1
	v_alignbit_b32 v20, v3, v17, 30
	v_alignbit_b32 v17, v17, v18, 30
	;; [unrolled: 1-line block ×3, first 2 shown]
	v_sub_nc_u32_e32 v21, 0, v19
	v_xor_b32_e32 v20, v20, v21
	v_xor_b32_e32 v17, v17, v21
	;; [unrolled: 1-line block ×3, first 2 shown]
	v_lshrrev_b32_e32 v21, 29, v3
	v_ffbh_u32_e32 v22, v20
	v_min_u32_e32 v22, 32, v22
	v_sub_nc_u32_e32 v18, 31, v22
	v_lshlrev_b32_e32 v23, 23, v22
	v_alignbit_b32 v20, v20, v17, v18
	v_alignbit_b32 v16, v17, v16, v18
	v_lshlrev_b32_e32 v17, 31, v21
	v_alignbit_b32 v18, v20, v16, 9
	v_or_b32_e32 v21, 0.5, v17
	v_lshrrev_b32_e32 v20, 9, v20
	v_or_b32_e32 v17, 0x33000000, v17
	v_ffbh_u32_e32 v24, v18
	v_sub_nc_u32_e32 v21, v21, v23
	v_min_u32_e32 v23, 32, v24
	v_or_b32_e32 v20, v20, v21
	v_not_b32_e32 v21, v23
	v_mul_f32_e32 v24, 0x3fc90fda, v20
	v_add_lshl_u32 v22, v23, v22, 23
	v_alignbit_b32 v16, v18, v16, v21
	v_fma_f32 v18, 0x3fc90fda, v20, -v24
	v_sub_nc_u32_e32 v17, v17, v22
	v_lshrrev_b32_e32 v16, 9, v16
	v_fmamk_f32 v18, v20, 0x33a22168, v18
	v_or_b32_e32 v16, v17, v16
	v_fmac_f32_e32 v18, 0x3fc90fda, v16
	v_lshrrev_b32_e32 v16, 30, v3
	v_add_f32_e32 v3, v24, v18
	v_add_nc_u32_e32 v16, v19, v16
.LBB16_20:
	s_andn2_saveexec_b32 s4, s9
; %bb.21:
	v_mul_f32_e64 v3, 0x3f22f983, |v15|
	v_rndne_f32_e32 v16, v3
	v_fma_f32 v3, 0xbfc90fda, v16, |v15|
	v_fmamk_f32 v3, v16, 0xb3a22168, v3
	v_fmamk_f32 v3, v16, 0xa7c234c4, v3
	v_cvt_i32_f32_e32 v16, v16
; %bb.22:
	s_or_b32 exec_lo, exec_lo, s4
	v_mul_f32_e32 v17, v3, v3
	s_mov_b32 s4, 0xb94c1982
	s_mov_b32 s5, 0x37d75334
	v_and_b32_e32 v20, 1, v16
	v_lshlrev_b32_e32 v16, 30, v16
	v_fmaak_f32 v18, s4, v17, 0x3c0881c4
	v_fmaak_f32 v19, s5, v17, 0xbab64f3b
	v_xor_b32_e32 v2, v2, v15
	v_cmp_eq_u32_e64 s4, 0, v20
	v_and_b32_e32 v16, 0x80000000, v16
	v_fmaak_f32 v18, v17, v18, 0xbe2aaa9d
	v_fmaak_f32 v19, v17, v19, 0x3d2aabf7
	v_mul_f32_e32 v18, v17, v18
	v_fmaak_f32 v19, v17, v19, 0xbf000004
	v_fmac_f32_e32 v3, v3, v18
	v_fma_f32 v17, v17, v19, 1.0
	v_cndmask_b32_e64 v3, v17, v3, s4
	v_cmp_class_f32_e64 s4, v15, 0x1f8
	v_xor3_b32 v2, v2, v16, v3
	v_cndmask_b32_e64 v2, 0x7fc00000, v2, s4
	v_cvt_f16_f32_e32 v2, v2
	s_or_b32 exec_lo, exec_lo, s8
	s_mov_b32 s8, exec_lo
                                        ; implicit-def: $vgpr3
	v_cmpx_lt_i32_e64 v8, v4
	s_cbranch_execz .LBB16_28
.LBB16_23:
	v_and_b32_e32 v3, 0x7fffffff, v12
                                        ; implicit-def: $vgpr16
                                        ; implicit-def: $vgpr15
	s_mov_b32 s5, exec_lo
	v_cmpx_ngt_f32_e64 0x48000000, |v12|
	s_xor_b32 s9, exec_lo, s5
	s_cbranch_execz .LBB16_25
; %bb.24:
	s_mov_b32 s4, 0x7fffff
	v_mov_b32_e32 v17, 0
	v_and_or_b32 v24, v3, s4, 0x800000
	v_lshrrev_b32_e32 v22, 23, v3
	v_mad_u64_u32 v[15:16], null, 0xfe5163ab, v24, 0
	v_add_nc_u32_e32 v23, 0xffffff88, v22
	v_cmp_lt_u32_e64 s4, 63, v23
	v_mad_u64_u32 v[18:19], null, 0x3c439041, v24, v[16:17]
	v_cndmask_b32_e64 v25, 0, 0xffffffc0, s4
	v_mov_b32_e32 v16, v19
	v_add_nc_u32_e32 v25, v25, v23
	v_mad_u64_u32 v[19:20], null, 0xdb629599, v24, v[16:17]
	v_cmp_lt_u32_e64 s5, 31, v25
	v_cndmask_b32_e64 v26, 0, 0xffffffe0, s5
	v_mov_b32_e32 v16, v20
	v_cndmask_b32_e64 v15, v19, v15, s4
	v_mad_u64_u32 v[20:21], null, 0xf534ddc0, v24, v[16:17]
	v_mov_b32_e32 v16, v21
	v_cndmask_b32_e64 v18, v20, v18, s4
	v_mad_u64_u32 v[21:22], null, 0xfc2757d1, v24, v[16:17]
	v_cndmask_b32_e64 v15, v18, v15, s5
	v_mov_b32_e32 v16, v22
	v_mad_u64_u32 v[22:23], null, 0x4e441529, v24, v[16:17]
	v_mov_b32_e32 v16, v23
	v_add_nc_u32_e32 v23, v26, v25
	v_cndmask_b32_e64 v25, v22, v20, s4
	v_mad_u64_u32 v[16:17], null, 0xa2f9836e, v24, v[16:17]
	v_cmp_lt_u32_e64 s6, 31, v23
	v_cndmask_b32_e64 v24, 0, 0xffffffe0, s6
	v_cndmask_b32_e64 v16, v16, v21, s4
	;; [unrolled: 1-line block ×4, first 2 shown]
	v_add_nc_u32_e32 v22, v24, v23
	v_cndmask_b32_e64 v20, v16, v25, s5
	v_cndmask_b32_e64 v16, v17, v16, s5
	;; [unrolled: 1-line block ×4, first 2 shown]
	v_sub_nc_u32_e32 v23, 32, v22
	v_cmp_eq_u32_e64 s4, 0, v22
	v_cndmask_b32_e64 v16, v16, v20, s6
	v_cndmask_b32_e64 v20, v20, v17, s6
	;; [unrolled: 1-line block ×4, first 2 shown]
	v_alignbit_b32 v24, v16, v20, v23
	v_alignbit_b32 v19, v20, v17, v23
	;; [unrolled: 1-line block ×3, first 2 shown]
	v_cndmask_b32_e64 v16, v24, v16, s4
	v_cndmask_b32_e64 v18, v19, v20, s4
	;; [unrolled: 1-line block ×3, first 2 shown]
	v_bfe_u32 v19, v16, 29, 1
	v_alignbit_b32 v20, v16, v18, 30
	v_alignbit_b32 v18, v18, v17, 30
	;; [unrolled: 1-line block ×3, first 2 shown]
	v_sub_nc_u32_e32 v21, 0, v19
	v_xor_b32_e32 v20, v20, v21
	v_xor_b32_e32 v17, v18, v21
	;; [unrolled: 1-line block ×3, first 2 shown]
	v_lshrrev_b32_e32 v21, 29, v16
	v_lshrrev_b32_e32 v16, 30, v16
	v_ffbh_u32_e32 v22, v20
	v_add_nc_u32_e32 v16, v19, v16
	v_min_u32_e32 v22, 32, v22
	v_sub_nc_u32_e32 v18, 31, v22
	v_lshlrev_b32_e32 v23, 23, v22
	v_alignbit_b32 v20, v20, v17, v18
	v_alignbit_b32 v15, v17, v15, v18
	v_lshlrev_b32_e32 v17, 31, v21
	v_alignbit_b32 v18, v20, v15, 9
	v_or_b32_e32 v21, 0.5, v17
	v_lshrrev_b32_e32 v20, 9, v20
	v_or_b32_e32 v17, 0x33000000, v17
	v_ffbh_u32_e32 v24, v18
	v_sub_nc_u32_e32 v21, v21, v23
	v_min_u32_e32 v23, 32, v24
	v_or_b32_e32 v20, v20, v21
	v_not_b32_e32 v21, v23
	v_mul_f32_e32 v24, 0x3fc90fda, v20
	v_add_lshl_u32 v22, v23, v22, 23
	v_alignbit_b32 v15, v18, v15, v21
	v_fma_f32 v18, 0x3fc90fda, v20, -v24
	v_sub_nc_u32_e32 v17, v17, v22
	v_lshrrev_b32_e32 v15, 9, v15
	v_fmamk_f32 v18, v20, 0x33a22168, v18
	v_or_b32_e32 v15, v17, v15
	v_fmac_f32_e32 v18, 0x3fc90fda, v15
	v_add_f32_e32 v15, v24, v18
.LBB16_25:
	s_andn2_saveexec_b32 s4, s9
; %bb.26:
	v_mul_f32_e64 v15, 0x3f22f983, |v12|
	v_rndne_f32_e32 v16, v15
	v_fma_f32 v15, 0xbfc90fda, v16, |v12|
	v_fmamk_f32 v15, v16, 0xb3a22168, v15
	v_fmamk_f32 v15, v16, 0xa7c234c4, v15
	v_cvt_i32_f32_e32 v16, v16
; %bb.27:
	s_or_b32 exec_lo, exec_lo, s4
	v_mul_f32_e32 v17, v15, v15
	s_mov_b32 s4, 0xb94c1982
	s_mov_b32 s5, 0x37d75334
	v_and_b32_e32 v20, 1, v16
	v_lshlrev_b32_e32 v16, 30, v16
	v_fmaak_f32 v18, s4, v17, 0x3c0881c4
	v_fmaak_f32 v19, s5, v17, 0xbab64f3b
	v_xor_b32_e32 v3, v3, v12
	v_cmp_eq_u32_e64 s4, 0, v20
	v_and_b32_e32 v16, 0x80000000, v16
	v_fmaak_f32 v18, v17, v18, 0xbe2aaa9d
	v_fmaak_f32 v19, v17, v19, 0x3d2aabf7
	v_mul_f32_e32 v18, v17, v18
	v_fmaak_f32 v19, v17, v19, 0xbf000004
	v_fmac_f32_e32 v15, v15, v18
	v_fma_f32 v17, v17, v19, 1.0
	v_cndmask_b32_e64 v15, v17, v15, s4
	v_cmp_class_f32_e64 s4, v12, 0x1f8
	v_xor3_b32 v3, v3, v16, v15
	v_cndmask_b32_e64 v3, 0x7fc00000, v3, s4
	v_cvt_f16_f32_e32 v3, v3
.LBB16_28:
	s_or_b32 exec_lo, exec_lo, s8
	v_add_nc_u32_e32 v12, 0x200, v7
	v_cmp_lt_i32_e64 s4, v12, v4
                                        ; implicit-def: $vgpr12
	s_and_saveexec_b32 s8, s4
	s_cbranch_execz .LBB16_34
; %bb.29:
	v_and_b32_e32 v12, 0x7fffffff, v14
                                        ; implicit-def: $vgpr16
                                        ; implicit-def: $vgpr15
	s_mov_b32 s5, exec_lo
	v_cmpx_ngt_f32_e64 0x48000000, |v14|
	s_xor_b32 s9, exec_lo, s5
	s_cbranch_execz .LBB16_31
; %bb.30:
	s_mov_b32 s4, 0x7fffff
	v_mov_b32_e32 v17, 0
	v_and_or_b32 v24, v12, s4, 0x800000
	v_lshrrev_b32_e32 v22, 23, v12
	v_mad_u64_u32 v[15:16], null, 0xfe5163ab, v24, 0
	v_add_nc_u32_e32 v23, 0xffffff88, v22
	v_cmp_lt_u32_e64 s4, 63, v23
	v_mad_u64_u32 v[18:19], null, 0x3c439041, v24, v[16:17]
	v_cndmask_b32_e64 v25, 0, 0xffffffc0, s4
	v_mov_b32_e32 v16, v19
	v_add_nc_u32_e32 v25, v25, v23
	v_mad_u64_u32 v[19:20], null, 0xdb629599, v24, v[16:17]
	v_cmp_lt_u32_e64 s5, 31, v25
	v_cndmask_b32_e64 v26, 0, 0xffffffe0, s5
	v_mov_b32_e32 v16, v20
	v_cndmask_b32_e64 v15, v19, v15, s4
	v_mad_u64_u32 v[20:21], null, 0xf534ddc0, v24, v[16:17]
	v_mov_b32_e32 v16, v21
	v_cndmask_b32_e64 v18, v20, v18, s4
	v_mad_u64_u32 v[21:22], null, 0xfc2757d1, v24, v[16:17]
	v_cndmask_b32_e64 v15, v18, v15, s5
	v_mov_b32_e32 v16, v22
	v_mad_u64_u32 v[22:23], null, 0x4e441529, v24, v[16:17]
	v_mov_b32_e32 v16, v23
	v_add_nc_u32_e32 v23, v26, v25
	v_cndmask_b32_e64 v25, v22, v20, s4
	v_mad_u64_u32 v[16:17], null, 0xa2f9836e, v24, v[16:17]
	v_cmp_lt_u32_e64 s6, 31, v23
	v_cndmask_b32_e64 v24, 0, 0xffffffe0, s6
	v_cndmask_b32_e64 v16, v16, v21, s4
	;; [unrolled: 1-line block ×4, first 2 shown]
	v_add_nc_u32_e32 v22, v24, v23
	v_cndmask_b32_e64 v20, v16, v25, s5
	v_cndmask_b32_e64 v16, v17, v16, s5
	;; [unrolled: 1-line block ×4, first 2 shown]
	v_sub_nc_u32_e32 v23, 32, v22
	v_cmp_eq_u32_e64 s4, 0, v22
	v_cndmask_b32_e64 v16, v16, v20, s6
	v_cndmask_b32_e64 v20, v20, v17, s6
	;; [unrolled: 1-line block ×4, first 2 shown]
	v_alignbit_b32 v24, v16, v20, v23
	v_alignbit_b32 v19, v20, v17, v23
	;; [unrolled: 1-line block ×3, first 2 shown]
	v_cndmask_b32_e64 v16, v24, v16, s4
	v_cndmask_b32_e64 v18, v19, v20, s4
	;; [unrolled: 1-line block ×3, first 2 shown]
	v_bfe_u32 v19, v16, 29, 1
	v_alignbit_b32 v20, v16, v18, 30
	v_alignbit_b32 v18, v18, v17, 30
	v_alignbit_b32 v15, v17, v15, 30
	v_sub_nc_u32_e32 v21, 0, v19
	v_xor_b32_e32 v20, v20, v21
	v_xor_b32_e32 v17, v18, v21
	;; [unrolled: 1-line block ×3, first 2 shown]
	v_lshrrev_b32_e32 v21, 29, v16
	v_lshrrev_b32_e32 v16, 30, v16
	v_ffbh_u32_e32 v22, v20
	v_add_nc_u32_e32 v16, v19, v16
	v_min_u32_e32 v22, 32, v22
	v_sub_nc_u32_e32 v18, 31, v22
	v_lshlrev_b32_e32 v23, 23, v22
	v_alignbit_b32 v20, v20, v17, v18
	v_alignbit_b32 v15, v17, v15, v18
	v_lshlrev_b32_e32 v17, 31, v21
	v_alignbit_b32 v18, v20, v15, 9
	v_or_b32_e32 v21, 0.5, v17
	v_lshrrev_b32_e32 v20, 9, v20
	v_or_b32_e32 v17, 0x33000000, v17
	v_ffbh_u32_e32 v24, v18
	v_sub_nc_u32_e32 v21, v21, v23
	v_min_u32_e32 v23, 32, v24
	v_or_b32_e32 v20, v20, v21
	v_not_b32_e32 v21, v23
	v_mul_f32_e32 v24, 0x3fc90fda, v20
	v_add_lshl_u32 v22, v23, v22, 23
	v_alignbit_b32 v15, v18, v15, v21
	v_fma_f32 v18, 0x3fc90fda, v20, -v24
	v_sub_nc_u32_e32 v17, v17, v22
	v_lshrrev_b32_e32 v15, 9, v15
	v_fmamk_f32 v18, v20, 0x33a22168, v18
	v_or_b32_e32 v15, v17, v15
	v_fmac_f32_e32 v18, 0x3fc90fda, v15
	v_add_f32_e32 v15, v24, v18
.LBB16_31:
	s_andn2_saveexec_b32 s4, s9
; %bb.32:
	v_mul_f32_e64 v15, 0x3f22f983, |v14|
	v_rndne_f32_e32 v16, v15
	v_fma_f32 v15, 0xbfc90fda, v16, |v14|
	v_fmamk_f32 v15, v16, 0xb3a22168, v15
	v_fmamk_f32 v15, v16, 0xa7c234c4, v15
	v_cvt_i32_f32_e32 v16, v16
; %bb.33:
	s_or_b32 exec_lo, exec_lo, s4
	v_mul_f32_e32 v17, v15, v15
	s_mov_b32 s4, 0xb94c1982
	s_mov_b32 s5, 0x37d75334
	v_and_b32_e32 v20, 1, v16
	v_lshlrev_b32_e32 v16, 30, v16
	v_fmaak_f32 v18, s4, v17, 0x3c0881c4
	v_fmaak_f32 v19, s5, v17, 0xbab64f3b
	v_xor_b32_e32 v12, v12, v14
	v_cmp_eq_u32_e64 s4, 0, v20
	v_and_b32_e32 v16, 0x80000000, v16
	v_fmaak_f32 v18, v17, v18, 0xbe2aaa9d
	v_fmaak_f32 v19, v17, v19, 0x3d2aabf7
	v_mul_f32_e32 v18, v17, v18
	v_fmaak_f32 v19, v17, v19, 0xbf000004
	v_fmac_f32_e32 v15, v15, v18
	v_fma_f32 v17, v17, v19, 1.0
	v_cndmask_b32_e64 v15, v17, v15, s4
	v_cmp_class_f32_e64 s4, v14, 0x1f8
	v_xor3_b32 v12, v12, v16, v15
	v_cndmask_b32_e64 v12, 0x7fc00000, v12, s4
	v_cvt_f16_f32_e32 v12, v12
.LBB16_34:
	s_or_b32 exec_lo, exec_lo, s8
	v_add_nc_u32_e32 v14, 0x300, v7
	v_cmp_lt_i32_e64 s4, v14, v4
                                        ; implicit-def: $vgpr14
	s_and_saveexec_b32 s8, s4
	s_cbranch_execz .LBB16_40
; %bb.35:
	v_and_b32_e32 v14, 0x7fffffff, v13
                                        ; implicit-def: $vgpr16
                                        ; implicit-def: $vgpr15
	s_mov_b32 s5, exec_lo
	v_cmpx_ngt_f32_e64 0x48000000, |v13|
	s_xor_b32 s9, exec_lo, s5
	s_cbranch_execz .LBB16_37
; %bb.36:
	s_mov_b32 s4, 0x7fffff
	v_mov_b32_e32 v17, 0
	v_and_or_b32 v24, v14, s4, 0x800000
	v_lshrrev_b32_e32 v22, 23, v14
	v_mad_u64_u32 v[15:16], null, 0xfe5163ab, v24, 0
	v_add_nc_u32_e32 v23, 0xffffff88, v22
	v_cmp_lt_u32_e64 s4, 63, v23
	v_mad_u64_u32 v[18:19], null, 0x3c439041, v24, v[16:17]
	v_cndmask_b32_e64 v25, 0, 0xffffffc0, s4
	v_mov_b32_e32 v16, v19
	v_add_nc_u32_e32 v25, v25, v23
	v_mad_u64_u32 v[19:20], null, 0xdb629599, v24, v[16:17]
	v_cmp_lt_u32_e64 s5, 31, v25
	v_cndmask_b32_e64 v26, 0, 0xffffffe0, s5
	v_mov_b32_e32 v16, v20
	v_cndmask_b32_e64 v15, v19, v15, s4
	v_mad_u64_u32 v[20:21], null, 0xf534ddc0, v24, v[16:17]
	v_mov_b32_e32 v16, v21
	v_cndmask_b32_e64 v18, v20, v18, s4
	v_mad_u64_u32 v[21:22], null, 0xfc2757d1, v24, v[16:17]
	v_cndmask_b32_e64 v15, v18, v15, s5
	v_mov_b32_e32 v16, v22
	v_mad_u64_u32 v[22:23], null, 0x4e441529, v24, v[16:17]
	v_mov_b32_e32 v16, v23
	v_add_nc_u32_e32 v23, v26, v25
	v_cndmask_b32_e64 v25, v22, v20, s4
	v_mad_u64_u32 v[16:17], null, 0xa2f9836e, v24, v[16:17]
	v_cmp_lt_u32_e64 s6, 31, v23
	v_cndmask_b32_e64 v24, 0, 0xffffffe0, s6
	v_cndmask_b32_e64 v16, v16, v21, s4
	;; [unrolled: 1-line block ×4, first 2 shown]
	v_add_nc_u32_e32 v22, v24, v23
	v_cndmask_b32_e64 v20, v16, v25, s5
	v_cndmask_b32_e64 v16, v17, v16, s5
	;; [unrolled: 1-line block ×4, first 2 shown]
	v_sub_nc_u32_e32 v23, 32, v22
	v_cmp_eq_u32_e64 s4, 0, v22
	v_cndmask_b32_e64 v16, v16, v20, s6
	v_cndmask_b32_e64 v20, v20, v17, s6
	;; [unrolled: 1-line block ×4, first 2 shown]
	v_alignbit_b32 v24, v16, v20, v23
	v_alignbit_b32 v19, v20, v17, v23
	;; [unrolled: 1-line block ×3, first 2 shown]
	v_cndmask_b32_e64 v16, v24, v16, s4
	v_cndmask_b32_e64 v18, v19, v20, s4
	;; [unrolled: 1-line block ×3, first 2 shown]
	v_bfe_u32 v19, v16, 29, 1
	v_alignbit_b32 v20, v16, v18, 30
	v_alignbit_b32 v18, v18, v17, 30
	;; [unrolled: 1-line block ×3, first 2 shown]
	v_sub_nc_u32_e32 v21, 0, v19
	v_xor_b32_e32 v20, v20, v21
	v_xor_b32_e32 v17, v18, v21
	;; [unrolled: 1-line block ×3, first 2 shown]
	v_lshrrev_b32_e32 v21, 29, v16
	v_lshrrev_b32_e32 v16, 30, v16
	v_ffbh_u32_e32 v22, v20
	v_add_nc_u32_e32 v16, v19, v16
	v_min_u32_e32 v22, 32, v22
	v_sub_nc_u32_e32 v18, 31, v22
	v_lshlrev_b32_e32 v23, 23, v22
	v_alignbit_b32 v20, v20, v17, v18
	v_alignbit_b32 v15, v17, v15, v18
	v_lshlrev_b32_e32 v17, 31, v21
	v_alignbit_b32 v18, v20, v15, 9
	v_or_b32_e32 v21, 0.5, v17
	v_lshrrev_b32_e32 v20, 9, v20
	v_or_b32_e32 v17, 0x33000000, v17
	v_ffbh_u32_e32 v24, v18
	v_sub_nc_u32_e32 v21, v21, v23
	v_min_u32_e32 v23, 32, v24
	v_or_b32_e32 v20, v20, v21
	v_not_b32_e32 v21, v23
	v_mul_f32_e32 v24, 0x3fc90fda, v20
	v_add_lshl_u32 v22, v23, v22, 23
	v_alignbit_b32 v15, v18, v15, v21
	v_fma_f32 v18, 0x3fc90fda, v20, -v24
	v_sub_nc_u32_e32 v17, v17, v22
	v_lshrrev_b32_e32 v15, 9, v15
	v_fmamk_f32 v18, v20, 0x33a22168, v18
	v_or_b32_e32 v15, v17, v15
	v_fmac_f32_e32 v18, 0x3fc90fda, v15
	v_add_f32_e32 v15, v24, v18
.LBB16_37:
	s_andn2_saveexec_b32 s4, s9
; %bb.38:
	v_mul_f32_e64 v15, 0x3f22f983, |v13|
	v_rndne_f32_e32 v16, v15
	v_fma_f32 v15, 0xbfc90fda, v16, |v13|
	v_fmamk_f32 v15, v16, 0xb3a22168, v15
	v_fmamk_f32 v15, v16, 0xa7c234c4, v15
	v_cvt_i32_f32_e32 v16, v16
; %bb.39:
	s_or_b32 exec_lo, exec_lo, s4
	v_mul_f32_e32 v17, v15, v15
	s_mov_b32 s4, 0xb94c1982
	s_mov_b32 s5, 0x37d75334
	v_and_b32_e32 v20, 1, v16
	v_lshlrev_b32_e32 v16, 30, v16
	v_fmaak_f32 v18, s4, v17, 0x3c0881c4
	v_fmaak_f32 v19, s5, v17, 0xbab64f3b
	v_xor_b32_e32 v14, v14, v13
	v_cmp_eq_u32_e64 s4, 0, v20
	v_and_b32_e32 v16, 0x80000000, v16
	v_fmaak_f32 v18, v17, v18, 0xbe2aaa9d
	v_fmaak_f32 v19, v17, v19, 0x3d2aabf7
	v_mul_f32_e32 v18, v17, v18
	v_fmaak_f32 v19, v17, v19, 0xbf000004
	v_fmac_f32_e32 v15, v15, v18
	v_fma_f32 v17, v17, v19, 1.0
	v_cndmask_b32_e64 v15, v17, v15, s4
	v_cmp_class_f32_e64 s4, v13, 0x1f8
	v_xor3_b32 v14, v14, v16, v15
	v_cndmask_b32_e64 v13, 0x7fc00000, v14, s4
	v_cvt_f16_f32_e32 v14, v13
.LBB16_40:
	s_or_b32 exec_lo, exec_lo, s8
	v_or_b32_e32 v13, 0x400, v7
	v_cmp_lt_i32_e64 s4, v13, v4
                                        ; implicit-def: $vgpr13
	s_and_saveexec_b32 s8, s4
	s_cbranch_execz .LBB16_46
; %bb.41:
	v_and_b32_e32 v13, 0x7fffffff, v11
                                        ; implicit-def: $vgpr16
                                        ; implicit-def: $vgpr15
	s_mov_b32 s5, exec_lo
	v_cmpx_ngt_f32_e64 0x48000000, |v11|
	s_xor_b32 s9, exec_lo, s5
	s_cbranch_execz .LBB16_43
; %bb.42:
	s_mov_b32 s4, 0x7fffff
	v_mov_b32_e32 v17, 0
	v_and_or_b32 v24, v13, s4, 0x800000
	v_lshrrev_b32_e32 v22, 23, v13
	v_mad_u64_u32 v[15:16], null, 0xfe5163ab, v24, 0
	v_add_nc_u32_e32 v23, 0xffffff88, v22
	v_cmp_lt_u32_e64 s4, 63, v23
	v_mad_u64_u32 v[18:19], null, 0x3c439041, v24, v[16:17]
	v_cndmask_b32_e64 v25, 0, 0xffffffc0, s4
	v_mov_b32_e32 v16, v19
	v_add_nc_u32_e32 v25, v25, v23
	v_mad_u64_u32 v[19:20], null, 0xdb629599, v24, v[16:17]
	v_cmp_lt_u32_e64 s5, 31, v25
	v_cndmask_b32_e64 v26, 0, 0xffffffe0, s5
	v_mov_b32_e32 v16, v20
	v_cndmask_b32_e64 v15, v19, v15, s4
	v_mad_u64_u32 v[20:21], null, 0xf534ddc0, v24, v[16:17]
	v_mov_b32_e32 v16, v21
	v_cndmask_b32_e64 v18, v20, v18, s4
	v_mad_u64_u32 v[21:22], null, 0xfc2757d1, v24, v[16:17]
	v_cndmask_b32_e64 v15, v18, v15, s5
	v_mov_b32_e32 v16, v22
	v_mad_u64_u32 v[22:23], null, 0x4e441529, v24, v[16:17]
	v_mov_b32_e32 v16, v23
	v_add_nc_u32_e32 v23, v26, v25
	v_cndmask_b32_e64 v25, v22, v20, s4
	v_mad_u64_u32 v[16:17], null, 0xa2f9836e, v24, v[16:17]
	v_cmp_lt_u32_e64 s6, 31, v23
	v_cndmask_b32_e64 v24, 0, 0xffffffe0, s6
	v_cndmask_b32_e64 v16, v16, v21, s4
	;; [unrolled: 1-line block ×4, first 2 shown]
	v_add_nc_u32_e32 v22, v24, v23
	v_cndmask_b32_e64 v20, v16, v25, s5
	v_cndmask_b32_e64 v16, v17, v16, s5
	;; [unrolled: 1-line block ×4, first 2 shown]
	v_sub_nc_u32_e32 v23, 32, v22
	v_cmp_eq_u32_e64 s4, 0, v22
	v_cndmask_b32_e64 v16, v16, v20, s6
	v_cndmask_b32_e64 v20, v20, v17, s6
	;; [unrolled: 1-line block ×4, first 2 shown]
	v_alignbit_b32 v24, v16, v20, v23
	v_alignbit_b32 v19, v20, v17, v23
	v_alignbit_b32 v22, v17, v15, v23
	v_cndmask_b32_e64 v16, v24, v16, s4
	v_cndmask_b32_e64 v18, v19, v20, s4
	;; [unrolled: 1-line block ×3, first 2 shown]
	v_bfe_u32 v19, v16, 29, 1
	v_alignbit_b32 v20, v16, v18, 30
	v_alignbit_b32 v18, v18, v17, 30
	;; [unrolled: 1-line block ×3, first 2 shown]
	v_sub_nc_u32_e32 v21, 0, v19
	v_xor_b32_e32 v20, v20, v21
	v_xor_b32_e32 v17, v18, v21
	;; [unrolled: 1-line block ×3, first 2 shown]
	v_lshrrev_b32_e32 v21, 29, v16
	v_lshrrev_b32_e32 v16, 30, v16
	v_ffbh_u32_e32 v22, v20
	v_add_nc_u32_e32 v16, v19, v16
	v_min_u32_e32 v22, 32, v22
	v_sub_nc_u32_e32 v18, 31, v22
	v_lshlrev_b32_e32 v23, 23, v22
	v_alignbit_b32 v20, v20, v17, v18
	v_alignbit_b32 v15, v17, v15, v18
	v_lshlrev_b32_e32 v17, 31, v21
	v_alignbit_b32 v18, v20, v15, 9
	v_or_b32_e32 v21, 0.5, v17
	v_lshrrev_b32_e32 v20, 9, v20
	v_or_b32_e32 v17, 0x33000000, v17
	v_ffbh_u32_e32 v24, v18
	v_sub_nc_u32_e32 v21, v21, v23
	v_min_u32_e32 v23, 32, v24
	v_or_b32_e32 v20, v20, v21
	v_not_b32_e32 v21, v23
	v_mul_f32_e32 v24, 0x3fc90fda, v20
	v_add_lshl_u32 v22, v23, v22, 23
	v_alignbit_b32 v15, v18, v15, v21
	v_fma_f32 v18, 0x3fc90fda, v20, -v24
	v_sub_nc_u32_e32 v17, v17, v22
	v_lshrrev_b32_e32 v15, 9, v15
	v_fmamk_f32 v18, v20, 0x33a22168, v18
	v_or_b32_e32 v15, v17, v15
	v_fmac_f32_e32 v18, 0x3fc90fda, v15
	v_add_f32_e32 v15, v24, v18
.LBB16_43:
	s_andn2_saveexec_b32 s4, s9
; %bb.44:
	v_mul_f32_e64 v15, 0x3f22f983, |v11|
	v_rndne_f32_e32 v16, v15
	v_fma_f32 v15, 0xbfc90fda, v16, |v11|
	v_fmamk_f32 v15, v16, 0xb3a22168, v15
	v_fmamk_f32 v15, v16, 0xa7c234c4, v15
	v_cvt_i32_f32_e32 v16, v16
; %bb.45:
	s_or_b32 exec_lo, exec_lo, s4
	v_mul_f32_e32 v17, v15, v15
	s_mov_b32 s4, 0xb94c1982
	s_mov_b32 s5, 0x37d75334
	v_and_b32_e32 v20, 1, v16
	v_lshlrev_b32_e32 v16, 30, v16
	v_fmaak_f32 v18, s4, v17, 0x3c0881c4
	v_fmaak_f32 v19, s5, v17, 0xbab64f3b
	v_xor_b32_e32 v13, v13, v11
	v_cmp_eq_u32_e64 s4, 0, v20
	v_and_b32_e32 v16, 0x80000000, v16
	v_fmaak_f32 v18, v17, v18, 0xbe2aaa9d
	v_fmaak_f32 v19, v17, v19, 0x3d2aabf7
	v_mul_f32_e32 v18, v17, v18
	v_fmaak_f32 v19, v17, v19, 0xbf000004
	v_fmac_f32_e32 v15, v15, v18
	v_fma_f32 v17, v17, v19, 1.0
	v_cndmask_b32_e64 v15, v17, v15, s4
	v_cmp_class_f32_e64 s4, v11, 0x1f8
	v_xor3_b32 v13, v13, v16, v15
	v_cndmask_b32_e64 v11, 0x7fc00000, v13, s4
	v_cvt_f16_f32_e32 v13, v11
.LBB16_46:
	s_or_b32 exec_lo, exec_lo, s8
	v_add_nc_u32_e32 v11, 0x500, v7
	v_cmp_lt_i32_e64 s4, v11, v4
                                        ; implicit-def: $vgpr11
	s_and_saveexec_b32 s8, s4
	s_cbranch_execz .LBB16_52
; %bb.47:
	v_and_b32_e32 v11, 0x7fffffff, v10
                                        ; implicit-def: $vgpr16
                                        ; implicit-def: $vgpr15
	s_mov_b32 s5, exec_lo
	v_cmpx_ngt_f32_e64 0x48000000, |v10|
	s_xor_b32 s9, exec_lo, s5
	s_cbranch_execz .LBB16_49
; %bb.48:
	s_mov_b32 s4, 0x7fffff
	v_mov_b32_e32 v17, 0
	v_and_or_b32 v24, v11, s4, 0x800000
	v_lshrrev_b32_e32 v22, 23, v11
	v_mad_u64_u32 v[15:16], null, 0xfe5163ab, v24, 0
	v_add_nc_u32_e32 v23, 0xffffff88, v22
	v_cmp_lt_u32_e64 s4, 63, v23
	v_mad_u64_u32 v[18:19], null, 0x3c439041, v24, v[16:17]
	v_cndmask_b32_e64 v25, 0, 0xffffffc0, s4
	v_mov_b32_e32 v16, v19
	v_add_nc_u32_e32 v25, v25, v23
	v_mad_u64_u32 v[19:20], null, 0xdb629599, v24, v[16:17]
	v_cmp_lt_u32_e64 s5, 31, v25
	v_cndmask_b32_e64 v26, 0, 0xffffffe0, s5
	v_mov_b32_e32 v16, v20
	v_cndmask_b32_e64 v15, v19, v15, s4
	v_mad_u64_u32 v[20:21], null, 0xf534ddc0, v24, v[16:17]
	v_mov_b32_e32 v16, v21
	v_cndmask_b32_e64 v18, v20, v18, s4
	v_mad_u64_u32 v[21:22], null, 0xfc2757d1, v24, v[16:17]
	v_cndmask_b32_e64 v15, v18, v15, s5
	v_mov_b32_e32 v16, v22
	v_mad_u64_u32 v[22:23], null, 0x4e441529, v24, v[16:17]
	v_mov_b32_e32 v16, v23
	v_add_nc_u32_e32 v23, v26, v25
	v_cndmask_b32_e64 v25, v22, v20, s4
	v_mad_u64_u32 v[16:17], null, 0xa2f9836e, v24, v[16:17]
	v_cmp_lt_u32_e64 s6, 31, v23
	v_cndmask_b32_e64 v24, 0, 0xffffffe0, s6
	v_cndmask_b32_e64 v16, v16, v21, s4
	;; [unrolled: 1-line block ×4, first 2 shown]
	v_add_nc_u32_e32 v22, v24, v23
	v_cndmask_b32_e64 v20, v16, v25, s5
	v_cndmask_b32_e64 v16, v17, v16, s5
	;; [unrolled: 1-line block ×4, first 2 shown]
	v_sub_nc_u32_e32 v23, 32, v22
	v_cmp_eq_u32_e64 s4, 0, v22
	v_cndmask_b32_e64 v16, v16, v20, s6
	v_cndmask_b32_e64 v20, v20, v17, s6
	;; [unrolled: 1-line block ×4, first 2 shown]
	v_alignbit_b32 v24, v16, v20, v23
	v_alignbit_b32 v19, v20, v17, v23
	;; [unrolled: 1-line block ×3, first 2 shown]
	v_cndmask_b32_e64 v16, v24, v16, s4
	v_cndmask_b32_e64 v18, v19, v20, s4
	;; [unrolled: 1-line block ×3, first 2 shown]
	v_bfe_u32 v19, v16, 29, 1
	v_alignbit_b32 v20, v16, v18, 30
	v_alignbit_b32 v18, v18, v17, 30
	v_alignbit_b32 v15, v17, v15, 30
	v_sub_nc_u32_e32 v21, 0, v19
	v_xor_b32_e32 v20, v20, v21
	v_xor_b32_e32 v17, v18, v21
	;; [unrolled: 1-line block ×3, first 2 shown]
	v_lshrrev_b32_e32 v21, 29, v16
	v_lshrrev_b32_e32 v16, 30, v16
	v_ffbh_u32_e32 v22, v20
	v_add_nc_u32_e32 v16, v19, v16
	v_min_u32_e32 v22, 32, v22
	v_sub_nc_u32_e32 v18, 31, v22
	v_lshlrev_b32_e32 v23, 23, v22
	v_alignbit_b32 v20, v20, v17, v18
	v_alignbit_b32 v15, v17, v15, v18
	v_lshlrev_b32_e32 v17, 31, v21
	v_alignbit_b32 v18, v20, v15, 9
	v_or_b32_e32 v21, 0.5, v17
	v_lshrrev_b32_e32 v20, 9, v20
	v_or_b32_e32 v17, 0x33000000, v17
	v_ffbh_u32_e32 v24, v18
	v_sub_nc_u32_e32 v21, v21, v23
	v_min_u32_e32 v23, 32, v24
	v_or_b32_e32 v20, v20, v21
	v_not_b32_e32 v21, v23
	v_mul_f32_e32 v24, 0x3fc90fda, v20
	v_add_lshl_u32 v22, v23, v22, 23
	v_alignbit_b32 v15, v18, v15, v21
	v_fma_f32 v18, 0x3fc90fda, v20, -v24
	v_sub_nc_u32_e32 v17, v17, v22
	v_lshrrev_b32_e32 v15, 9, v15
	v_fmamk_f32 v18, v20, 0x33a22168, v18
	v_or_b32_e32 v15, v17, v15
	v_fmac_f32_e32 v18, 0x3fc90fda, v15
	v_add_f32_e32 v15, v24, v18
.LBB16_49:
	s_andn2_saveexec_b32 s4, s9
; %bb.50:
	v_mul_f32_e64 v15, 0x3f22f983, |v10|
	v_rndne_f32_e32 v16, v15
	v_fma_f32 v15, 0xbfc90fda, v16, |v10|
	v_fmamk_f32 v15, v16, 0xb3a22168, v15
	v_fmamk_f32 v15, v16, 0xa7c234c4, v15
	v_cvt_i32_f32_e32 v16, v16
; %bb.51:
	s_or_b32 exec_lo, exec_lo, s4
	v_mul_f32_e32 v17, v15, v15
	s_mov_b32 s4, 0xb94c1982
	s_mov_b32 s5, 0x37d75334
	v_and_b32_e32 v20, 1, v16
	v_lshlrev_b32_e32 v16, 30, v16
	v_fmaak_f32 v18, s4, v17, 0x3c0881c4
	v_fmaak_f32 v19, s5, v17, 0xbab64f3b
	v_xor_b32_e32 v11, v11, v10
	v_cmp_eq_u32_e64 s4, 0, v20
	v_and_b32_e32 v16, 0x80000000, v16
	v_fmaak_f32 v18, v17, v18, 0xbe2aaa9d
	v_fmaak_f32 v19, v17, v19, 0x3d2aabf7
	v_mul_f32_e32 v18, v17, v18
	v_fmaak_f32 v19, v17, v19, 0xbf000004
	v_fmac_f32_e32 v15, v15, v18
	v_fma_f32 v17, v17, v19, 1.0
	v_cndmask_b32_e64 v15, v17, v15, s4
	v_cmp_class_f32_e64 s4, v10, 0x1f8
	v_xor3_b32 v11, v11, v16, v15
	v_cndmask_b32_e64 v10, 0x7fc00000, v11, s4
	v_cvt_f16_f32_e32 v11, v10
.LBB16_52:
	s_or_b32 exec_lo, exec_lo, s8
	v_add_nc_u32_e32 v10, 0x600, v7
	v_cmp_lt_i32_e64 s4, v10, v4
                                        ; implicit-def: $vgpr10
	s_and_saveexec_b32 s8, s4
	s_cbranch_execz .LBB16_58
; %bb.53:
	v_and_b32_e32 v10, 0x7fffffff, v9
                                        ; implicit-def: $vgpr16
                                        ; implicit-def: $vgpr15
	s_mov_b32 s5, exec_lo
	v_cmpx_ngt_f32_e64 0x48000000, |v9|
	s_xor_b32 s9, exec_lo, s5
	s_cbranch_execz .LBB16_55
; %bb.54:
	s_mov_b32 s4, 0x7fffff
	v_mov_b32_e32 v17, 0
	v_and_or_b32 v24, v10, s4, 0x800000
	v_lshrrev_b32_e32 v22, 23, v10
	v_mad_u64_u32 v[15:16], null, 0xfe5163ab, v24, 0
	v_add_nc_u32_e32 v23, 0xffffff88, v22
	v_cmp_lt_u32_e64 s4, 63, v23
	v_mad_u64_u32 v[18:19], null, 0x3c439041, v24, v[16:17]
	v_cndmask_b32_e64 v25, 0, 0xffffffc0, s4
	v_mov_b32_e32 v16, v19
	v_add_nc_u32_e32 v25, v25, v23
	v_mad_u64_u32 v[19:20], null, 0xdb629599, v24, v[16:17]
	v_cmp_lt_u32_e64 s5, 31, v25
	v_cndmask_b32_e64 v26, 0, 0xffffffe0, s5
	v_mov_b32_e32 v16, v20
	v_cndmask_b32_e64 v15, v19, v15, s4
	v_mad_u64_u32 v[20:21], null, 0xf534ddc0, v24, v[16:17]
	v_mov_b32_e32 v16, v21
	v_cndmask_b32_e64 v18, v20, v18, s4
	v_mad_u64_u32 v[21:22], null, 0xfc2757d1, v24, v[16:17]
	v_cndmask_b32_e64 v15, v18, v15, s5
	v_mov_b32_e32 v16, v22
	v_mad_u64_u32 v[22:23], null, 0x4e441529, v24, v[16:17]
	v_mov_b32_e32 v16, v23
	v_add_nc_u32_e32 v23, v26, v25
	v_cndmask_b32_e64 v25, v22, v20, s4
	v_mad_u64_u32 v[16:17], null, 0xa2f9836e, v24, v[16:17]
	v_cmp_lt_u32_e64 s6, 31, v23
	v_cndmask_b32_e64 v24, 0, 0xffffffe0, s6
	v_cndmask_b32_e64 v16, v16, v21, s4
	;; [unrolled: 1-line block ×4, first 2 shown]
	v_add_nc_u32_e32 v22, v24, v23
	v_cndmask_b32_e64 v20, v16, v25, s5
	v_cndmask_b32_e64 v16, v17, v16, s5
	;; [unrolled: 1-line block ×4, first 2 shown]
	v_sub_nc_u32_e32 v23, 32, v22
	v_cmp_eq_u32_e64 s4, 0, v22
	v_cndmask_b32_e64 v16, v16, v20, s6
	v_cndmask_b32_e64 v20, v20, v17, s6
	;; [unrolled: 1-line block ×4, first 2 shown]
	v_alignbit_b32 v24, v16, v20, v23
	v_alignbit_b32 v19, v20, v17, v23
	;; [unrolled: 1-line block ×3, first 2 shown]
	v_cndmask_b32_e64 v16, v24, v16, s4
	v_cndmask_b32_e64 v18, v19, v20, s4
	v_cndmask_b32_e64 v17, v22, v17, s4
	v_bfe_u32 v19, v16, 29, 1
	v_alignbit_b32 v20, v16, v18, 30
	v_alignbit_b32 v18, v18, v17, 30
	;; [unrolled: 1-line block ×3, first 2 shown]
	v_sub_nc_u32_e32 v21, 0, v19
	v_xor_b32_e32 v20, v20, v21
	v_xor_b32_e32 v17, v18, v21
	;; [unrolled: 1-line block ×3, first 2 shown]
	v_lshrrev_b32_e32 v21, 29, v16
	v_lshrrev_b32_e32 v16, 30, v16
	v_ffbh_u32_e32 v22, v20
	v_add_nc_u32_e32 v16, v19, v16
	v_min_u32_e32 v22, 32, v22
	v_sub_nc_u32_e32 v18, 31, v22
	v_lshlrev_b32_e32 v23, 23, v22
	v_alignbit_b32 v20, v20, v17, v18
	v_alignbit_b32 v15, v17, v15, v18
	v_lshlrev_b32_e32 v17, 31, v21
	v_alignbit_b32 v18, v20, v15, 9
	v_or_b32_e32 v21, 0.5, v17
	v_lshrrev_b32_e32 v20, 9, v20
	v_or_b32_e32 v17, 0x33000000, v17
	v_ffbh_u32_e32 v24, v18
	v_sub_nc_u32_e32 v21, v21, v23
	v_min_u32_e32 v23, 32, v24
	v_or_b32_e32 v20, v20, v21
	v_not_b32_e32 v21, v23
	v_mul_f32_e32 v24, 0x3fc90fda, v20
	v_add_lshl_u32 v22, v23, v22, 23
	v_alignbit_b32 v15, v18, v15, v21
	v_fma_f32 v18, 0x3fc90fda, v20, -v24
	v_sub_nc_u32_e32 v17, v17, v22
	v_lshrrev_b32_e32 v15, 9, v15
	v_fmamk_f32 v18, v20, 0x33a22168, v18
	v_or_b32_e32 v15, v17, v15
	v_fmac_f32_e32 v18, 0x3fc90fda, v15
	v_add_f32_e32 v15, v24, v18
.LBB16_55:
	s_andn2_saveexec_b32 s4, s9
; %bb.56:
	v_mul_f32_e64 v15, 0x3f22f983, |v9|
	v_rndne_f32_e32 v16, v15
	v_fma_f32 v15, 0xbfc90fda, v16, |v9|
	v_fmamk_f32 v15, v16, 0xb3a22168, v15
	v_fmamk_f32 v15, v16, 0xa7c234c4, v15
	v_cvt_i32_f32_e32 v16, v16
; %bb.57:
	s_or_b32 exec_lo, exec_lo, s4
	v_mul_f32_e32 v17, v15, v15
	s_mov_b32 s4, 0xb94c1982
	s_mov_b32 s5, 0x37d75334
	v_and_b32_e32 v20, 1, v16
	v_lshlrev_b32_e32 v16, 30, v16
	v_fmaak_f32 v18, s4, v17, 0x3c0881c4
	v_fmaak_f32 v19, s5, v17, 0xbab64f3b
	v_xor_b32_e32 v10, v10, v9
	v_cmp_eq_u32_e64 s4, 0, v20
	v_and_b32_e32 v16, 0x80000000, v16
	v_fmaak_f32 v18, v17, v18, 0xbe2aaa9d
	v_fmaak_f32 v19, v17, v19, 0x3d2aabf7
	v_mul_f32_e32 v18, v17, v18
	v_fmaak_f32 v19, v17, v19, 0xbf000004
	v_fmac_f32_e32 v15, v15, v18
	v_fma_f32 v17, v17, v19, 1.0
	v_cndmask_b32_e64 v15, v17, v15, s4
	v_cmp_class_f32_e64 s4, v9, 0x1f8
	v_xor3_b32 v10, v10, v16, v15
	v_cndmask_b32_e64 v9, 0x7fc00000, v10, s4
	v_cvt_f16_f32_e32 v10, v9
.LBB16_58:
	s_or_b32 exec_lo, exec_lo, s8
	v_add_nc_u32_e32 v9, 0x700, v7
	v_cmp_lt_i32_e64 s4, v9, v4
                                        ; implicit-def: $vgpr9
	s_and_saveexec_b32 s8, s4
	s_cbranch_execz .LBB16_72
; %bb.59:
	v_and_b32_e32 v9, 0x7fffffff, v6
                                        ; implicit-def: $vgpr16
                                        ; implicit-def: $vgpr15
	s_mov_b32 s5, exec_lo
	v_cmpx_ngt_f32_e64 0x48000000, |v6|
	s_xor_b32 s9, exec_lo, s5
	s_cbranch_execz .LBB16_61
; %bb.60:
	s_mov_b32 s4, 0x7fffff
	v_mov_b32_e32 v17, 0
	v_and_or_b32 v24, v9, s4, 0x800000
	v_lshrrev_b32_e32 v22, 23, v9
	v_mad_u64_u32 v[15:16], null, 0xfe5163ab, v24, 0
	v_add_nc_u32_e32 v23, 0xffffff88, v22
	v_cmp_lt_u32_e64 s4, 63, v23
	v_mad_u64_u32 v[18:19], null, 0x3c439041, v24, v[16:17]
	v_cndmask_b32_e64 v25, 0, 0xffffffc0, s4
	v_mov_b32_e32 v16, v19
	v_add_nc_u32_e32 v25, v25, v23
	v_mad_u64_u32 v[19:20], null, 0xdb629599, v24, v[16:17]
	v_cmp_lt_u32_e64 s5, 31, v25
	v_cndmask_b32_e64 v26, 0, 0xffffffe0, s5
	v_mov_b32_e32 v16, v20
	v_cndmask_b32_e64 v15, v19, v15, s4
	v_mad_u64_u32 v[20:21], null, 0xf534ddc0, v24, v[16:17]
	v_mov_b32_e32 v16, v21
	v_cndmask_b32_e64 v18, v20, v18, s4
	v_mad_u64_u32 v[21:22], null, 0xfc2757d1, v24, v[16:17]
	v_cndmask_b32_e64 v15, v18, v15, s5
	v_mov_b32_e32 v16, v22
	v_mad_u64_u32 v[22:23], null, 0x4e441529, v24, v[16:17]
	v_mov_b32_e32 v16, v23
	v_add_nc_u32_e32 v23, v26, v25
	v_cndmask_b32_e64 v25, v22, v20, s4
	v_mad_u64_u32 v[16:17], null, 0xa2f9836e, v24, v[16:17]
	v_cmp_lt_u32_e64 s6, 31, v23
	v_cndmask_b32_e64 v24, 0, 0xffffffe0, s6
	v_cndmask_b32_e64 v16, v16, v21, s4
	;; [unrolled: 1-line block ×4, first 2 shown]
	v_add_nc_u32_e32 v22, v24, v23
	v_cndmask_b32_e64 v20, v16, v25, s5
	v_cndmask_b32_e64 v16, v17, v16, s5
	;; [unrolled: 1-line block ×4, first 2 shown]
	v_sub_nc_u32_e32 v23, 32, v22
	v_cmp_eq_u32_e64 s4, 0, v22
	v_cndmask_b32_e64 v16, v16, v20, s6
	v_cndmask_b32_e64 v20, v20, v17, s6
	v_cndmask_b32_e64 v17, v17, v21, s6
	v_cndmask_b32_e64 v15, v21, v15, s6
	v_alignbit_b32 v24, v16, v20, v23
	v_alignbit_b32 v19, v20, v17, v23
	v_alignbit_b32 v22, v17, v15, v23
	v_cndmask_b32_e64 v16, v24, v16, s4
	v_cndmask_b32_e64 v18, v19, v20, s4
	;; [unrolled: 1-line block ×3, first 2 shown]
	v_bfe_u32 v19, v16, 29, 1
	v_alignbit_b32 v20, v16, v18, 30
	v_alignbit_b32 v18, v18, v17, 30
	;; [unrolled: 1-line block ×3, first 2 shown]
	v_sub_nc_u32_e32 v21, 0, v19
	v_xor_b32_e32 v20, v20, v21
	v_xor_b32_e32 v17, v18, v21
	;; [unrolled: 1-line block ×3, first 2 shown]
	v_lshrrev_b32_e32 v21, 29, v16
	v_lshrrev_b32_e32 v16, 30, v16
	v_ffbh_u32_e32 v22, v20
	v_add_nc_u32_e32 v16, v19, v16
	v_min_u32_e32 v22, 32, v22
	v_sub_nc_u32_e32 v18, 31, v22
	v_lshlrev_b32_e32 v23, 23, v22
	v_alignbit_b32 v20, v20, v17, v18
	v_alignbit_b32 v15, v17, v15, v18
	v_lshlrev_b32_e32 v17, 31, v21
	v_alignbit_b32 v18, v20, v15, 9
	v_or_b32_e32 v21, 0.5, v17
	v_lshrrev_b32_e32 v20, 9, v20
	v_or_b32_e32 v17, 0x33000000, v17
	v_ffbh_u32_e32 v24, v18
	v_sub_nc_u32_e32 v21, v21, v23
	v_min_u32_e32 v23, 32, v24
	v_or_b32_e32 v20, v20, v21
	v_not_b32_e32 v21, v23
	v_mul_f32_e32 v24, 0x3fc90fda, v20
	v_add_lshl_u32 v22, v23, v22, 23
	v_alignbit_b32 v15, v18, v15, v21
	v_fma_f32 v18, 0x3fc90fda, v20, -v24
	v_sub_nc_u32_e32 v17, v17, v22
	v_lshrrev_b32_e32 v15, 9, v15
	v_fmamk_f32 v18, v20, 0x33a22168, v18
	v_or_b32_e32 v15, v17, v15
	v_fmac_f32_e32 v18, 0x3fc90fda, v15
	v_add_f32_e32 v15, v24, v18
.LBB16_61:
	s_andn2_saveexec_b32 s4, s9
; %bb.62:
	v_mul_f32_e64 v15, 0x3f22f983, |v6|
	v_rndne_f32_e32 v16, v15
	v_fma_f32 v15, 0xbfc90fda, v16, |v6|
	v_fmamk_f32 v15, v16, 0xb3a22168, v15
	v_fmamk_f32 v15, v16, 0xa7c234c4, v15
	v_cvt_i32_f32_e32 v16, v16
; %bb.63:
	s_or_b32 exec_lo, exec_lo, s4
	v_mul_f32_e32 v17, v15, v15
	s_mov_b32 s4, 0xb94c1982
	s_mov_b32 s5, 0x37d75334
	v_and_b32_e32 v20, 1, v16
	v_lshlrev_b32_e32 v16, 30, v16
	v_fmaak_f32 v18, s4, v17, 0x3c0881c4
	v_fmaak_f32 v19, s5, v17, 0xbab64f3b
	v_xor_b32_e32 v9, v9, v6
	v_cmp_eq_u32_e64 s4, 0, v20
	v_and_b32_e32 v16, 0x80000000, v16
	v_fmaak_f32 v18, v17, v18, 0xbe2aaa9d
	v_fmaak_f32 v19, v17, v19, 0x3d2aabf7
	v_mul_f32_e32 v18, v17, v18
	v_fmaak_f32 v19, v17, v19, 0xbf000004
	v_fmac_f32_e32 v15, v15, v18
	v_fma_f32 v17, v17, v19, 1.0
	v_cndmask_b32_e64 v15, v17, v15, s4
	v_cmp_class_f32_e64 s4, v6, 0x1f8
	v_xor3_b32 v9, v9, v16, v15
	v_cndmask_b32_e64 v6, 0x7fc00000, v9, s4
	v_cvt_f16_f32_e32 v9, v6
	s_or_b32 exec_lo, exec_lo, s8
	s_and_saveexec_b32 s4, vcc_lo
	s_xor_b32 s4, exec_lo, s4
	s_cbranch_execnz .LBB16_73
.LBB16_64:
	s_or_b32 exec_lo, exec_lo, s4
	s_mov_b32 s4, exec_lo
	v_cmpx_lt_i32_e64 v7, v4
	s_cbranch_execz .LBB16_74
.LBB16_65:
	v_add_nc_u32_e32 v5, s7, v7
	v_mov_b32_e32 v6, 0
	v_add_nc_u32_e32 v7, 0x100, v7
	v_lshlrev_b64 v[5:6], 1, v[5:6]
	v_add_co_u32 v5, vcc_lo, v0, v5
	v_add_co_ci_u32_e64 v6, null, v1, v6, vcc_lo
	flat_store_short v[5:6], v3
	s_or_b32 exec_lo, exec_lo, s4
	s_mov_b32 s4, exec_lo
	v_cmpx_lt_i32_e64 v7, v4
	s_cbranch_execnz .LBB16_75
.LBB16_66:
	s_or_b32 exec_lo, exec_lo, s4
	s_mov_b32 s4, exec_lo
	v_cmpx_lt_i32_e64 v7, v4
	s_cbranch_execz .LBB16_76
.LBB16_67:
	v_add_nc_u32_e32 v2, s7, v7
	v_mov_b32_e32 v3, 0
	v_add_nc_u32_e32 v7, 0x100, v7
	v_lshlrev_b64 v[2:3], 1, v[2:3]
	v_add_co_u32 v2, vcc_lo, v0, v2
	v_add_co_ci_u32_e64 v3, null, v1, v3, vcc_lo
	flat_store_short v[2:3], v14
	s_or_b32 exec_lo, exec_lo, s4
	s_mov_b32 s4, exec_lo
	v_cmpx_lt_i32_e64 v7, v4
	s_cbranch_execnz .LBB16_77
.LBB16_68:
	s_or_b32 exec_lo, exec_lo, s4
	s_mov_b32 s4, exec_lo
	v_cmpx_lt_i32_e64 v7, v4
	s_cbranch_execz .LBB16_78
.LBB16_69:
	v_add_nc_u32_e32 v2, s7, v7
	v_mov_b32_e32 v3, 0
	v_add_nc_u32_e32 v7, 0x100, v7
	v_lshlrev_b64 v[2:3], 1, v[2:3]
	v_add_co_u32 v2, vcc_lo, v0, v2
	v_add_co_ci_u32_e64 v3, null, v1, v3, vcc_lo
	flat_store_short v[2:3], v11
	s_or_b32 exec_lo, exec_lo, s4
	s_mov_b32 s4, exec_lo
	v_cmpx_lt_i32_e64 v7, v4
	s_cbranch_execnz .LBB16_79
.LBB16_70:
	s_or_b32 exec_lo, exec_lo, s4
	s_mov_b32 s4, exec_lo
	v_cmpx_lt_i32_e64 v7, v4
	s_cbranch_execz .LBB16_80
.LBB16_71:
	v_add_nc_u32_e32 v2, s7, v7
	v_mov_b32_e32 v3, 0
	v_lshlrev_b64 v[2:3], 1, v[2:3]
	v_add_co_u32 v0, vcc_lo, v0, v2
	v_add_co_ci_u32_e64 v1, null, v1, v3, vcc_lo
	flat_store_short v[0:1], v9
	s_or_b32 exec_lo, exec_lo, s4
	s_waitcnt lgkmcnt(0)
	s_setpc_b64 s[30:31]
.LBB16_72:
	s_or_b32 exec_lo, exec_lo, s8
	s_and_saveexec_b32 s4, vcc_lo
	s_xor_b32 s4, exec_lo, s4
	s_cbranch_execz .LBB16_64
.LBB16_73:
	v_mov_b32_e32 v6, 0
	v_mov_b32_e32 v7, v8
	v_lshlrev_b64 v[5:6], 1, v[5:6]
	v_add_co_u32 v5, vcc_lo, v0, v5
	v_add_co_ci_u32_e64 v6, null, v1, v6, vcc_lo
	flat_store_short v[5:6], v2
	s_or_b32 exec_lo, exec_lo, s4
	s_mov_b32 s4, exec_lo
	v_cmpx_lt_i32_e64 v7, v4
	s_cbranch_execnz .LBB16_65
.LBB16_74:
	s_or_b32 exec_lo, exec_lo, s4
	s_mov_b32 s4, exec_lo
	v_cmpx_lt_i32_e64 v7, v4
	s_cbranch_execz .LBB16_66
.LBB16_75:
	v_add_nc_u32_e32 v2, s7, v7
	v_mov_b32_e32 v3, 0
	v_add_nc_u32_e32 v7, 0x100, v7
	v_lshlrev_b64 v[2:3], 1, v[2:3]
	v_add_co_u32 v2, vcc_lo, v0, v2
	v_add_co_ci_u32_e64 v3, null, v1, v3, vcc_lo
	flat_store_short v[2:3], v12
	s_or_b32 exec_lo, exec_lo, s4
	s_mov_b32 s4, exec_lo
	v_cmpx_lt_i32_e64 v7, v4
	s_cbranch_execnz .LBB16_67
.LBB16_76:
	s_or_b32 exec_lo, exec_lo, s4
	s_mov_b32 s4, exec_lo
	v_cmpx_lt_i32_e64 v7, v4
	s_cbranch_execz .LBB16_68
.LBB16_77:
	v_add_nc_u32_e32 v2, s7, v7
	v_mov_b32_e32 v3, 0
	v_add_nc_u32_e32 v7, 0x100, v7
	v_lshlrev_b64 v[2:3], 1, v[2:3]
	v_add_co_u32 v2, vcc_lo, v0, v2
	v_add_co_ci_u32_e64 v3, null, v1, v3, vcc_lo
	flat_store_short v[2:3], v13
	s_or_b32 exec_lo, exec_lo, s4
	s_mov_b32 s4, exec_lo
	v_cmpx_lt_i32_e64 v7, v4
	s_cbranch_execnz .LBB16_69
.LBB16_78:
	s_or_b32 exec_lo, exec_lo, s4
	s_mov_b32 s4, exec_lo
	v_cmpx_lt_i32_e64 v7, v4
	s_cbranch_execz .LBB16_70
.LBB16_79:
	v_add_nc_u32_e32 v2, s7, v7
	v_mov_b32_e32 v3, 0
	v_add_nc_u32_e32 v7, 0x100, v7
	v_lshlrev_b64 v[2:3], 1, v[2:3]
	v_add_co_u32 v2, vcc_lo, v0, v2
	v_add_co_ci_u32_e64 v3, null, v1, v3, vcc_lo
	flat_store_short v[2:3], v10
	s_or_b32 exec_lo, exec_lo, s4
	s_mov_b32 s4, exec_lo
	v_cmpx_lt_i32_e64 v7, v4
	s_cbranch_execnz .LBB16_71
.LBB16_80:
	s_or_b32 exec_lo, exec_lo, s4
	s_waitcnt lgkmcnt(0)
	s_setpc_b64 s[30:31]
.Lfunc_end16:
	.size	_ZN2at6native25elementwise_kernel_helperILb0EZZZNS0_15sin_kernel_cudaERNS_18TensorIteratorBaseEENKUlvE0_clEvENKUlvE1_clEvEUlN3c104HalfEE_NS0_6memory8policies11unroll_baseILi256ESt5arrayIPcLm2EE23TrivialOffsetCalculatorILi1EjESG_NS9_15LoadWithoutCastENS9_16StoreWithoutCastELi8ELi1EEEEEvT0_T1_, .Lfunc_end16-_ZN2at6native25elementwise_kernel_helperILb0EZZZNS0_15sin_kernel_cudaERNS_18TensorIteratorBaseEENKUlvE0_clEvENKUlvE1_clEvEUlN3c104HalfEE_NS0_6memory8policies11unroll_baseILi256ESt5arrayIPcLm2EE23TrivialOffsetCalculatorILi1EjESG_NS9_15LoadWithoutCastENS9_16StoreWithoutCastELi8ELi1EEEEEvT0_T1_
                                        ; -- End function
	.set .L_ZN2at6native25elementwise_kernel_helperILb0EZZZNS0_15sin_kernel_cudaERNS_18TensorIteratorBaseEENKUlvE0_clEvENKUlvE1_clEvEUlN3c104HalfEE_NS0_6memory8policies11unroll_baseILi256ESt5arrayIPcLm2EE23TrivialOffsetCalculatorILi1EjESG_NS9_15LoadWithoutCastENS9_16StoreWithoutCastELi8ELi1EEEEEvT0_T1_.num_vgpr, 32
	.set .L_ZN2at6native25elementwise_kernel_helperILb0EZZZNS0_15sin_kernel_cudaERNS_18TensorIteratorBaseEENKUlvE0_clEvENKUlvE1_clEvEUlN3c104HalfEE_NS0_6memory8policies11unroll_baseILi256ESt5arrayIPcLm2EE23TrivialOffsetCalculatorILi1EjESG_NS9_15LoadWithoutCastENS9_16StoreWithoutCastELi8ELi1EEEEEvT0_T1_.num_agpr, 0
	.set .L_ZN2at6native25elementwise_kernel_helperILb0EZZZNS0_15sin_kernel_cudaERNS_18TensorIteratorBaseEENKUlvE0_clEvENKUlvE1_clEvEUlN3c104HalfEE_NS0_6memory8policies11unroll_baseILi256ESt5arrayIPcLm2EE23TrivialOffsetCalculatorILi1EjESG_NS9_15LoadWithoutCastENS9_16StoreWithoutCastELi8ELi1EEEEEvT0_T1_.numbered_sgpr, 32
	.set .L_ZN2at6native25elementwise_kernel_helperILb0EZZZNS0_15sin_kernel_cudaERNS_18TensorIteratorBaseEENKUlvE0_clEvENKUlvE1_clEvEUlN3c104HalfEE_NS0_6memory8policies11unroll_baseILi256ESt5arrayIPcLm2EE23TrivialOffsetCalculatorILi1EjESG_NS9_15LoadWithoutCastENS9_16StoreWithoutCastELi8ELi1EEEEEvT0_T1_.num_named_barrier, 0
	.set .L_ZN2at6native25elementwise_kernel_helperILb0EZZZNS0_15sin_kernel_cudaERNS_18TensorIteratorBaseEENKUlvE0_clEvENKUlvE1_clEvEUlN3c104HalfEE_NS0_6memory8policies11unroll_baseILi256ESt5arrayIPcLm2EE23TrivialOffsetCalculatorILi1EjESG_NS9_15LoadWithoutCastENS9_16StoreWithoutCastELi8ELi1EEEEEvT0_T1_.private_seg_size, 0
	.set .L_ZN2at6native25elementwise_kernel_helperILb0EZZZNS0_15sin_kernel_cudaERNS_18TensorIteratorBaseEENKUlvE0_clEvENKUlvE1_clEvEUlN3c104HalfEE_NS0_6memory8policies11unroll_baseILi256ESt5arrayIPcLm2EE23TrivialOffsetCalculatorILi1EjESG_NS9_15LoadWithoutCastENS9_16StoreWithoutCastELi8ELi1EEEEEvT0_T1_.uses_vcc, 1
	.set .L_ZN2at6native25elementwise_kernel_helperILb0EZZZNS0_15sin_kernel_cudaERNS_18TensorIteratorBaseEENKUlvE0_clEvENKUlvE1_clEvEUlN3c104HalfEE_NS0_6memory8policies11unroll_baseILi256ESt5arrayIPcLm2EE23TrivialOffsetCalculatorILi1EjESG_NS9_15LoadWithoutCastENS9_16StoreWithoutCastELi8ELi1EEEEEvT0_T1_.uses_flat_scratch, 0
	.set .L_ZN2at6native25elementwise_kernel_helperILb0EZZZNS0_15sin_kernel_cudaERNS_18TensorIteratorBaseEENKUlvE0_clEvENKUlvE1_clEvEUlN3c104HalfEE_NS0_6memory8policies11unroll_baseILi256ESt5arrayIPcLm2EE23TrivialOffsetCalculatorILi1EjESG_NS9_15LoadWithoutCastENS9_16StoreWithoutCastELi8ELi1EEEEEvT0_T1_.has_dyn_sized_stack, 0
	.set .L_ZN2at6native25elementwise_kernel_helperILb0EZZZNS0_15sin_kernel_cudaERNS_18TensorIteratorBaseEENKUlvE0_clEvENKUlvE1_clEvEUlN3c104HalfEE_NS0_6memory8policies11unroll_baseILi256ESt5arrayIPcLm2EE23TrivialOffsetCalculatorILi1EjESG_NS9_15LoadWithoutCastENS9_16StoreWithoutCastELi8ELi1EEEEEvT0_T1_.has_recursion, 0
	.set .L_ZN2at6native25elementwise_kernel_helperILb0EZZZNS0_15sin_kernel_cudaERNS_18TensorIteratorBaseEENKUlvE0_clEvENKUlvE1_clEvEUlN3c104HalfEE_NS0_6memory8policies11unroll_baseILi256ESt5arrayIPcLm2EE23TrivialOffsetCalculatorILi1EjESG_NS9_15LoadWithoutCastENS9_16StoreWithoutCastELi8ELi1EEEEEvT0_T1_.has_indirect_call, 0
	.section	.AMDGPU.csdata,"",@progbits
; Function info:
; codeLenInByte = 8300
; TotalNumSgprs: 34
; NumVgprs: 32
; ScratchSize: 0
; MemoryBound: 0
	.text
	.p2align	2                               ; -- Begin function _ZN2at6native25elementwise_kernel_helperILb0EZZZNS0_15sin_kernel_cudaERNS_18TensorIteratorBaseEENKUlvE0_clEvENKUlvE1_clEvEUlN3c104HalfEE_NS0_6memory8policies10vectorizedILi8ESt5arrayIPcLm2EELi8EEEEEvT0_T1_
	.type	_ZN2at6native25elementwise_kernel_helperILb0EZZZNS0_15sin_kernel_cudaERNS_18TensorIteratorBaseEENKUlvE0_clEvENKUlvE1_clEvEUlN3c104HalfEE_NS0_6memory8policies10vectorizedILi8ESt5arrayIPcLm2EELi8EEEEEvT0_T1_,@function
_ZN2at6native25elementwise_kernel_helperILb0EZZZNS0_15sin_kernel_cudaERNS_18TensorIteratorBaseEENKUlvE0_clEvENKUlvE1_clEvEUlN3c104HalfEE_NS0_6memory8policies10vectorizedILi8ESt5arrayIPcLm2EELi8EEEEEvT0_T1_: ; @_ZN2at6native25elementwise_kernel_helperILb0EZZZNS0_15sin_kernel_cudaERNS_18TensorIteratorBaseEENKUlvE0_clEvENKUlvE1_clEvEUlN3c104HalfEE_NS0_6memory8policies10vectorizedILi8ESt5arrayIPcLm2EELi8EEEEEvT0_T1_
; %bb.0:
	s_waitcnt vmcnt(0) expcnt(0) lgkmcnt(0)
	s_lshl_b32 s4, s12, 11
	v_and_b32_e32 v4, 0x3ff, v31
	s_ashr_i32 s5, s4, 31
	v_mov_b32_e32 v7, 0
	s_lshl_b64 s[6:7], s[4:5], 1
                                        ; implicit-def: $vgpr11
                                        ; implicit-def: $vgpr6
	s_mov_b32 s5, exec_lo
	v_lshlrev_b32_e32 v8, 4, v4
	v_add_co_u32 v2, vcc_lo, v2, s6
	v_add_co_ci_u32_e64 v3, null, s7, v3, vcc_lo
	v_add_co_u32 v2, vcc_lo, v2, v8
	v_add_co_ci_u32_e64 v3, null, 0, v3, vcc_lo
	flat_load_dwordx4 v[2:5], v[2:3]
	s_waitcnt vmcnt(0) lgkmcnt(0)
	v_cvt_f32_f16_e32 v9, v2
	v_and_b32_e32 v10, 0x7fffffff, v9
	v_cmpx_ngt_f32_e64 0x48000000, |v9|
	s_xor_b32 s8, exec_lo, s5
	s_cbranch_execz .LBB17_2
; %bb.1:
	s_mov_b32 s4, 0x7fffff
	v_lshrrev_b32_e32 v16, 23, v10
	v_and_or_b32 v18, v10, s4, 0x800000
	v_add_nc_u32_e32 v17, 0xffffff88, v16
	v_mad_u64_u32 v[11:12], null, 0xfe5163ab, v18, 0
	v_cmp_lt_u32_e32 vcc_lo, 63, v17
	v_mov_b32_e32 v6, v12
	v_cndmask_b32_e64 v19, 0, 0xffffffc0, vcc_lo
	v_mad_u64_u32 v[12:13], null, 0x3c439041, v18, v[6:7]
	v_add_nc_u32_e32 v19, v19, v17
	v_cmp_lt_u32_e64 s4, 31, v19
	v_mov_b32_e32 v6, v13
	v_cndmask_b32_e64 v20, 0, 0xffffffe0, s4
	v_mad_u64_u32 v[13:14], null, 0xdb629599, v18, v[6:7]
	v_mov_b32_e32 v6, v14
	v_cndmask_b32_e32 v11, v13, v11, vcc_lo
	v_mad_u64_u32 v[14:15], null, 0xf534ddc0, v18, v[6:7]
	v_mov_b32_e32 v6, v15
	v_cndmask_b32_e32 v12, v14, v12, vcc_lo
	v_mad_u64_u32 v[15:16], null, 0xfc2757d1, v18, v[6:7]
	v_cndmask_b32_e64 v11, v12, v11, s4
	v_mov_b32_e32 v6, v16
	v_mad_u64_u32 v[16:17], null, 0x4e441529, v18, v[6:7]
	v_mov_b32_e32 v6, v17
	v_add_nc_u32_e32 v17, v20, v19
	v_cndmask_b32_e32 v19, v16, v14, vcc_lo
	v_mad_u64_u32 v[6:7], null, 0xa2f9836e, v18, v[6:7]
	v_cmp_lt_u32_e64 s5, 31, v17
	v_cndmask_b32_e64 v18, 0, 0xffffffe0, s5
	v_cndmask_b32_e32 v6, v6, v15, vcc_lo
	v_cndmask_b32_e32 v7, v7, v16, vcc_lo
	;; [unrolled: 1-line block ×3, first 2 shown]
	v_add_nc_u32_e32 v16, v18, v17
	v_cndmask_b32_e64 v14, v6, v19, s4
	v_cndmask_b32_e64 v6, v7, v6, s4
	;; [unrolled: 1-line block ×4, first 2 shown]
	v_sub_nc_u32_e32 v17, 32, v16
	v_cmp_eq_u32_e32 vcc_lo, 0, v16
	v_cndmask_b32_e64 v6, v6, v14, s5
	v_cndmask_b32_e64 v14, v14, v7, s5
	;; [unrolled: 1-line block ×4, first 2 shown]
	v_alignbit_b32 v18, v6, v14, v17
	v_alignbit_b32 v13, v14, v7, v17
	;; [unrolled: 1-line block ×3, first 2 shown]
	v_cndmask_b32_e32 v6, v18, v6, vcc_lo
	v_cndmask_b32_e32 v12, v13, v14, vcc_lo
	;; [unrolled: 1-line block ×3, first 2 shown]
	v_bfe_u32 v13, v6, 29, 1
	v_alignbit_b32 v14, v6, v12, 30
	v_alignbit_b32 v12, v12, v7, 30
	;; [unrolled: 1-line block ×3, first 2 shown]
	v_sub_nc_u32_e32 v15, 0, v13
	v_xor_b32_e32 v14, v14, v15
	v_xor_b32_e32 v11, v12, v15
	;; [unrolled: 1-line block ×3, first 2 shown]
	v_lshrrev_b32_e32 v15, 29, v6
	v_ffbh_u32_e32 v16, v14
	v_min_u32_e32 v16, 32, v16
	v_sub_nc_u32_e32 v12, 31, v16
	v_lshlrev_b32_e32 v17, 23, v16
	v_alignbit_b32 v14, v14, v11, v12
	v_alignbit_b32 v7, v11, v7, v12
	v_lshlrev_b32_e32 v11, 31, v15
	v_alignbit_b32 v12, v14, v7, 9
	v_or_b32_e32 v15, 0.5, v11
	v_lshrrev_b32_e32 v14, 9, v14
	v_or_b32_e32 v11, 0x33000000, v11
	v_ffbh_u32_e32 v18, v12
	v_sub_nc_u32_e32 v15, v15, v17
	v_min_u32_e32 v17, 32, v18
	v_or_b32_e32 v14, v14, v15
	v_not_b32_e32 v15, v17
	v_mul_f32_e32 v18, 0x3fc90fda, v14
	v_add_lshl_u32 v16, v17, v16, 23
	v_alignbit_b32 v7, v12, v7, v15
	v_fma_f32 v12, 0x3fc90fda, v14, -v18
	v_sub_nc_u32_e32 v11, v11, v16
	v_lshrrev_b32_e32 v7, 9, v7
	v_fmamk_f32 v12, v14, 0x33a22168, v12
	v_or_b32_e32 v7, v11, v7
	v_fmac_f32_e32 v12, 0x3fc90fda, v7
	v_lshrrev_b32_e32 v7, 30, v6
	v_add_f32_e32 v6, v18, v12
	v_add_nc_u32_e32 v11, v13, v7
.LBB17_2:
	s_andn2_saveexec_b32 s4, s8
; %bb.3:
	v_mul_f32_e64 v6, 0x3f22f983, |v9|
	v_rndne_f32_e32 v7, v6
	v_fma_f32 v6, 0xbfc90fda, v7, |v9|
	v_cvt_i32_f32_e32 v11, v7
	v_fmamk_f32 v6, v7, 0xb3a22168, v6
	v_fmamk_f32 v6, v7, 0xa7c234c4, v6
; %bb.4:
	s_or_b32 exec_lo, exec_lo, s4
	v_cvt_f32_f16_sdwa v2, v2 dst_sel:DWORD dst_unused:UNUSED_PAD src0_sel:WORD_1
                                        ; implicit-def: $vgpr15
                                        ; implicit-def: $vgpr13
	s_mov_b32 s5, exec_lo
	v_and_b32_e32 v7, 0x7fffffff, v2
	v_cmpx_ngt_f32_e64 0x48000000, |v2|
	s_xor_b32 s8, exec_lo, s5
	s_cbranch_execz .LBB17_6
; %bb.5:
	s_mov_b32 s4, 0x7fffff
	v_mov_b32_e32 v14, 0
	v_and_or_b32 v21, v7, s4, 0x800000
	v_lshrrev_b32_e32 v19, 23, v7
	v_mad_u64_u32 v[12:13], null, 0xfe5163ab, v21, 0
	v_add_nc_u32_e32 v20, 0xffffff88, v19
	v_cmp_lt_u32_e32 vcc_lo, 63, v20
	v_mad_u64_u32 v[15:16], null, 0x3c439041, v21, v[13:14]
	v_cndmask_b32_e64 v22, 0, 0xffffffc0, vcc_lo
	v_mov_b32_e32 v13, v16
	v_add_nc_u32_e32 v22, v22, v20
	v_mad_u64_u32 v[16:17], null, 0xdb629599, v21, v[13:14]
	v_cmp_lt_u32_e64 s4, 31, v22
	v_cndmask_b32_e64 v23, 0, 0xffffffe0, s4
	v_mov_b32_e32 v13, v17
	v_cndmask_b32_e32 v12, v16, v12, vcc_lo
	v_mad_u64_u32 v[17:18], null, 0xf534ddc0, v21, v[13:14]
	v_mov_b32_e32 v13, v18
	v_cndmask_b32_e32 v15, v17, v15, vcc_lo
	v_mad_u64_u32 v[18:19], null, 0xfc2757d1, v21, v[13:14]
	v_cndmask_b32_e64 v12, v15, v12, s4
	v_mov_b32_e32 v13, v19
	v_mad_u64_u32 v[19:20], null, 0x4e441529, v21, v[13:14]
	v_mov_b32_e32 v13, v20
	v_add_nc_u32_e32 v20, v23, v22
	v_cndmask_b32_e32 v22, v19, v17, vcc_lo
	v_mad_u64_u32 v[13:14], null, 0xa2f9836e, v21, v[13:14]
	v_cmp_lt_u32_e64 s5, 31, v20
	v_cndmask_b32_e64 v21, 0, 0xffffffe0, s5
	v_cndmask_b32_e32 v13, v13, v18, vcc_lo
	v_cndmask_b32_e32 v14, v14, v19, vcc_lo
	;; [unrolled: 1-line block ×3, first 2 shown]
	v_add_nc_u32_e32 v19, v21, v20
	v_cndmask_b32_e64 v17, v13, v22, s4
	v_cndmask_b32_e64 v13, v14, v13, s4
	;; [unrolled: 1-line block ×4, first 2 shown]
	v_sub_nc_u32_e32 v20, 32, v19
	v_cmp_eq_u32_e32 vcc_lo, 0, v19
	v_cndmask_b32_e64 v13, v13, v17, s5
	v_cndmask_b32_e64 v17, v17, v14, s5
	;; [unrolled: 1-line block ×4, first 2 shown]
	v_alignbit_b32 v21, v13, v17, v20
	v_alignbit_b32 v16, v17, v14, v20
	;; [unrolled: 1-line block ×3, first 2 shown]
	v_cndmask_b32_e32 v13, v21, v13, vcc_lo
	v_cndmask_b32_e32 v15, v16, v17, vcc_lo
	v_cndmask_b32_e32 v14, v19, v14, vcc_lo
	v_bfe_u32 v16, v13, 29, 1
	v_alignbit_b32 v17, v13, v15, 30
	v_alignbit_b32 v15, v15, v14, 30
	;; [unrolled: 1-line block ×3, first 2 shown]
	v_sub_nc_u32_e32 v18, 0, v16
	v_xor_b32_e32 v17, v17, v18
	v_xor_b32_e32 v14, v15, v18
	;; [unrolled: 1-line block ×3, first 2 shown]
	v_lshrrev_b32_e32 v18, 29, v13
	v_ffbh_u32_e32 v19, v17
	v_min_u32_e32 v19, 32, v19
	v_sub_nc_u32_e32 v15, 31, v19
	v_lshlrev_b32_e32 v20, 23, v19
	v_alignbit_b32 v17, v17, v14, v15
	v_alignbit_b32 v12, v14, v12, v15
	v_lshlrev_b32_e32 v14, 31, v18
	v_alignbit_b32 v15, v17, v12, 9
	v_or_b32_e32 v18, 0.5, v14
	v_lshrrev_b32_e32 v17, 9, v17
	v_or_b32_e32 v14, 0x33000000, v14
	v_ffbh_u32_e32 v21, v15
	v_sub_nc_u32_e32 v18, v18, v20
	v_min_u32_e32 v20, 32, v21
	v_or_b32_e32 v17, v17, v18
	v_not_b32_e32 v18, v20
	v_mul_f32_e32 v21, 0x3fc90fda, v17
	v_add_lshl_u32 v19, v20, v19, 23
	v_alignbit_b32 v12, v15, v12, v18
	v_fma_f32 v15, 0x3fc90fda, v17, -v21
	v_sub_nc_u32_e32 v14, v14, v19
	v_lshrrev_b32_e32 v12, 9, v12
	v_fmamk_f32 v15, v17, 0x33a22168, v15
	v_or_b32_e32 v12, v14, v12
	v_fmac_f32_e32 v15, 0x3fc90fda, v12
	v_lshrrev_b32_e32 v12, 30, v13
	v_add_f32_e32 v13, v21, v15
	v_add_nc_u32_e32 v15, v16, v12
.LBB17_6:
	s_andn2_saveexec_b32 s4, s8
; %bb.7:
	v_mul_f32_e64 v12, 0x3f22f983, |v2|
	v_rndne_f32_e32 v12, v12
	v_fma_f32 v13, 0xbfc90fda, v12, |v2|
	v_cvt_i32_f32_e32 v15, v12
	v_fmamk_f32 v13, v12, 0xb3a22168, v13
	v_fmamk_f32 v13, v12, 0xa7c234c4, v13
; %bb.8:
	s_or_b32 exec_lo, exec_lo, s4
	v_cvt_f32_f16_e32 v12, v3
                                        ; implicit-def: $vgpr18
                                        ; implicit-def: $vgpr16
	s_mov_b32 s5, exec_lo
	v_and_b32_e32 v14, 0x7fffffff, v12
	v_cmpx_ngt_f32_e64 0x48000000, |v12|
	s_xor_b32 s8, exec_lo, s5
	s_cbranch_execz .LBB17_10
; %bb.9:
	s_mov_b32 s4, 0x7fffff
	v_mov_b32_e32 v18, 0
	v_and_or_b32 v25, v14, s4, 0x800000
	v_lshrrev_b32_e32 v23, 23, v14
	v_mad_u64_u32 v[16:17], null, 0xfe5163ab, v25, 0
	v_add_nc_u32_e32 v24, 0xffffff88, v23
	v_cmp_lt_u32_e32 vcc_lo, 63, v24
	v_mad_u64_u32 v[19:20], null, 0x3c439041, v25, v[17:18]
	v_cndmask_b32_e64 v26, 0, 0xffffffc0, vcc_lo
	v_mov_b32_e32 v17, v20
	v_add_nc_u32_e32 v26, v26, v24
	v_mad_u64_u32 v[20:21], null, 0xdb629599, v25, v[17:18]
	v_cmp_lt_u32_e64 s4, 31, v26
	v_cndmask_b32_e64 v27, 0, 0xffffffe0, s4
	v_mov_b32_e32 v17, v21
	v_cndmask_b32_e32 v16, v20, v16, vcc_lo
	v_mad_u64_u32 v[21:22], null, 0xf534ddc0, v25, v[17:18]
	v_mov_b32_e32 v17, v22
	v_cndmask_b32_e32 v19, v21, v19, vcc_lo
	v_mad_u64_u32 v[22:23], null, 0xfc2757d1, v25, v[17:18]
	v_cndmask_b32_e64 v16, v19, v16, s4
	v_mov_b32_e32 v17, v23
	v_mad_u64_u32 v[23:24], null, 0x4e441529, v25, v[17:18]
	v_mov_b32_e32 v17, v24
	v_add_nc_u32_e32 v24, v27, v26
	v_cndmask_b32_e32 v26, v23, v21, vcc_lo
	v_mad_u64_u32 v[17:18], null, 0xa2f9836e, v25, v[17:18]
	v_cmp_lt_u32_e64 s5, 31, v24
	v_cndmask_b32_e64 v25, 0, 0xffffffe0, s5
	v_cndmask_b32_e32 v17, v17, v22, vcc_lo
	v_cndmask_b32_e32 v18, v18, v23, vcc_lo
	;; [unrolled: 1-line block ×3, first 2 shown]
	v_add_nc_u32_e32 v23, v25, v24
	v_cndmask_b32_e64 v21, v17, v26, s4
	v_cndmask_b32_e64 v17, v18, v17, s4
	;; [unrolled: 1-line block ×4, first 2 shown]
	v_sub_nc_u32_e32 v24, 32, v23
	v_cmp_eq_u32_e32 vcc_lo, 0, v23
	v_cndmask_b32_e64 v17, v17, v21, s5
	v_cndmask_b32_e64 v21, v21, v18, s5
	;; [unrolled: 1-line block ×4, first 2 shown]
	v_alignbit_b32 v25, v17, v21, v24
	v_alignbit_b32 v20, v21, v18, v24
	;; [unrolled: 1-line block ×3, first 2 shown]
	v_cndmask_b32_e32 v17, v25, v17, vcc_lo
	v_cndmask_b32_e32 v19, v20, v21, vcc_lo
	;; [unrolled: 1-line block ×3, first 2 shown]
	v_bfe_u32 v20, v17, 29, 1
	v_alignbit_b32 v21, v17, v19, 30
	v_alignbit_b32 v19, v19, v18, 30
	;; [unrolled: 1-line block ×3, first 2 shown]
	v_sub_nc_u32_e32 v22, 0, v20
	v_xor_b32_e32 v21, v21, v22
	v_xor_b32_e32 v18, v19, v22
	v_xor_b32_e32 v16, v16, v22
	v_lshrrev_b32_e32 v22, 29, v17
	v_lshrrev_b32_e32 v17, 30, v17
	v_ffbh_u32_e32 v23, v21
	v_min_u32_e32 v23, 32, v23
	v_sub_nc_u32_e32 v19, 31, v23
	v_lshlrev_b32_e32 v24, 23, v23
	v_alignbit_b32 v21, v21, v18, v19
	v_alignbit_b32 v16, v18, v16, v19
	v_lshlrev_b32_e32 v18, 31, v22
	v_alignbit_b32 v19, v21, v16, 9
	v_or_b32_e32 v22, 0.5, v18
	v_lshrrev_b32_e32 v21, 9, v21
	v_or_b32_e32 v18, 0x33000000, v18
	v_ffbh_u32_e32 v25, v19
	v_sub_nc_u32_e32 v22, v22, v24
	v_min_u32_e32 v24, 32, v25
	v_or_b32_e32 v21, v21, v22
	v_not_b32_e32 v22, v24
	v_mul_f32_e32 v25, 0x3fc90fda, v21
	v_add_lshl_u32 v23, v24, v23, 23
	v_alignbit_b32 v16, v19, v16, v22
	v_fma_f32 v19, 0x3fc90fda, v21, -v25
	v_sub_nc_u32_e32 v18, v18, v23
	v_lshrrev_b32_e32 v16, 9, v16
	v_fmamk_f32 v19, v21, 0x33a22168, v19
	v_or_b32_e32 v16, v18, v16
	v_add_nc_u32_e32 v18, v20, v17
	v_fmac_f32_e32 v19, 0x3fc90fda, v16
	v_add_f32_e32 v16, v25, v19
.LBB17_10:
	s_andn2_saveexec_b32 s4, s8
; %bb.11:
	v_mul_f32_e64 v16, 0x3f22f983, |v12|
	v_rndne_f32_e32 v17, v16
	v_fma_f32 v16, 0xbfc90fda, v17, |v12|
	v_cvt_i32_f32_e32 v18, v17
	v_fmamk_f32 v16, v17, 0xb3a22168, v16
	v_fmamk_f32 v16, v17, 0xa7c234c4, v16
; %bb.12:
	s_or_b32 exec_lo, exec_lo, s4
	v_cvt_f32_f16_sdwa v3, v3 dst_sel:DWORD dst_unused:UNUSED_PAD src0_sel:WORD_1
                                        ; implicit-def: $vgpr23
                                        ; implicit-def: $vgpr20
	s_mov_b32 s5, exec_lo
	v_and_b32_e32 v17, 0x7fffffff, v3
	v_cmpx_ngt_f32_e64 0x48000000, |v3|
	s_xor_b32 s8, exec_lo, s5
	s_cbranch_execz .LBB17_14
; %bb.13:
	s_mov_b32 s4, 0x7fffff
	v_mov_b32_e32 v21, 0
	v_and_or_b32 v28, v17, s4, 0x800000
	v_lshrrev_b32_e32 v26, 23, v17
	v_mad_u64_u32 v[19:20], null, 0xfe5163ab, v28, 0
	v_add_nc_u32_e32 v27, 0xffffff88, v26
	v_cmp_lt_u32_e32 vcc_lo, 63, v27
	v_mad_u64_u32 v[22:23], null, 0x3c439041, v28, v[20:21]
	v_cndmask_b32_e64 v29, 0, 0xffffffc0, vcc_lo
	v_mov_b32_e32 v20, v23
	v_add_nc_u32_e32 v29, v29, v27
	v_mad_u64_u32 v[23:24], null, 0xdb629599, v28, v[20:21]
	v_cmp_lt_u32_e64 s4, 31, v29
	v_cndmask_b32_e64 v30, 0, 0xffffffe0, s4
	v_mov_b32_e32 v20, v24
	v_cndmask_b32_e32 v19, v23, v19, vcc_lo
	v_mad_u64_u32 v[24:25], null, 0xf534ddc0, v28, v[20:21]
	v_mov_b32_e32 v20, v25
	v_cndmask_b32_e32 v22, v24, v22, vcc_lo
	v_mad_u64_u32 v[25:26], null, 0xfc2757d1, v28, v[20:21]
	v_cndmask_b32_e64 v19, v22, v19, s4
	v_mov_b32_e32 v20, v26
	v_mad_u64_u32 v[26:27], null, 0x4e441529, v28, v[20:21]
	v_mov_b32_e32 v20, v27
	v_add_nc_u32_e32 v27, v30, v29
	v_cndmask_b32_e32 v29, v26, v24, vcc_lo
	v_mad_u64_u32 v[20:21], null, 0xa2f9836e, v28, v[20:21]
	v_cmp_lt_u32_e64 s5, 31, v27
	v_cndmask_b32_e64 v28, 0, 0xffffffe0, s5
	v_cndmask_b32_e32 v20, v20, v25, vcc_lo
	v_cndmask_b32_e32 v21, v21, v26, vcc_lo
	;; [unrolled: 1-line block ×3, first 2 shown]
	v_add_nc_u32_e32 v26, v28, v27
	v_cndmask_b32_e64 v24, v20, v29, s4
	v_cndmask_b32_e64 v20, v21, v20, s4
	;; [unrolled: 1-line block ×4, first 2 shown]
	v_sub_nc_u32_e32 v27, 32, v26
	v_cmp_eq_u32_e32 vcc_lo, 0, v26
	v_cndmask_b32_e64 v20, v20, v24, s5
	v_cndmask_b32_e64 v24, v24, v21, s5
	;; [unrolled: 1-line block ×4, first 2 shown]
	v_alignbit_b32 v28, v20, v24, v27
	v_alignbit_b32 v23, v24, v21, v27
	;; [unrolled: 1-line block ×3, first 2 shown]
	v_cndmask_b32_e32 v20, v28, v20, vcc_lo
	v_cndmask_b32_e32 v22, v23, v24, vcc_lo
	;; [unrolled: 1-line block ×3, first 2 shown]
	v_bfe_u32 v23, v20, 29, 1
	v_alignbit_b32 v24, v20, v22, 30
	v_alignbit_b32 v22, v22, v21, 30
	;; [unrolled: 1-line block ×3, first 2 shown]
	v_sub_nc_u32_e32 v25, 0, v23
	v_xor_b32_e32 v24, v24, v25
	v_xor_b32_e32 v21, v22, v25
	;; [unrolled: 1-line block ×3, first 2 shown]
	v_lshrrev_b32_e32 v25, 29, v20
	v_ffbh_u32_e32 v26, v24
	v_min_u32_e32 v26, 32, v26
	v_sub_nc_u32_e32 v22, 31, v26
	v_lshlrev_b32_e32 v27, 23, v26
	v_alignbit_b32 v24, v24, v21, v22
	v_alignbit_b32 v19, v21, v19, v22
	v_lshlrev_b32_e32 v21, 31, v25
	v_alignbit_b32 v22, v24, v19, 9
	v_or_b32_e32 v25, 0.5, v21
	v_lshrrev_b32_e32 v24, 9, v24
	v_or_b32_e32 v21, 0x33000000, v21
	v_ffbh_u32_e32 v28, v22
	v_sub_nc_u32_e32 v25, v25, v27
	v_min_u32_e32 v27, 32, v28
	v_or_b32_e32 v24, v24, v25
	v_not_b32_e32 v25, v27
	v_mul_f32_e32 v28, 0x3fc90fda, v24
	v_add_lshl_u32 v26, v27, v26, 23
	v_alignbit_b32 v19, v22, v19, v25
	v_fma_f32 v22, 0x3fc90fda, v24, -v28
	v_sub_nc_u32_e32 v21, v21, v26
	v_lshrrev_b32_e32 v19, 9, v19
	v_fmamk_f32 v22, v24, 0x33a22168, v22
	v_or_b32_e32 v19, v21, v19
	v_fmac_f32_e32 v22, 0x3fc90fda, v19
	v_lshrrev_b32_e32 v19, 30, v20
	v_add_f32_e32 v20, v28, v22
	v_add_nc_u32_e32 v23, v23, v19
.LBB17_14:
	s_andn2_saveexec_b32 s4, s8
; %bb.15:
	v_mul_f32_e64 v19, 0x3f22f983, |v3|
	v_rndne_f32_e32 v19, v19
	v_fma_f32 v20, 0xbfc90fda, v19, |v3|
	v_cvt_i32_f32_e32 v23, v19
	v_fmamk_f32 v20, v19, 0xb3a22168, v20
	v_fmamk_f32 v20, v19, 0xa7c234c4, v20
; %bb.16:
	s_or_b32 exec_lo, exec_lo, s4
	v_cvt_f32_f16_e32 v19, v4
                                        ; implicit-def: $vgpr27
                                        ; implicit-def: $vgpr22
	s_mov_b32 s5, exec_lo
	v_and_b32_e32 v21, 0x7fffffff, v19
	v_cmpx_ngt_f32_e64 0x48000000, |v19|
	s_xor_b32 s8, exec_lo, s5
	s_cbranch_execz .LBB17_18
; %bb.17:
	s_mov_b32 s4, 0x7fffff
	v_mov_b32_e32 v26, 0
	v_and_or_b32 v22, v21, s4, 0x800000
	v_lshrrev_b32_e32 v31, 23, v21
	v_mad_u64_u32 v[24:25], null, 0xfe5163ab, v22, 0
	v_add_nc_u32_e32 v32, 0xffffff88, v31
	v_cmp_lt_u32_e32 vcc_lo, 63, v32
	v_mad_u64_u32 v[27:28], null, 0x3c439041, v22, v[25:26]
	v_cndmask_b32_e64 v33, 0, 0xffffffc0, vcc_lo
	v_mov_b32_e32 v25, v28
	v_add_nc_u32_e32 v33, v33, v32
	v_mad_u64_u32 v[28:29], null, 0xdb629599, v22, v[25:26]
	v_cmp_lt_u32_e64 s4, 31, v33
	v_cndmask_b32_e64 v34, 0, 0xffffffe0, s4
	v_mov_b32_e32 v25, v29
	v_cndmask_b32_e32 v24, v28, v24, vcc_lo
	v_mad_u64_u32 v[29:30], null, 0xf534ddc0, v22, v[25:26]
	v_mov_b32_e32 v25, v30
	v_cndmask_b32_e32 v27, v29, v27, vcc_lo
	v_mad_u64_u32 v[30:31], null, 0xfc2757d1, v22, v[25:26]
	v_cndmask_b32_e64 v24, v27, v24, s4
	v_mov_b32_e32 v25, v31
	v_mad_u64_u32 v[31:32], null, 0x4e441529, v22, v[25:26]
	v_mov_b32_e32 v25, v32
	v_add_nc_u32_e32 v32, v34, v33
	v_cndmask_b32_e32 v33, v31, v29, vcc_lo
	v_mad_u64_u32 v[25:26], null, 0xa2f9836e, v22, v[25:26]
	v_cmp_lt_u32_e64 s5, 31, v32
	v_cndmask_b32_e64 v22, 0, 0xffffffe0, s5
	v_cndmask_b32_e32 v25, v25, v30, vcc_lo
	v_cndmask_b32_e32 v26, v26, v31, vcc_lo
	;; [unrolled: 1-line block ×3, first 2 shown]
	v_add_nc_u32_e32 v22, v22, v32
	v_cndmask_b32_e64 v29, v25, v33, s4
	v_cndmask_b32_e64 v25, v26, v25, s4
	;; [unrolled: 1-line block ×4, first 2 shown]
	v_sub_nc_u32_e32 v31, 32, v22
	v_cmp_eq_u32_e32 vcc_lo, 0, v22
	v_cndmask_b32_e64 v25, v25, v29, s5
	v_cndmask_b32_e64 v29, v29, v26, s5
	;; [unrolled: 1-line block ×4, first 2 shown]
	v_alignbit_b32 v32, v25, v29, v31
	v_alignbit_b32 v28, v29, v26, v31
	;; [unrolled: 1-line block ×3, first 2 shown]
	v_cndmask_b32_e32 v22, v32, v25, vcc_lo
	v_cndmask_b32_e32 v25, v28, v29, vcc_lo
	;; [unrolled: 1-line block ×3, first 2 shown]
	v_bfe_u32 v27, v22, 29, 1
	v_alignbit_b32 v28, v22, v25, 30
	v_alignbit_b32 v25, v25, v26, 30
	;; [unrolled: 1-line block ×3, first 2 shown]
	v_sub_nc_u32_e32 v29, 0, v27
	v_xor_b32_e32 v28, v28, v29
	v_xor_b32_e32 v25, v25, v29
	;; [unrolled: 1-line block ×3, first 2 shown]
	v_lshrrev_b32_e32 v29, 29, v22
	v_ffbh_u32_e32 v30, v28
	v_min_u32_e32 v30, 32, v30
	v_sub_nc_u32_e32 v26, 31, v30
	v_lshlrev_b32_e32 v31, 23, v30
	v_alignbit_b32 v28, v28, v25, v26
	v_alignbit_b32 v24, v25, v24, v26
	v_lshlrev_b32_e32 v25, 31, v29
	v_alignbit_b32 v26, v28, v24, 9
	v_or_b32_e32 v29, 0.5, v25
	v_lshrrev_b32_e32 v28, 9, v28
	v_or_b32_e32 v25, 0x33000000, v25
	v_ffbh_u32_e32 v32, v26
	v_sub_nc_u32_e32 v29, v29, v31
	v_min_u32_e32 v31, 32, v32
	v_or_b32_e32 v28, v28, v29
	v_not_b32_e32 v29, v31
	v_mul_f32_e32 v32, 0x3fc90fda, v28
	v_add_lshl_u32 v30, v31, v30, 23
	v_alignbit_b32 v24, v26, v24, v29
	v_fma_f32 v26, 0x3fc90fda, v28, -v32
	v_sub_nc_u32_e32 v25, v25, v30
	v_lshrrev_b32_e32 v24, 9, v24
	v_fmamk_f32 v26, v28, 0x33a22168, v26
	v_or_b32_e32 v24, v25, v24
	v_fmac_f32_e32 v26, 0x3fc90fda, v24
	v_lshrrev_b32_e32 v24, 30, v22
	v_add_f32_e32 v22, v32, v26
	v_add_nc_u32_e32 v27, v27, v24
.LBB17_18:
	s_andn2_saveexec_b32 s4, s8
; %bb.19:
	v_mul_f32_e64 v22, 0x3f22f983, |v19|
	v_rndne_f32_e32 v24, v22
	v_fma_f32 v22, 0xbfc90fda, v24, |v19|
	v_cvt_i32_f32_e32 v27, v24
	v_fmamk_f32 v22, v24, 0xb3a22168, v22
	v_fmamk_f32 v22, v24, 0xa7c234c4, v22
; %bb.20:
	s_or_b32 exec_lo, exec_lo, s4
	v_cvt_f32_f16_sdwa v4, v4 dst_sel:DWORD dst_unused:UNUSED_PAD src0_sel:WORD_1
                                        ; implicit-def: $vgpr30
                                        ; implicit-def: $vgpr26
	s_mov_b32 s5, exec_lo
	v_and_b32_e32 v24, 0x7fffffff, v4
	v_cmpx_ngt_f32_e64 0x48000000, |v4|
	s_xor_b32 s8, exec_lo, s5
	s_cbranch_execz .LBB17_22
; %bb.21:
	s_mov_b32 s4, 0x7fffff
	v_mov_b32_e32 v29, 0
	v_and_or_b32 v36, v24, s4, 0x800000
	v_mad_u64_u32 v[25:26], null, 0xfe5163ab, v36, 0
	v_mov_b32_e32 v28, v26
	v_lshrrev_b32_e32 v26, 23, v24
	v_mad_u64_u32 v[30:31], null, 0x3c439041, v36, v[28:29]
	v_add_nc_u32_e32 v26, 0xffffff88, v26
	v_cmp_lt_u32_e32 vcc_lo, 63, v26
	v_mov_b32_e32 v28, v31
	v_cndmask_b32_e64 v35, 0, 0xffffffc0, vcc_lo
	v_mad_u64_u32 v[31:32], null, 0xdb629599, v36, v[28:29]
	v_add_nc_u32_e32 v26, v35, v26
	v_mov_b32_e32 v28, v32
	v_cmp_lt_u32_e64 s4, 31, v26
	v_cndmask_b32_e32 v25, v31, v25, vcc_lo
	v_mad_u64_u32 v[32:33], null, 0xf534ddc0, v36, v[28:29]
	v_cndmask_b32_e64 v37, 0, 0xffffffe0, s4
	v_add_nc_u32_e32 v26, v37, v26
	v_mov_b32_e32 v28, v33
	v_cndmask_b32_e32 v30, v32, v30, vcc_lo
	v_cmp_lt_u32_e64 s5, 31, v26
	v_mad_u64_u32 v[33:34], null, 0xfc2757d1, v36, v[28:29]
	v_cndmask_b32_e64 v25, v30, v25, s4
	v_mov_b32_e32 v28, v34
	v_mad_u64_u32 v[34:35], null, 0x4e441529, v36, v[28:29]
	v_mov_b32_e32 v28, v35
	v_cndmask_b32_e64 v35, 0, 0xffffffe0, s5
	v_mad_u64_u32 v[28:29], null, 0xa2f9836e, v36, v[28:29]
	v_cndmask_b32_e32 v36, v34, v32, vcc_lo
	v_add_nc_u32_e32 v26, v35, v26
	v_cndmask_b32_e32 v28, v28, v33, vcc_lo
	v_cndmask_b32_e32 v29, v29, v34, vcc_lo
	v_cndmask_b32_e32 v33, v33, v31, vcc_lo
	v_sub_nc_u32_e32 v34, 32, v26
	v_cmp_eq_u32_e32 vcc_lo, 0, v26
	v_cndmask_b32_e64 v32, v28, v36, s4
	v_cndmask_b32_e64 v28, v29, v28, s4
	;; [unrolled: 1-line block ×8, first 2 shown]
	v_alignbit_b32 v35, v28, v32, v34
	v_alignbit_b32 v31, v32, v29, v34
	;; [unrolled: 1-line block ×3, first 2 shown]
	v_cndmask_b32_e32 v26, v35, v28, vcc_lo
	v_cndmask_b32_e32 v28, v31, v32, vcc_lo
	;; [unrolled: 1-line block ×3, first 2 shown]
	v_bfe_u32 v30, v26, 29, 1
	v_alignbit_b32 v31, v26, v28, 30
	v_alignbit_b32 v28, v28, v29, 30
	v_alignbit_b32 v25, v29, v25, 30
	v_sub_nc_u32_e32 v32, 0, v30
	v_xor_b32_e32 v31, v31, v32
	v_xor_b32_e32 v28, v28, v32
	;; [unrolled: 1-line block ×3, first 2 shown]
	v_lshrrev_b32_e32 v32, 29, v26
	v_ffbh_u32_e32 v33, v31
	v_min_u32_e32 v33, 32, v33
	v_sub_nc_u32_e32 v29, 31, v33
	v_lshlrev_b32_e32 v34, 23, v33
	v_alignbit_b32 v31, v31, v28, v29
	v_alignbit_b32 v25, v28, v25, v29
	v_lshlrev_b32_e32 v28, 31, v32
	v_alignbit_b32 v29, v31, v25, 9
	v_or_b32_e32 v32, 0.5, v28
	v_lshrrev_b32_e32 v31, 9, v31
	v_or_b32_e32 v28, 0x33000000, v28
	v_ffbh_u32_e32 v35, v29
	v_sub_nc_u32_e32 v32, v32, v34
	v_min_u32_e32 v34, 32, v35
	v_or_b32_e32 v31, v31, v32
	v_not_b32_e32 v32, v34
	v_mul_f32_e32 v35, 0x3fc90fda, v31
	v_add_lshl_u32 v33, v34, v33, 23
	v_alignbit_b32 v25, v29, v25, v32
	v_fma_f32 v29, 0x3fc90fda, v31, -v35
	v_sub_nc_u32_e32 v28, v28, v33
	v_lshrrev_b32_e32 v25, 9, v25
	v_fmamk_f32 v29, v31, 0x33a22168, v29
	v_or_b32_e32 v25, v28, v25
	v_fmac_f32_e32 v29, 0x3fc90fda, v25
	v_lshrrev_b32_e32 v25, 30, v26
	v_add_f32_e32 v26, v35, v29
	v_add_nc_u32_e32 v30, v30, v25
.LBB17_22:
	s_andn2_saveexec_b32 s4, s8
; %bb.23:
	v_mul_f32_e64 v25, 0x3f22f983, |v4|
	v_rndne_f32_e32 v25, v25
	v_fma_f32 v26, 0xbfc90fda, v25, |v4|
	v_cvt_i32_f32_e32 v30, v25
	v_fmamk_f32 v26, v25, 0xb3a22168, v26
	v_fmamk_f32 v26, v25, 0xa7c234c4, v26
; %bb.24:
	s_or_b32 exec_lo, exec_lo, s4
	v_cvt_f32_f16_e32 v25, v5
                                        ; implicit-def: $vgpr33
                                        ; implicit-def: $vgpr29
	s_mov_b32 s5, exec_lo
	v_and_b32_e32 v28, 0x7fffffff, v25
	v_cmpx_ngt_f32_e64 0x48000000, |v25|
	s_xor_b32 s8, exec_lo, s5
	s_cbranch_execz .LBB17_26
; %bb.25:
	s_mov_b32 s4, 0x7fffff
	v_mov_b32_e32 v33, 0
	v_and_or_b32 v29, v28, s4, 0x800000
	v_lshrrev_b32_e32 v38, 23, v28
	v_mad_u64_u32 v[31:32], null, 0xfe5163ab, v29, 0
	v_add_nc_u32_e32 v39, 0xffffff88, v38
	v_cmp_lt_u32_e32 vcc_lo, 63, v39
	v_mad_u64_u32 v[34:35], null, 0x3c439041, v29, v[32:33]
	v_cndmask_b32_e64 v48, 0, 0xffffffc0, vcc_lo
	v_mov_b32_e32 v32, v35
	v_add_nc_u32_e32 v48, v48, v39
	v_mad_u64_u32 v[35:36], null, 0xdb629599, v29, v[32:33]
	v_cmp_lt_u32_e64 s4, 31, v48
	v_cndmask_b32_e64 v49, 0, 0xffffffe0, s4
	v_mov_b32_e32 v32, v36
	v_cndmask_b32_e32 v31, v35, v31, vcc_lo
	v_mad_u64_u32 v[36:37], null, 0xf534ddc0, v29, v[32:33]
	v_mov_b32_e32 v32, v37
	v_cndmask_b32_e32 v34, v36, v34, vcc_lo
	v_mad_u64_u32 v[37:38], null, 0xfc2757d1, v29, v[32:33]
	v_cndmask_b32_e64 v31, v34, v31, s4
	v_mov_b32_e32 v32, v38
	v_mad_u64_u32 v[38:39], null, 0x4e441529, v29, v[32:33]
	v_mov_b32_e32 v32, v39
	v_add_nc_u32_e32 v39, v49, v48
	v_cndmask_b32_e32 v48, v38, v36, vcc_lo
	v_mad_u64_u32 v[32:33], null, 0xa2f9836e, v29, v[32:33]
	v_cmp_lt_u32_e64 s5, 31, v39
	v_cndmask_b32_e64 v29, 0, 0xffffffe0, s5
	v_cndmask_b32_e32 v32, v32, v37, vcc_lo
	v_cndmask_b32_e32 v33, v33, v38, vcc_lo
	;; [unrolled: 1-line block ×3, first 2 shown]
	v_add_nc_u32_e32 v29, v29, v39
	v_cndmask_b32_e64 v36, v32, v48, s4
	v_cndmask_b32_e64 v32, v33, v32, s4
	;; [unrolled: 1-line block ×4, first 2 shown]
	v_sub_nc_u32_e32 v38, 32, v29
	v_cmp_eq_u32_e32 vcc_lo, 0, v29
	v_cndmask_b32_e64 v32, v32, v36, s5
	v_cndmask_b32_e64 v36, v36, v33, s5
	;; [unrolled: 1-line block ×4, first 2 shown]
	v_alignbit_b32 v39, v32, v36, v38
	v_alignbit_b32 v35, v36, v33, v38
	;; [unrolled: 1-line block ×3, first 2 shown]
	v_cndmask_b32_e32 v29, v39, v32, vcc_lo
	v_cndmask_b32_e32 v32, v35, v36, vcc_lo
	;; [unrolled: 1-line block ×3, first 2 shown]
	v_bfe_u32 v34, v29, 29, 1
	v_alignbit_b32 v35, v29, v32, 30
	v_alignbit_b32 v32, v32, v33, 30
	;; [unrolled: 1-line block ×3, first 2 shown]
	v_sub_nc_u32_e32 v36, 0, v34
	v_xor_b32_e32 v35, v35, v36
	v_xor_b32_e32 v32, v32, v36
	v_xor_b32_e32 v31, v31, v36
	v_lshrrev_b32_e32 v36, 29, v29
	v_ffbh_u32_e32 v37, v35
	v_min_u32_e32 v37, 32, v37
	v_sub_nc_u32_e32 v33, 31, v37
	v_lshlrev_b32_e32 v38, 23, v37
	v_alignbit_b32 v35, v35, v32, v33
	v_alignbit_b32 v31, v32, v31, v33
	v_lshlrev_b32_e32 v32, 31, v36
	v_alignbit_b32 v33, v35, v31, 9
	v_or_b32_e32 v36, 0.5, v32
	v_lshrrev_b32_e32 v35, 9, v35
	v_or_b32_e32 v32, 0x33000000, v32
	v_ffbh_u32_e32 v39, v33
	v_sub_nc_u32_e32 v36, v36, v38
	v_min_u32_e32 v38, 32, v39
	v_or_b32_e32 v35, v35, v36
	v_not_b32_e32 v36, v38
	v_mul_f32_e32 v39, 0x3fc90fda, v35
	v_add_lshl_u32 v37, v38, v37, 23
	v_alignbit_b32 v31, v33, v31, v36
	v_fma_f32 v33, 0x3fc90fda, v35, -v39
	v_sub_nc_u32_e32 v32, v32, v37
	v_lshrrev_b32_e32 v31, 9, v31
	v_fmamk_f32 v33, v35, 0x33a22168, v33
	v_or_b32_e32 v31, v32, v31
	v_fmac_f32_e32 v33, 0x3fc90fda, v31
	v_lshrrev_b32_e32 v31, 30, v29
	v_add_f32_e32 v29, v39, v33
	v_add_nc_u32_e32 v33, v34, v31
.LBB17_26:
	s_andn2_saveexec_b32 s4, s8
; %bb.27:
	v_mul_f32_e64 v29, 0x3f22f983, |v25|
	v_rndne_f32_e32 v31, v29
	v_fma_f32 v29, 0xbfc90fda, v31, |v25|
	v_cvt_i32_f32_e32 v33, v31
	v_fmamk_f32 v29, v31, 0xb3a22168, v29
	v_fmamk_f32 v29, v31, 0xa7c234c4, v29
; %bb.28:
	s_or_b32 exec_lo, exec_lo, s4
	v_cvt_f32_f16_sdwa v5, v5 dst_sel:DWORD dst_unused:UNUSED_PAD src0_sel:WORD_1
                                        ; implicit-def: $vgpr34
                                        ; implicit-def: $vgpr32
	s_mov_b32 s5, exec_lo
	v_and_b32_e32 v31, 0x7fffffff, v5
	v_cmpx_ngt_f32_e64 0x48000000, |v5|
	s_xor_b32 s8, exec_lo, s5
	s_cbranch_execz .LBB17_30
; %bb.29:
	s_mov_b32 s4, 0x7fffff
	v_mov_b32_e32 v36, 0
	v_and_or_b32 v32, v31, s4, 0x800000
	v_mad_u64_u32 v[34:35], null, 0xfe5163ab, v32, 0
	v_mad_u64_u32 v[37:38], null, 0x3c439041, v32, v[35:36]
	v_mov_b32_e32 v35, v38
	v_mad_u64_u32 v[38:39], null, 0xdb629599, v32, v[35:36]
	v_mov_b32_e32 v35, v39
	v_lshrrev_b32_e32 v39, 23, v31
	v_mad_u64_u32 v[48:49], null, 0xf534ddc0, v32, v[35:36]
	v_add_nc_u32_e32 v39, 0xffffff88, v39
	v_cmp_lt_u32_e32 vcc_lo, 63, v39
	v_mov_b32_e32 v35, v49
	v_cndmask_b32_e64 v51, 0, 0xffffffc0, vcc_lo
	v_mad_u64_u32 v[49:50], null, 0xfc2757d1, v32, v[35:36]
	v_cndmask_b32_e32 v37, v48, v37, vcc_lo
	v_cndmask_b32_e32 v34, v38, v34, vcc_lo
	v_add_nc_u32_e32 v39, v51, v39
	v_mov_b32_e32 v35, v50
	v_cmp_lt_u32_e64 s4, 31, v39
	v_mad_u64_u32 v[50:51], null, 0x4e441529, v32, v[35:36]
	v_cndmask_b32_e64 v52, 0, 0xffffffe0, s4
	v_cndmask_b32_e64 v34, v37, v34, s4
	v_add_nc_u32_e32 v39, v52, v39
	v_mov_b32_e32 v35, v51
	v_cndmask_b32_e32 v51, v50, v48, vcc_lo
	v_cmp_lt_u32_e64 s5, 31, v39
	v_mad_u64_u32 v[35:36], null, 0xa2f9836e, v32, v[35:36]
	v_cndmask_b32_e64 v32, 0, 0xffffffe0, s5
	v_cndmask_b32_e32 v35, v35, v49, vcc_lo
	v_cndmask_b32_e32 v36, v36, v50, vcc_lo
	;; [unrolled: 1-line block ×3, first 2 shown]
	v_add_nc_u32_e32 v32, v32, v39
	v_cndmask_b32_e64 v39, v35, v51, s4
	v_cndmask_b32_e64 v35, v36, v35, s4
	;; [unrolled: 1-line block ×3, first 2 shown]
	v_sub_nc_u32_e32 v48, 32, v32
	v_cndmask_b32_e64 v49, v49, v37, s4
	v_cmp_eq_u32_e32 vcc_lo, 0, v32
	v_cndmask_b32_e64 v35, v35, v39, s5
	v_cndmask_b32_e64 v39, v39, v36, s5
	;; [unrolled: 1-line block ×4, first 2 shown]
	v_alignbit_b32 v50, v35, v39, v48
	v_alignbit_b32 v38, v39, v36, v48
	;; [unrolled: 1-line block ×3, first 2 shown]
	v_cndmask_b32_e32 v32, v50, v35, vcc_lo
	v_cndmask_b32_e32 v35, v38, v39, vcc_lo
	;; [unrolled: 1-line block ×3, first 2 shown]
	v_bfe_u32 v37, v32, 29, 1
	v_alignbit_b32 v38, v32, v35, 30
	v_alignbit_b32 v35, v35, v36, 30
	;; [unrolled: 1-line block ×3, first 2 shown]
	v_sub_nc_u32_e32 v39, 0, v37
	v_xor_b32_e32 v38, v38, v39
	v_xor_b32_e32 v35, v35, v39
	;; [unrolled: 1-line block ×3, first 2 shown]
	v_lshrrev_b32_e32 v39, 29, v32
	v_ffbh_u32_e32 v48, v38
	v_min_u32_e32 v48, 32, v48
	v_sub_nc_u32_e32 v36, 31, v48
	v_lshlrev_b32_e32 v49, 23, v48
	v_alignbit_b32 v38, v38, v35, v36
	v_alignbit_b32 v34, v35, v34, v36
	v_lshlrev_b32_e32 v35, 31, v39
	v_alignbit_b32 v36, v38, v34, 9
	v_or_b32_e32 v39, 0.5, v35
	v_lshrrev_b32_e32 v38, 9, v38
	v_or_b32_e32 v35, 0x33000000, v35
	v_ffbh_u32_e32 v50, v36
	v_sub_nc_u32_e32 v39, v39, v49
	v_min_u32_e32 v49, 32, v50
	v_or_b32_e32 v38, v38, v39
	v_not_b32_e32 v39, v49
	v_mul_f32_e32 v50, 0x3fc90fda, v38
	v_add_lshl_u32 v48, v49, v48, 23
	v_alignbit_b32 v34, v36, v34, v39
	v_fma_f32 v36, 0x3fc90fda, v38, -v50
	v_sub_nc_u32_e32 v35, v35, v48
	v_lshrrev_b32_e32 v34, 9, v34
	v_fmamk_f32 v36, v38, 0x33a22168, v36
	v_or_b32_e32 v34, v35, v34
	v_fmac_f32_e32 v36, 0x3fc90fda, v34
	v_lshrrev_b32_e32 v34, 30, v32
	v_add_f32_e32 v32, v50, v36
	v_add_nc_u32_e32 v34, v37, v34
.LBB17_30:
	s_andn2_saveexec_b32 s4, s8
; %bb.31:
	v_mul_f32_e64 v32, 0x3f22f983, |v5|
	v_rndne_f32_e32 v34, v32
	v_fma_f32 v32, 0xbfc90fda, v34, |v5|
	v_fmamk_f32 v32, v34, 0xb3a22168, v32
	v_fmamk_f32 v32, v34, 0xa7c234c4, v32
	v_cvt_i32_f32_e32 v34, v34
; %bb.32:
	s_or_b32 exec_lo, exec_lo, s4
	v_mul_f32_e32 v66, v13, v13
	s_mov_b32 s4, 0xb94c1982
	s_mov_b32 s5, 0x37d75334
	v_mul_f32_e32 v65, v6, v6
	v_lshlrev_b32_e32 v55, 30, v15
	v_fmaak_f32 v67, s4, v66, 0x3c0881c4
	v_fmaak_f32 v68, s5, v66, 0xbab64f3b
	v_and_b32_e32 v15, 1, v15
	v_fmaak_f32 v69, s4, v65, 0x3c0881c4
	v_fmaak_f32 v70, s5, v65, 0xbab64f3b
	;; [unrolled: 1-line block ×4, first 2 shown]
	v_xor_b32_e32 v7, v7, v2
	v_and_b32_e32 v55, 0x80000000, v55
	v_fmaak_f32 v69, v65, v69, 0xbe2aaa9d
	v_fmaak_f32 v70, v65, v70, 0x3d2aabf7
	v_mul_f32_e32 v67, v66, v67
	v_fmaak_f32 v68, v66, v68, 0xbf000004
	v_lshlrev_b32_e32 v64, 30, v11
	v_and_b32_e32 v11, 1, v11
	v_mul_f32_e32 v69, v65, v69
	v_fmaak_f32 v70, v65, v70, 0xbf000004
	v_xor_b32_e32 v7, v7, v55
	v_fmac_f32_e32 v13, v13, v67
	v_fma_f32 v55, v66, v68, 1.0
	v_cmp_eq_u32_e32 vcc_lo, 0, v15
	v_mul_f32_e32 v54, v20, v20
	v_xor_b32_e32 v10, v10, v9
	v_and_b32_e32 v64, 0x80000000, v64
	v_fmac_f32_e32 v6, v6, v69
	v_fma_f32 v65, v65, v70, 1.0
	v_cndmask_b32_e32 v13, v55, v13, vcc_lo
	v_cmp_eq_u32_e32 vcc_lo, 0, v11
	v_mul_f32_e32 v53, v16, v16
	v_xor_b32_e32 v10, v10, v64
	v_xor_b32_e32 v11, v14, v12
	;; [unrolled: 1-line block ×3, first 2 shown]
	v_cndmask_b32_e32 v6, v65, v6, vcc_lo
	v_fmaak_f32 v13, s4, v54, 0x3c0881c4
	v_fmaak_f32 v14, s5, v54, 0xbab64f3b
	;; [unrolled: 1-line block ×3, first 2 shown]
	v_lshlrev_b32_e32 v51, 30, v23
	v_xor_b32_e32 v6, v10, v6
	v_xor_b32_e32 v10, v17, v3
	v_fmaak_f32 v17, s5, v53, 0xbab64f3b
	v_fmaak_f32 v13, v54, v13, 0xbe2aaa9d
	;; [unrolled: 1-line block ×3, first 2 shown]
	v_and_b32_e32 v23, 1, v23
	v_fmaak_f32 v15, v53, v15, 0xbe2aaa9d
	v_fmaak_f32 v17, v53, v17, 0x3d2aabf7
	v_mul_f32_e32 v13, v54, v13
	v_fmaak_f32 v14, v54, v14, 0xbf000004
	v_add_co_u32 v0, vcc_lo, v0, s6
	v_lshlrev_b32_e32 v52, 30, v18
	v_and_b32_e32 v18, 1, v18
	v_add_co_ci_u32_e64 v1, null, s7, v1, vcc_lo
	v_mul_f32_e32 v15, v53, v15
	v_fmaak_f32 v17, v53, v17, 0xbf000004
	v_fmac_f32_e32 v20, v20, v13
	v_fma_f32 v13, v54, v14, 1.0
	v_cmp_eq_u32_e32 vcc_lo, 0, v23
	v_fmac_f32_e32 v16, v16, v15
	v_fma_f32 v14, v53, v17, 1.0
	v_and_b32_e32 v51, 0x80000000, v51
	v_and_b32_e32 v52, 0x80000000, v52
	v_cndmask_b32_e32 v13, v13, v20, vcc_lo
	v_cmp_eq_u32_e32 vcc_lo, 0, v18
	v_mul_f32_e32 v49, v22, v22
	v_xor_b32_e32 v10, v10, v51
	v_mul_f32_e32 v50, v26, v26
	v_xor_b32_e32 v11, v11, v52
	v_cndmask_b32_e32 v14, v14, v16, vcc_lo
	v_cmp_class_f32_e64 vcc_lo, v2, 0x1f8
	v_lshlrev_b32_e32 v39, 30, v30
	v_fmaak_f32 v15, s5, v50, 0xbab64f3b
	v_mul_f32_e32 v38, v32, v32
	v_lshlrev_b32_e32 v48, 30, v27
	v_cndmask_b32_e32 v2, 0x7fc00000, v7, vcc_lo
	v_cmp_class_f32_e64 vcc_lo, v9, 0x1f8
	v_xor_b32_e32 v7, v10, v13
	v_xor_b32_e32 v9, v11, v14
	v_fmaak_f32 v13, s4, v50, 0x3c0881c4
	v_fmaak_f32 v14, s5, v49, 0xbab64f3b
	v_cndmask_b32_e32 v6, 0x7fc00000, v6, vcc_lo
	v_cmp_class_f32_e64 vcc_lo, v3, 0x1f8
	v_and_b32_e32 v11, 0x80000000, v39
	v_fmaak_f32 v13, v50, v13, 0xbe2aaa9d
	v_fmaak_f32 v14, v49, v14, 0x3d2aabf7
	;; [unrolled: 1-line block ×3, first 2 shown]
	v_cndmask_b32_e32 v3, 0x7fc00000, v7, vcc_lo
	v_cmp_class_f32_e64 vcc_lo, v12, 0x1f8
	v_fmaak_f32 v12, s4, v49, 0x3c0881c4
	v_cvt_f16_f32_e32 v7, v2
	v_mul_f32_e32 v37, v29, v29
	v_and_b32_e32 v30, 1, v30
	v_cndmask_b32_e32 v2, 0x7fc00000, v9, vcc_lo
	v_cvt_f16_f32_e32 v9, v3
	v_xor_b32_e32 v3, v24, v4
	v_fmaak_f32 v12, v49, v12, 0xbe2aaa9d
	v_xor_b32_e32 v10, v21, v19
	v_and_b32_e32 v16, 0x80000000, v48
	v_and_b32_e32 v27, 1, v27
	v_xor_b32_e32 v3, v3, v11
	v_mul_f32_e32 v11, v49, v12
	v_mul_f32_e32 v12, v50, v13
	v_fmaak_f32 v13, v49, v14, 0xbf000004
	v_fmaak_f32 v14, v50, v15, 0xbf000004
	;; [unrolled: 1-line block ×3, first 2 shown]
	v_fmac_f32_e32 v22, v22, v11
	v_xor_b32_e32 v10, v10, v16
	v_fma_f32 v11, v49, v13, 1.0
	v_fmaak_f32 v13, s4, v38, 0x3c0881c4
	v_fmac_f32_e32 v26, v26, v12
	v_fma_f32 v12, v50, v14, 1.0
	v_fmaak_f32 v14, s4, v37, 0x3c0881c4
	v_fmaak_f32 v16, s5, v37, 0xbab64f3b
	v_cmp_eq_u32_e32 vcc_lo, 0, v30
	v_fmaak_f32 v13, v38, v13, 0xbe2aaa9d
	v_fmaak_f32 v15, v38, v15, 0x3d2aabf7
	v_lshlrev_b32_e32 v35, 30, v34
	v_and_b32_e32 v34, 1, v34
	v_cndmask_b32_e32 v12, v12, v26, vcc_lo
	v_fmaak_f32 v14, v37, v14, 0xbe2aaa9d
	v_fmaak_f32 v16, v37, v16, 0x3d2aabf7
	v_cmp_eq_u32_e32 vcc_lo, 0, v27
	v_mul_f32_e32 v13, v38, v13
	v_fmaak_f32 v15, v38, v15, 0xbf000004
	v_lshlrev_b32_e32 v36, 30, v33
	v_and_b32_e32 v33, 1, v33
	v_cndmask_b32_e32 v11, v11, v22, vcc_lo
	v_mul_f32_e32 v14, v37, v14
	v_fmaak_f32 v16, v37, v16, 0xbf000004
	v_fmac_f32_e32 v32, v32, v13
	v_fma_f32 v13, v38, v15, 1.0
	v_cmp_eq_u32_e32 vcc_lo, 0, v34
	v_xor_b32_e32 v10, v10, v11
	v_fmac_f32_e32 v29, v29, v14
	v_fma_f32 v11, v37, v16, 1.0
	v_and_b32_e32 v14, 0x80000000, v35
	v_cndmask_b32_e32 v13, v13, v32, vcc_lo
	v_cmp_eq_u32_e32 vcc_lo, 0, v33
	v_xor_b32_e32 v16, v31, v5
	v_and_b32_e32 v15, 0x80000000, v36
	v_xor_b32_e32 v17, v28, v25
	v_xor_b32_e32 v3, v3, v12
	v_cndmask_b32_e32 v11, v11, v29, vcc_lo
	v_cmp_class_f32_e64 vcc_lo, v19, 0x1f8
	v_xor_b32_e32 v14, v16, v14
	v_xor_b32_e32 v15, v17, v15
	v_cvt_f16_f32_e32 v6, v6
	v_cndmask_b32_e32 v10, 0x7fc00000, v10, vcc_lo
	v_cmp_class_f32_e64 vcc_lo, v4, 0x1f8
	v_xor_b32_e32 v12, v14, v13
	v_xor_b32_e32 v11, v15, v11
	v_cvt_f16_f32_e32 v10, v10
	v_cndmask_b32_e32 v3, 0x7fc00000, v3, vcc_lo
	v_cmp_class_f32_e64 vcc_lo, v5, 0x1f8
	v_cndmask_b32_e32 v4, 0x7fc00000, v12, vcc_lo
	v_cmp_class_f32_e64 vcc_lo, v25, 0x1f8
	v_cndmask_b32_e32 v5, 0x7fc00000, v11, vcc_lo
	v_cvt_f16_f32_e32 v11, v2
	v_cvt_f16_f32_e32 v2, v3
	v_cvt_f16_f32_e32 v3, v4
	v_add_co_u32 v4, vcc_lo, v0, v8
	v_cvt_f16_f32_e32 v12, v5
	v_add_co_ci_u32_e64 v5, null, 0, v1, vcc_lo
	v_pack_b32_f16 v2, v10, v2
	v_pack_b32_f16 v1, v11, v9
	v_pack_b32_f16 v3, v12, v3
	v_pack_b32_f16 v0, v6, v7
	flat_store_dwordx4 v[4:5], v[0:3]
	s_waitcnt lgkmcnt(0)
	s_setpc_b64 s[30:31]
.Lfunc_end17:
	.size	_ZN2at6native25elementwise_kernel_helperILb0EZZZNS0_15sin_kernel_cudaERNS_18TensorIteratorBaseEENKUlvE0_clEvENKUlvE1_clEvEUlN3c104HalfEE_NS0_6memory8policies10vectorizedILi8ESt5arrayIPcLm2EELi8EEEEEvT0_T1_, .Lfunc_end17-_ZN2at6native25elementwise_kernel_helperILb0EZZZNS0_15sin_kernel_cudaERNS_18TensorIteratorBaseEENKUlvE0_clEvENKUlvE1_clEvEUlN3c104HalfEE_NS0_6memory8policies10vectorizedILi8ESt5arrayIPcLm2EELi8EEEEEvT0_T1_
                                        ; -- End function
	.set .L_ZN2at6native25elementwise_kernel_helperILb0EZZZNS0_15sin_kernel_cudaERNS_18TensorIteratorBaseEENKUlvE0_clEvENKUlvE1_clEvEUlN3c104HalfEE_NS0_6memory8policies10vectorizedILi8ESt5arrayIPcLm2EELi8EEEEEvT0_T1_.num_vgpr, 71
	.set .L_ZN2at6native25elementwise_kernel_helperILb0EZZZNS0_15sin_kernel_cudaERNS_18TensorIteratorBaseEENKUlvE0_clEvENKUlvE1_clEvEUlN3c104HalfEE_NS0_6memory8policies10vectorizedILi8ESt5arrayIPcLm2EELi8EEEEEvT0_T1_.num_agpr, 0
	.set .L_ZN2at6native25elementwise_kernel_helperILb0EZZZNS0_15sin_kernel_cudaERNS_18TensorIteratorBaseEENKUlvE0_clEvENKUlvE1_clEvEUlN3c104HalfEE_NS0_6memory8policies10vectorizedILi8ESt5arrayIPcLm2EELi8EEEEEvT0_T1_.numbered_sgpr, 32
	.set .L_ZN2at6native25elementwise_kernel_helperILb0EZZZNS0_15sin_kernel_cudaERNS_18TensorIteratorBaseEENKUlvE0_clEvENKUlvE1_clEvEUlN3c104HalfEE_NS0_6memory8policies10vectorizedILi8ESt5arrayIPcLm2EELi8EEEEEvT0_T1_.num_named_barrier, 0
	.set .L_ZN2at6native25elementwise_kernel_helperILb0EZZZNS0_15sin_kernel_cudaERNS_18TensorIteratorBaseEENKUlvE0_clEvENKUlvE1_clEvEUlN3c104HalfEE_NS0_6memory8policies10vectorizedILi8ESt5arrayIPcLm2EELi8EEEEEvT0_T1_.private_seg_size, 0
	.set .L_ZN2at6native25elementwise_kernel_helperILb0EZZZNS0_15sin_kernel_cudaERNS_18TensorIteratorBaseEENKUlvE0_clEvENKUlvE1_clEvEUlN3c104HalfEE_NS0_6memory8policies10vectorizedILi8ESt5arrayIPcLm2EELi8EEEEEvT0_T1_.uses_vcc, 1
	.set .L_ZN2at6native25elementwise_kernel_helperILb0EZZZNS0_15sin_kernel_cudaERNS_18TensorIteratorBaseEENKUlvE0_clEvENKUlvE1_clEvEUlN3c104HalfEE_NS0_6memory8policies10vectorizedILi8ESt5arrayIPcLm2EELi8EEEEEvT0_T1_.uses_flat_scratch, 0
	.set .L_ZN2at6native25elementwise_kernel_helperILb0EZZZNS0_15sin_kernel_cudaERNS_18TensorIteratorBaseEENKUlvE0_clEvENKUlvE1_clEvEUlN3c104HalfEE_NS0_6memory8policies10vectorizedILi8ESt5arrayIPcLm2EELi8EEEEEvT0_T1_.has_dyn_sized_stack, 0
	.set .L_ZN2at6native25elementwise_kernel_helperILb0EZZZNS0_15sin_kernel_cudaERNS_18TensorIteratorBaseEENKUlvE0_clEvENKUlvE1_clEvEUlN3c104HalfEE_NS0_6memory8policies10vectorizedILi8ESt5arrayIPcLm2EELi8EEEEEvT0_T1_.has_recursion, 0
	.set .L_ZN2at6native25elementwise_kernel_helperILb0EZZZNS0_15sin_kernel_cudaERNS_18TensorIteratorBaseEENKUlvE0_clEvENKUlvE1_clEvEUlN3c104HalfEE_NS0_6memory8policies10vectorizedILi8ESt5arrayIPcLm2EELi8EEEEEvT0_T1_.has_indirect_call, 0
	.section	.AMDGPU.csdata,"",@progbits
; Function info:
; codeLenInByte = 6336
; TotalNumSgprs: 34
; NumVgprs: 71
; ScratchSize: 0
; MemoryBound: 0
	.section	.text._ZN2at6native29vectorized_elementwise_kernelILi16EZZZNS0_15sin_kernel_cudaERNS_18TensorIteratorBaseEENKUlvE0_clEvENKUlvE1_clEvEUlN3c104HalfEE_St5arrayIPcLm2EEEEviT0_T1_,"axG",@progbits,_ZN2at6native29vectorized_elementwise_kernelILi16EZZZNS0_15sin_kernel_cudaERNS_18TensorIteratorBaseEENKUlvE0_clEvENKUlvE1_clEvEUlN3c104HalfEE_St5arrayIPcLm2EEEEviT0_T1_,comdat
	.globl	_ZN2at6native29vectorized_elementwise_kernelILi16EZZZNS0_15sin_kernel_cudaERNS_18TensorIteratorBaseEENKUlvE0_clEvENKUlvE1_clEvEUlN3c104HalfEE_St5arrayIPcLm2EEEEviT0_T1_ ; -- Begin function _ZN2at6native29vectorized_elementwise_kernelILi16EZZZNS0_15sin_kernel_cudaERNS_18TensorIteratorBaseEENKUlvE0_clEvENKUlvE1_clEvEUlN3c104HalfEE_St5arrayIPcLm2EEEEviT0_T1_
	.p2align	8
	.type	_ZN2at6native29vectorized_elementwise_kernelILi16EZZZNS0_15sin_kernel_cudaERNS_18TensorIteratorBaseEENKUlvE0_clEvENKUlvE1_clEvEUlN3c104HalfEE_St5arrayIPcLm2EEEEviT0_T1_,@function
_ZN2at6native29vectorized_elementwise_kernelILi16EZZZNS0_15sin_kernel_cudaERNS_18TensorIteratorBaseEENKUlvE0_clEvENKUlvE1_clEvEUlN3c104HalfEE_St5arrayIPcLm2EEEEviT0_T1_: ; @_ZN2at6native29vectorized_elementwise_kernelILi16EZZZNS0_15sin_kernel_cudaERNS_18TensorIteratorBaseEENKUlvE0_clEvENKUlvE1_clEvEUlN3c104HalfEE_St5arrayIPcLm2EEEEviT0_T1_
; %bb.0:
	s_mov_b32 s12, s6
	s_clause 0x1
	s_load_dword s6, s[4:5], 0x0
	s_load_dwordx4 s[16:19], s[4:5], 0x8
	s_add_u32 s0, s0, s7
	s_addc_u32 s1, s1, 0
	s_lshl_b32 s4, s12, 11
	v_mov_b32_e32 v40, v0
	s_mov_b32 s32, 0
	s_waitcnt lgkmcnt(0)
	s_sub_i32 s9, s6, s4
	s_mov_b32 s4, -1
	s_cmpk_gt_i32 s9, 0x7ff
	s_cbranch_scc1 .LBB18_3
; %bb.1:
	s_andn2_b32 vcc_lo, exec_lo, s4
	s_cbranch_vccz .LBB18_4
.LBB18_2:
	s_endpgm
.LBB18_3:
	v_mov_b32_e32 v31, v40
	v_mov_b32_e32 v0, s16
	;; [unrolled: 1-line block ×5, first 2 shown]
	s_getpc_b64 s[4:5]
	s_add_u32 s4, s4, _ZN2at6native25elementwise_kernel_helperILb0EZZZNS0_15sin_kernel_cudaERNS_18TensorIteratorBaseEENKUlvE0_clEvENKUlvE1_clEvEUlN3c104HalfEE_NS0_6memory8policies10vectorizedILi8ESt5arrayIPcLm2EELi8EEEEEvT0_T1_@rel32@lo+4
	s_addc_u32 s5, s5, _ZN2at6native25elementwise_kernel_helperILb0EZZZNS0_15sin_kernel_cudaERNS_18TensorIteratorBaseEENKUlvE0_clEvENKUlvE1_clEvEUlN3c104HalfEE_NS0_6memory8policies10vectorizedILi8ESt5arrayIPcLm2EELi8EEEEEvT0_T1_@rel32@hi+12
	s_swappc_b64 s[30:31], s[4:5]
	s_cbranch_execnz .LBB18_2
.LBB18_4:
	v_mov_b32_e32 v31, v40
	v_mov_b32_e32 v0, s16
	;; [unrolled: 1-line block ×6, first 2 shown]
	s_getpc_b64 s[4:5]
	s_add_u32 s4, s4, _ZN2at6native25elementwise_kernel_helperILb0EZZZNS0_15sin_kernel_cudaERNS_18TensorIteratorBaseEENKUlvE0_clEvENKUlvE1_clEvEUlN3c104HalfEE_NS0_6memory8policies11unroll_baseILi256ESt5arrayIPcLm2EE23TrivialOffsetCalculatorILi1EjESG_NS9_15LoadWithoutCastENS9_16StoreWithoutCastELi8ELi1EEEEEvT0_T1_@rel32@lo+4
	s_addc_u32 s5, s5, _ZN2at6native25elementwise_kernel_helperILb0EZZZNS0_15sin_kernel_cudaERNS_18TensorIteratorBaseEENKUlvE0_clEvENKUlvE1_clEvEUlN3c104HalfEE_NS0_6memory8policies11unroll_baseILi256ESt5arrayIPcLm2EE23TrivialOffsetCalculatorILi1EjESG_NS9_15LoadWithoutCastENS9_16StoreWithoutCastELi8ELi1EEEEEvT0_T1_@rel32@hi+12
	s_swappc_b64 s[30:31], s[4:5]
	s_endpgm
	.section	.rodata,"a",@progbits
	.p2align	6, 0x0
	.amdhsa_kernel _ZN2at6native29vectorized_elementwise_kernelILi16EZZZNS0_15sin_kernel_cudaERNS_18TensorIteratorBaseEENKUlvE0_clEvENKUlvE1_clEvEUlN3c104HalfEE_St5arrayIPcLm2EEEEviT0_T1_
		.amdhsa_group_segment_fixed_size 0
		.amdhsa_private_segment_fixed_size 0
		.amdhsa_kernarg_size 24
		.amdhsa_user_sgpr_count 6
		.amdhsa_user_sgpr_private_segment_buffer 1
		.amdhsa_user_sgpr_dispatch_ptr 0
		.amdhsa_user_sgpr_queue_ptr 0
		.amdhsa_user_sgpr_kernarg_segment_ptr 1
		.amdhsa_user_sgpr_dispatch_id 0
		.amdhsa_user_sgpr_flat_scratch_init 0
		.amdhsa_user_sgpr_private_segment_size 0
		.amdhsa_wavefront_size32 1
		.amdhsa_uses_dynamic_stack 0
		.amdhsa_system_sgpr_private_segment_wavefront_offset 0
		.amdhsa_system_sgpr_workgroup_id_x 1
		.amdhsa_system_sgpr_workgroup_id_y 0
		.amdhsa_system_sgpr_workgroup_id_z 0
		.amdhsa_system_sgpr_workgroup_info 0
		.amdhsa_system_vgpr_workitem_id 0
		.amdhsa_next_free_vgpr 71
		.amdhsa_next_free_sgpr 33
		.amdhsa_reserve_vcc 1
		.amdhsa_reserve_flat_scratch 0
		.amdhsa_float_round_mode_32 0
		.amdhsa_float_round_mode_16_64 0
		.amdhsa_float_denorm_mode_32 3
		.amdhsa_float_denorm_mode_16_64 3
		.amdhsa_dx10_clamp 1
		.amdhsa_ieee_mode 1
		.amdhsa_fp16_overflow 0
		.amdhsa_workgroup_processor_mode 1
		.amdhsa_memory_ordered 1
		.amdhsa_forward_progress 1
		.amdhsa_shared_vgpr_count 0
		.amdhsa_exception_fp_ieee_invalid_op 0
		.amdhsa_exception_fp_denorm_src 0
		.amdhsa_exception_fp_ieee_div_zero 0
		.amdhsa_exception_fp_ieee_overflow 0
		.amdhsa_exception_fp_ieee_underflow 0
		.amdhsa_exception_fp_ieee_inexact 0
		.amdhsa_exception_int_div_zero 0
	.end_amdhsa_kernel
	.section	.text._ZN2at6native29vectorized_elementwise_kernelILi16EZZZNS0_15sin_kernel_cudaERNS_18TensorIteratorBaseEENKUlvE0_clEvENKUlvE1_clEvEUlN3c104HalfEE_St5arrayIPcLm2EEEEviT0_T1_,"axG",@progbits,_ZN2at6native29vectorized_elementwise_kernelILi16EZZZNS0_15sin_kernel_cudaERNS_18TensorIteratorBaseEENKUlvE0_clEvENKUlvE1_clEvEUlN3c104HalfEE_St5arrayIPcLm2EEEEviT0_T1_,comdat
.Lfunc_end18:
	.size	_ZN2at6native29vectorized_elementwise_kernelILi16EZZZNS0_15sin_kernel_cudaERNS_18TensorIteratorBaseEENKUlvE0_clEvENKUlvE1_clEvEUlN3c104HalfEE_St5arrayIPcLm2EEEEviT0_T1_, .Lfunc_end18-_ZN2at6native29vectorized_elementwise_kernelILi16EZZZNS0_15sin_kernel_cudaERNS_18TensorIteratorBaseEENKUlvE0_clEvENKUlvE1_clEvEUlN3c104HalfEE_St5arrayIPcLm2EEEEviT0_T1_
                                        ; -- End function
	.set _ZN2at6native29vectorized_elementwise_kernelILi16EZZZNS0_15sin_kernel_cudaERNS_18TensorIteratorBaseEENKUlvE0_clEvENKUlvE1_clEvEUlN3c104HalfEE_St5arrayIPcLm2EEEEviT0_T1_.num_vgpr, max(41, .L_ZN2at6native25elementwise_kernel_helperILb0EZZZNS0_15sin_kernel_cudaERNS_18TensorIteratorBaseEENKUlvE0_clEvENKUlvE1_clEvEUlN3c104HalfEE_NS0_6memory8policies10vectorizedILi8ESt5arrayIPcLm2EELi8EEEEEvT0_T1_.num_vgpr, .L_ZN2at6native25elementwise_kernel_helperILb0EZZZNS0_15sin_kernel_cudaERNS_18TensorIteratorBaseEENKUlvE0_clEvENKUlvE1_clEvEUlN3c104HalfEE_NS0_6memory8policies11unroll_baseILi256ESt5arrayIPcLm2EE23TrivialOffsetCalculatorILi1EjESG_NS9_15LoadWithoutCastENS9_16StoreWithoutCastELi8ELi1EEEEEvT0_T1_.num_vgpr)
	.set _ZN2at6native29vectorized_elementwise_kernelILi16EZZZNS0_15sin_kernel_cudaERNS_18TensorIteratorBaseEENKUlvE0_clEvENKUlvE1_clEvEUlN3c104HalfEE_St5arrayIPcLm2EEEEviT0_T1_.num_agpr, max(0, .L_ZN2at6native25elementwise_kernel_helperILb0EZZZNS0_15sin_kernel_cudaERNS_18TensorIteratorBaseEENKUlvE0_clEvENKUlvE1_clEvEUlN3c104HalfEE_NS0_6memory8policies10vectorizedILi8ESt5arrayIPcLm2EELi8EEEEEvT0_T1_.num_agpr, .L_ZN2at6native25elementwise_kernel_helperILb0EZZZNS0_15sin_kernel_cudaERNS_18TensorIteratorBaseEENKUlvE0_clEvENKUlvE1_clEvEUlN3c104HalfEE_NS0_6memory8policies11unroll_baseILi256ESt5arrayIPcLm2EE23TrivialOffsetCalculatorILi1EjESG_NS9_15LoadWithoutCastENS9_16StoreWithoutCastELi8ELi1EEEEEvT0_T1_.num_agpr)
	.set _ZN2at6native29vectorized_elementwise_kernelILi16EZZZNS0_15sin_kernel_cudaERNS_18TensorIteratorBaseEENKUlvE0_clEvENKUlvE1_clEvEUlN3c104HalfEE_St5arrayIPcLm2EEEEviT0_T1_.numbered_sgpr, max(33, .L_ZN2at6native25elementwise_kernel_helperILb0EZZZNS0_15sin_kernel_cudaERNS_18TensorIteratorBaseEENKUlvE0_clEvENKUlvE1_clEvEUlN3c104HalfEE_NS0_6memory8policies10vectorizedILi8ESt5arrayIPcLm2EELi8EEEEEvT0_T1_.numbered_sgpr, .L_ZN2at6native25elementwise_kernel_helperILb0EZZZNS0_15sin_kernel_cudaERNS_18TensorIteratorBaseEENKUlvE0_clEvENKUlvE1_clEvEUlN3c104HalfEE_NS0_6memory8policies11unroll_baseILi256ESt5arrayIPcLm2EE23TrivialOffsetCalculatorILi1EjESG_NS9_15LoadWithoutCastENS9_16StoreWithoutCastELi8ELi1EEEEEvT0_T1_.numbered_sgpr)
	.set _ZN2at6native29vectorized_elementwise_kernelILi16EZZZNS0_15sin_kernel_cudaERNS_18TensorIteratorBaseEENKUlvE0_clEvENKUlvE1_clEvEUlN3c104HalfEE_St5arrayIPcLm2EEEEviT0_T1_.num_named_barrier, max(0, .L_ZN2at6native25elementwise_kernel_helperILb0EZZZNS0_15sin_kernel_cudaERNS_18TensorIteratorBaseEENKUlvE0_clEvENKUlvE1_clEvEUlN3c104HalfEE_NS0_6memory8policies10vectorizedILi8ESt5arrayIPcLm2EELi8EEEEEvT0_T1_.num_named_barrier, .L_ZN2at6native25elementwise_kernel_helperILb0EZZZNS0_15sin_kernel_cudaERNS_18TensorIteratorBaseEENKUlvE0_clEvENKUlvE1_clEvEUlN3c104HalfEE_NS0_6memory8policies11unroll_baseILi256ESt5arrayIPcLm2EE23TrivialOffsetCalculatorILi1EjESG_NS9_15LoadWithoutCastENS9_16StoreWithoutCastELi8ELi1EEEEEvT0_T1_.num_named_barrier)
	.set _ZN2at6native29vectorized_elementwise_kernelILi16EZZZNS0_15sin_kernel_cudaERNS_18TensorIteratorBaseEENKUlvE0_clEvENKUlvE1_clEvEUlN3c104HalfEE_St5arrayIPcLm2EEEEviT0_T1_.private_seg_size, 0+max(.L_ZN2at6native25elementwise_kernel_helperILb0EZZZNS0_15sin_kernel_cudaERNS_18TensorIteratorBaseEENKUlvE0_clEvENKUlvE1_clEvEUlN3c104HalfEE_NS0_6memory8policies10vectorizedILi8ESt5arrayIPcLm2EELi8EEEEEvT0_T1_.private_seg_size, .L_ZN2at6native25elementwise_kernel_helperILb0EZZZNS0_15sin_kernel_cudaERNS_18TensorIteratorBaseEENKUlvE0_clEvENKUlvE1_clEvEUlN3c104HalfEE_NS0_6memory8policies11unroll_baseILi256ESt5arrayIPcLm2EE23TrivialOffsetCalculatorILi1EjESG_NS9_15LoadWithoutCastENS9_16StoreWithoutCastELi8ELi1EEEEEvT0_T1_.private_seg_size)
	.set _ZN2at6native29vectorized_elementwise_kernelILi16EZZZNS0_15sin_kernel_cudaERNS_18TensorIteratorBaseEENKUlvE0_clEvENKUlvE1_clEvEUlN3c104HalfEE_St5arrayIPcLm2EEEEviT0_T1_.uses_vcc, or(1, .L_ZN2at6native25elementwise_kernel_helperILb0EZZZNS0_15sin_kernel_cudaERNS_18TensorIteratorBaseEENKUlvE0_clEvENKUlvE1_clEvEUlN3c104HalfEE_NS0_6memory8policies10vectorizedILi8ESt5arrayIPcLm2EELi8EEEEEvT0_T1_.uses_vcc, .L_ZN2at6native25elementwise_kernel_helperILb0EZZZNS0_15sin_kernel_cudaERNS_18TensorIteratorBaseEENKUlvE0_clEvENKUlvE1_clEvEUlN3c104HalfEE_NS0_6memory8policies11unroll_baseILi256ESt5arrayIPcLm2EE23TrivialOffsetCalculatorILi1EjESG_NS9_15LoadWithoutCastENS9_16StoreWithoutCastELi8ELi1EEEEEvT0_T1_.uses_vcc)
	.set _ZN2at6native29vectorized_elementwise_kernelILi16EZZZNS0_15sin_kernel_cudaERNS_18TensorIteratorBaseEENKUlvE0_clEvENKUlvE1_clEvEUlN3c104HalfEE_St5arrayIPcLm2EEEEviT0_T1_.uses_flat_scratch, or(0, .L_ZN2at6native25elementwise_kernel_helperILb0EZZZNS0_15sin_kernel_cudaERNS_18TensorIteratorBaseEENKUlvE0_clEvENKUlvE1_clEvEUlN3c104HalfEE_NS0_6memory8policies10vectorizedILi8ESt5arrayIPcLm2EELi8EEEEEvT0_T1_.uses_flat_scratch, .L_ZN2at6native25elementwise_kernel_helperILb0EZZZNS0_15sin_kernel_cudaERNS_18TensorIteratorBaseEENKUlvE0_clEvENKUlvE1_clEvEUlN3c104HalfEE_NS0_6memory8policies11unroll_baseILi256ESt5arrayIPcLm2EE23TrivialOffsetCalculatorILi1EjESG_NS9_15LoadWithoutCastENS9_16StoreWithoutCastELi8ELi1EEEEEvT0_T1_.uses_flat_scratch)
	.set _ZN2at6native29vectorized_elementwise_kernelILi16EZZZNS0_15sin_kernel_cudaERNS_18TensorIteratorBaseEENKUlvE0_clEvENKUlvE1_clEvEUlN3c104HalfEE_St5arrayIPcLm2EEEEviT0_T1_.has_dyn_sized_stack, or(0, .L_ZN2at6native25elementwise_kernel_helperILb0EZZZNS0_15sin_kernel_cudaERNS_18TensorIteratorBaseEENKUlvE0_clEvENKUlvE1_clEvEUlN3c104HalfEE_NS0_6memory8policies10vectorizedILi8ESt5arrayIPcLm2EELi8EEEEEvT0_T1_.has_dyn_sized_stack, .L_ZN2at6native25elementwise_kernel_helperILb0EZZZNS0_15sin_kernel_cudaERNS_18TensorIteratorBaseEENKUlvE0_clEvENKUlvE1_clEvEUlN3c104HalfEE_NS0_6memory8policies11unroll_baseILi256ESt5arrayIPcLm2EE23TrivialOffsetCalculatorILi1EjESG_NS9_15LoadWithoutCastENS9_16StoreWithoutCastELi8ELi1EEEEEvT0_T1_.has_dyn_sized_stack)
	.set _ZN2at6native29vectorized_elementwise_kernelILi16EZZZNS0_15sin_kernel_cudaERNS_18TensorIteratorBaseEENKUlvE0_clEvENKUlvE1_clEvEUlN3c104HalfEE_St5arrayIPcLm2EEEEviT0_T1_.has_recursion, or(0, .L_ZN2at6native25elementwise_kernel_helperILb0EZZZNS0_15sin_kernel_cudaERNS_18TensorIteratorBaseEENKUlvE0_clEvENKUlvE1_clEvEUlN3c104HalfEE_NS0_6memory8policies10vectorizedILi8ESt5arrayIPcLm2EELi8EEEEEvT0_T1_.has_recursion, .L_ZN2at6native25elementwise_kernel_helperILb0EZZZNS0_15sin_kernel_cudaERNS_18TensorIteratorBaseEENKUlvE0_clEvENKUlvE1_clEvEUlN3c104HalfEE_NS0_6memory8policies11unroll_baseILi256ESt5arrayIPcLm2EE23TrivialOffsetCalculatorILi1EjESG_NS9_15LoadWithoutCastENS9_16StoreWithoutCastELi8ELi1EEEEEvT0_T1_.has_recursion)
	.set _ZN2at6native29vectorized_elementwise_kernelILi16EZZZNS0_15sin_kernel_cudaERNS_18TensorIteratorBaseEENKUlvE0_clEvENKUlvE1_clEvEUlN3c104HalfEE_St5arrayIPcLm2EEEEviT0_T1_.has_indirect_call, or(0, .L_ZN2at6native25elementwise_kernel_helperILb0EZZZNS0_15sin_kernel_cudaERNS_18TensorIteratorBaseEENKUlvE0_clEvENKUlvE1_clEvEUlN3c104HalfEE_NS0_6memory8policies10vectorizedILi8ESt5arrayIPcLm2EELi8EEEEEvT0_T1_.has_indirect_call, .L_ZN2at6native25elementwise_kernel_helperILb0EZZZNS0_15sin_kernel_cudaERNS_18TensorIteratorBaseEENKUlvE0_clEvENKUlvE1_clEvEUlN3c104HalfEE_NS0_6memory8policies11unroll_baseILi256ESt5arrayIPcLm2EE23TrivialOffsetCalculatorILi1EjESG_NS9_15LoadWithoutCastENS9_16StoreWithoutCastELi8ELi1EEEEEvT0_T1_.has_indirect_call)
	.section	.AMDGPU.csdata,"",@progbits
; Kernel info:
; codeLenInByte = 176
; TotalNumSgprs: 35
; NumVgprs: 71
; ScratchSize: 0
; MemoryBound: 0
; FloatMode: 240
; IeeeMode: 1
; LDSByteSize: 0 bytes/workgroup (compile time only)
; SGPRBlocks: 0
; VGPRBlocks: 8
; NumSGPRsForWavesPerEU: 35
; NumVGPRsForWavesPerEU: 71
; Occupancy: 12
; WaveLimiterHint : 0
; COMPUTE_PGM_RSRC2:SCRATCH_EN: 0
; COMPUTE_PGM_RSRC2:USER_SGPR: 6
; COMPUTE_PGM_RSRC2:TRAP_HANDLER: 0
; COMPUTE_PGM_RSRC2:TGID_X_EN: 1
; COMPUTE_PGM_RSRC2:TGID_Y_EN: 0
; COMPUTE_PGM_RSRC2:TGID_Z_EN: 0
; COMPUTE_PGM_RSRC2:TIDIG_COMP_CNT: 0
	.section	.text._ZN2at6native29vectorized_elementwise_kernelILi8EZZZNS0_15sin_kernel_cudaERNS_18TensorIteratorBaseEENKUlvE0_clEvENKUlvE1_clEvEUlN3c104HalfEE_St5arrayIPcLm2EEEEviT0_T1_,"axG",@progbits,_ZN2at6native29vectorized_elementwise_kernelILi8EZZZNS0_15sin_kernel_cudaERNS_18TensorIteratorBaseEENKUlvE0_clEvENKUlvE1_clEvEUlN3c104HalfEE_St5arrayIPcLm2EEEEviT0_T1_,comdat
	.globl	_ZN2at6native29vectorized_elementwise_kernelILi8EZZZNS0_15sin_kernel_cudaERNS_18TensorIteratorBaseEENKUlvE0_clEvENKUlvE1_clEvEUlN3c104HalfEE_St5arrayIPcLm2EEEEviT0_T1_ ; -- Begin function _ZN2at6native29vectorized_elementwise_kernelILi8EZZZNS0_15sin_kernel_cudaERNS_18TensorIteratorBaseEENKUlvE0_clEvENKUlvE1_clEvEUlN3c104HalfEE_St5arrayIPcLm2EEEEviT0_T1_
	.p2align	8
	.type	_ZN2at6native29vectorized_elementwise_kernelILi8EZZZNS0_15sin_kernel_cudaERNS_18TensorIteratorBaseEENKUlvE0_clEvENKUlvE1_clEvEUlN3c104HalfEE_St5arrayIPcLm2EEEEviT0_T1_,@function
_ZN2at6native29vectorized_elementwise_kernelILi8EZZZNS0_15sin_kernel_cudaERNS_18TensorIteratorBaseEENKUlvE0_clEvENKUlvE1_clEvEUlN3c104HalfEE_St5arrayIPcLm2EEEEviT0_T1_: ; @_ZN2at6native29vectorized_elementwise_kernelILi8EZZZNS0_15sin_kernel_cudaERNS_18TensorIteratorBaseEENKUlvE0_clEvENKUlvE1_clEvEUlN3c104HalfEE_St5arrayIPcLm2EEEEviT0_T1_
; %bb.0:
	s_mov_b32 s12, s6
	s_clause 0x1
	s_load_dword s6, s[4:5], 0x0
	s_load_dwordx4 s[16:19], s[4:5], 0x8
	s_add_u32 s0, s0, s7
	s_addc_u32 s1, s1, 0
	s_lshl_b32 s4, s12, 11
	v_mov_b32_e32 v40, v0
	s_mov_b32 s32, 0
	s_waitcnt lgkmcnt(0)
	s_sub_i32 s9, s6, s4
	s_mov_b32 s4, -1
	s_cmpk_gt_i32 s9, 0x7ff
	s_cbranch_scc1 .LBB19_3
; %bb.1:
	s_andn2_b32 vcc_lo, exec_lo, s4
	s_cbranch_vccz .LBB19_4
.LBB19_2:
	s_endpgm
.LBB19_3:
	v_mov_b32_e32 v31, v40
	v_mov_b32_e32 v0, s16
	;; [unrolled: 1-line block ×5, first 2 shown]
	s_getpc_b64 s[4:5]
	s_add_u32 s4, s4, _ZN2at6native25elementwise_kernel_helperILb0EZZZNS0_15sin_kernel_cudaERNS_18TensorIteratorBaseEENKUlvE0_clEvENKUlvE1_clEvEUlN3c104HalfEE_NS0_6memory8policies10vectorizedILi8ESt5arrayIPcLm2EELi8EEEEEvT0_T1_@rel32@lo+4
	s_addc_u32 s5, s5, _ZN2at6native25elementwise_kernel_helperILb0EZZZNS0_15sin_kernel_cudaERNS_18TensorIteratorBaseEENKUlvE0_clEvENKUlvE1_clEvEUlN3c104HalfEE_NS0_6memory8policies10vectorizedILi8ESt5arrayIPcLm2EELi8EEEEEvT0_T1_@rel32@hi+12
	s_swappc_b64 s[30:31], s[4:5]
	s_cbranch_execnz .LBB19_2
.LBB19_4:
	v_mov_b32_e32 v31, v40
	v_mov_b32_e32 v0, s16
	;; [unrolled: 1-line block ×6, first 2 shown]
	s_getpc_b64 s[4:5]
	s_add_u32 s4, s4, _ZN2at6native25elementwise_kernel_helperILb0EZZZNS0_15sin_kernel_cudaERNS_18TensorIteratorBaseEENKUlvE0_clEvENKUlvE1_clEvEUlN3c104HalfEE_NS0_6memory8policies11unroll_baseILi256ESt5arrayIPcLm2EE23TrivialOffsetCalculatorILi1EjESG_NS9_15LoadWithoutCastENS9_16StoreWithoutCastELi8ELi1EEEEEvT0_T1_@rel32@lo+4
	s_addc_u32 s5, s5, _ZN2at6native25elementwise_kernel_helperILb0EZZZNS0_15sin_kernel_cudaERNS_18TensorIteratorBaseEENKUlvE0_clEvENKUlvE1_clEvEUlN3c104HalfEE_NS0_6memory8policies11unroll_baseILi256ESt5arrayIPcLm2EE23TrivialOffsetCalculatorILi1EjESG_NS9_15LoadWithoutCastENS9_16StoreWithoutCastELi8ELi1EEEEEvT0_T1_@rel32@hi+12
	s_swappc_b64 s[30:31], s[4:5]
	s_endpgm
	.section	.rodata,"a",@progbits
	.p2align	6, 0x0
	.amdhsa_kernel _ZN2at6native29vectorized_elementwise_kernelILi8EZZZNS0_15sin_kernel_cudaERNS_18TensorIteratorBaseEENKUlvE0_clEvENKUlvE1_clEvEUlN3c104HalfEE_St5arrayIPcLm2EEEEviT0_T1_
		.amdhsa_group_segment_fixed_size 0
		.amdhsa_private_segment_fixed_size 0
		.amdhsa_kernarg_size 24
		.amdhsa_user_sgpr_count 6
		.amdhsa_user_sgpr_private_segment_buffer 1
		.amdhsa_user_sgpr_dispatch_ptr 0
		.amdhsa_user_sgpr_queue_ptr 0
		.amdhsa_user_sgpr_kernarg_segment_ptr 1
		.amdhsa_user_sgpr_dispatch_id 0
		.amdhsa_user_sgpr_flat_scratch_init 0
		.amdhsa_user_sgpr_private_segment_size 0
		.amdhsa_wavefront_size32 1
		.amdhsa_uses_dynamic_stack 0
		.amdhsa_system_sgpr_private_segment_wavefront_offset 0
		.amdhsa_system_sgpr_workgroup_id_x 1
		.amdhsa_system_sgpr_workgroup_id_y 0
		.amdhsa_system_sgpr_workgroup_id_z 0
		.amdhsa_system_sgpr_workgroup_info 0
		.amdhsa_system_vgpr_workitem_id 0
		.amdhsa_next_free_vgpr 71
		.amdhsa_next_free_sgpr 33
		.amdhsa_reserve_vcc 1
		.amdhsa_reserve_flat_scratch 0
		.amdhsa_float_round_mode_32 0
		.amdhsa_float_round_mode_16_64 0
		.amdhsa_float_denorm_mode_32 3
		.amdhsa_float_denorm_mode_16_64 3
		.amdhsa_dx10_clamp 1
		.amdhsa_ieee_mode 1
		.amdhsa_fp16_overflow 0
		.amdhsa_workgroup_processor_mode 1
		.amdhsa_memory_ordered 1
		.amdhsa_forward_progress 1
		.amdhsa_shared_vgpr_count 0
		.amdhsa_exception_fp_ieee_invalid_op 0
		.amdhsa_exception_fp_denorm_src 0
		.amdhsa_exception_fp_ieee_div_zero 0
		.amdhsa_exception_fp_ieee_overflow 0
		.amdhsa_exception_fp_ieee_underflow 0
		.amdhsa_exception_fp_ieee_inexact 0
		.amdhsa_exception_int_div_zero 0
	.end_amdhsa_kernel
	.section	.text._ZN2at6native29vectorized_elementwise_kernelILi8EZZZNS0_15sin_kernel_cudaERNS_18TensorIteratorBaseEENKUlvE0_clEvENKUlvE1_clEvEUlN3c104HalfEE_St5arrayIPcLm2EEEEviT0_T1_,"axG",@progbits,_ZN2at6native29vectorized_elementwise_kernelILi8EZZZNS0_15sin_kernel_cudaERNS_18TensorIteratorBaseEENKUlvE0_clEvENKUlvE1_clEvEUlN3c104HalfEE_St5arrayIPcLm2EEEEviT0_T1_,comdat
.Lfunc_end19:
	.size	_ZN2at6native29vectorized_elementwise_kernelILi8EZZZNS0_15sin_kernel_cudaERNS_18TensorIteratorBaseEENKUlvE0_clEvENKUlvE1_clEvEUlN3c104HalfEE_St5arrayIPcLm2EEEEviT0_T1_, .Lfunc_end19-_ZN2at6native29vectorized_elementwise_kernelILi8EZZZNS0_15sin_kernel_cudaERNS_18TensorIteratorBaseEENKUlvE0_clEvENKUlvE1_clEvEUlN3c104HalfEE_St5arrayIPcLm2EEEEviT0_T1_
                                        ; -- End function
	.set _ZN2at6native29vectorized_elementwise_kernelILi8EZZZNS0_15sin_kernel_cudaERNS_18TensorIteratorBaseEENKUlvE0_clEvENKUlvE1_clEvEUlN3c104HalfEE_St5arrayIPcLm2EEEEviT0_T1_.num_vgpr, max(41, .L_ZN2at6native25elementwise_kernel_helperILb0EZZZNS0_15sin_kernel_cudaERNS_18TensorIteratorBaseEENKUlvE0_clEvENKUlvE1_clEvEUlN3c104HalfEE_NS0_6memory8policies10vectorizedILi8ESt5arrayIPcLm2EELi8EEEEEvT0_T1_.num_vgpr, .L_ZN2at6native25elementwise_kernel_helperILb0EZZZNS0_15sin_kernel_cudaERNS_18TensorIteratorBaseEENKUlvE0_clEvENKUlvE1_clEvEUlN3c104HalfEE_NS0_6memory8policies11unroll_baseILi256ESt5arrayIPcLm2EE23TrivialOffsetCalculatorILi1EjESG_NS9_15LoadWithoutCastENS9_16StoreWithoutCastELi8ELi1EEEEEvT0_T1_.num_vgpr)
	.set _ZN2at6native29vectorized_elementwise_kernelILi8EZZZNS0_15sin_kernel_cudaERNS_18TensorIteratorBaseEENKUlvE0_clEvENKUlvE1_clEvEUlN3c104HalfEE_St5arrayIPcLm2EEEEviT0_T1_.num_agpr, max(0, .L_ZN2at6native25elementwise_kernel_helperILb0EZZZNS0_15sin_kernel_cudaERNS_18TensorIteratorBaseEENKUlvE0_clEvENKUlvE1_clEvEUlN3c104HalfEE_NS0_6memory8policies10vectorizedILi8ESt5arrayIPcLm2EELi8EEEEEvT0_T1_.num_agpr, .L_ZN2at6native25elementwise_kernel_helperILb0EZZZNS0_15sin_kernel_cudaERNS_18TensorIteratorBaseEENKUlvE0_clEvENKUlvE1_clEvEUlN3c104HalfEE_NS0_6memory8policies11unroll_baseILi256ESt5arrayIPcLm2EE23TrivialOffsetCalculatorILi1EjESG_NS9_15LoadWithoutCastENS9_16StoreWithoutCastELi8ELi1EEEEEvT0_T1_.num_agpr)
	.set _ZN2at6native29vectorized_elementwise_kernelILi8EZZZNS0_15sin_kernel_cudaERNS_18TensorIteratorBaseEENKUlvE0_clEvENKUlvE1_clEvEUlN3c104HalfEE_St5arrayIPcLm2EEEEviT0_T1_.numbered_sgpr, max(33, .L_ZN2at6native25elementwise_kernel_helperILb0EZZZNS0_15sin_kernel_cudaERNS_18TensorIteratorBaseEENKUlvE0_clEvENKUlvE1_clEvEUlN3c104HalfEE_NS0_6memory8policies10vectorizedILi8ESt5arrayIPcLm2EELi8EEEEEvT0_T1_.numbered_sgpr, .L_ZN2at6native25elementwise_kernel_helperILb0EZZZNS0_15sin_kernel_cudaERNS_18TensorIteratorBaseEENKUlvE0_clEvENKUlvE1_clEvEUlN3c104HalfEE_NS0_6memory8policies11unroll_baseILi256ESt5arrayIPcLm2EE23TrivialOffsetCalculatorILi1EjESG_NS9_15LoadWithoutCastENS9_16StoreWithoutCastELi8ELi1EEEEEvT0_T1_.numbered_sgpr)
	.set _ZN2at6native29vectorized_elementwise_kernelILi8EZZZNS0_15sin_kernel_cudaERNS_18TensorIteratorBaseEENKUlvE0_clEvENKUlvE1_clEvEUlN3c104HalfEE_St5arrayIPcLm2EEEEviT0_T1_.num_named_barrier, max(0, .L_ZN2at6native25elementwise_kernel_helperILb0EZZZNS0_15sin_kernel_cudaERNS_18TensorIteratorBaseEENKUlvE0_clEvENKUlvE1_clEvEUlN3c104HalfEE_NS0_6memory8policies10vectorizedILi8ESt5arrayIPcLm2EELi8EEEEEvT0_T1_.num_named_barrier, .L_ZN2at6native25elementwise_kernel_helperILb0EZZZNS0_15sin_kernel_cudaERNS_18TensorIteratorBaseEENKUlvE0_clEvENKUlvE1_clEvEUlN3c104HalfEE_NS0_6memory8policies11unroll_baseILi256ESt5arrayIPcLm2EE23TrivialOffsetCalculatorILi1EjESG_NS9_15LoadWithoutCastENS9_16StoreWithoutCastELi8ELi1EEEEEvT0_T1_.num_named_barrier)
	.set _ZN2at6native29vectorized_elementwise_kernelILi8EZZZNS0_15sin_kernel_cudaERNS_18TensorIteratorBaseEENKUlvE0_clEvENKUlvE1_clEvEUlN3c104HalfEE_St5arrayIPcLm2EEEEviT0_T1_.private_seg_size, 0+max(.L_ZN2at6native25elementwise_kernel_helperILb0EZZZNS0_15sin_kernel_cudaERNS_18TensorIteratorBaseEENKUlvE0_clEvENKUlvE1_clEvEUlN3c104HalfEE_NS0_6memory8policies10vectorizedILi8ESt5arrayIPcLm2EELi8EEEEEvT0_T1_.private_seg_size, .L_ZN2at6native25elementwise_kernel_helperILb0EZZZNS0_15sin_kernel_cudaERNS_18TensorIteratorBaseEENKUlvE0_clEvENKUlvE1_clEvEUlN3c104HalfEE_NS0_6memory8policies11unroll_baseILi256ESt5arrayIPcLm2EE23TrivialOffsetCalculatorILi1EjESG_NS9_15LoadWithoutCastENS9_16StoreWithoutCastELi8ELi1EEEEEvT0_T1_.private_seg_size)
	.set _ZN2at6native29vectorized_elementwise_kernelILi8EZZZNS0_15sin_kernel_cudaERNS_18TensorIteratorBaseEENKUlvE0_clEvENKUlvE1_clEvEUlN3c104HalfEE_St5arrayIPcLm2EEEEviT0_T1_.uses_vcc, or(1, .L_ZN2at6native25elementwise_kernel_helperILb0EZZZNS0_15sin_kernel_cudaERNS_18TensorIteratorBaseEENKUlvE0_clEvENKUlvE1_clEvEUlN3c104HalfEE_NS0_6memory8policies10vectorizedILi8ESt5arrayIPcLm2EELi8EEEEEvT0_T1_.uses_vcc, .L_ZN2at6native25elementwise_kernel_helperILb0EZZZNS0_15sin_kernel_cudaERNS_18TensorIteratorBaseEENKUlvE0_clEvENKUlvE1_clEvEUlN3c104HalfEE_NS0_6memory8policies11unroll_baseILi256ESt5arrayIPcLm2EE23TrivialOffsetCalculatorILi1EjESG_NS9_15LoadWithoutCastENS9_16StoreWithoutCastELi8ELi1EEEEEvT0_T1_.uses_vcc)
	.set _ZN2at6native29vectorized_elementwise_kernelILi8EZZZNS0_15sin_kernel_cudaERNS_18TensorIteratorBaseEENKUlvE0_clEvENKUlvE1_clEvEUlN3c104HalfEE_St5arrayIPcLm2EEEEviT0_T1_.uses_flat_scratch, or(0, .L_ZN2at6native25elementwise_kernel_helperILb0EZZZNS0_15sin_kernel_cudaERNS_18TensorIteratorBaseEENKUlvE0_clEvENKUlvE1_clEvEUlN3c104HalfEE_NS0_6memory8policies10vectorizedILi8ESt5arrayIPcLm2EELi8EEEEEvT0_T1_.uses_flat_scratch, .L_ZN2at6native25elementwise_kernel_helperILb0EZZZNS0_15sin_kernel_cudaERNS_18TensorIteratorBaseEENKUlvE0_clEvENKUlvE1_clEvEUlN3c104HalfEE_NS0_6memory8policies11unroll_baseILi256ESt5arrayIPcLm2EE23TrivialOffsetCalculatorILi1EjESG_NS9_15LoadWithoutCastENS9_16StoreWithoutCastELi8ELi1EEEEEvT0_T1_.uses_flat_scratch)
	.set _ZN2at6native29vectorized_elementwise_kernelILi8EZZZNS0_15sin_kernel_cudaERNS_18TensorIteratorBaseEENKUlvE0_clEvENKUlvE1_clEvEUlN3c104HalfEE_St5arrayIPcLm2EEEEviT0_T1_.has_dyn_sized_stack, or(0, .L_ZN2at6native25elementwise_kernel_helperILb0EZZZNS0_15sin_kernel_cudaERNS_18TensorIteratorBaseEENKUlvE0_clEvENKUlvE1_clEvEUlN3c104HalfEE_NS0_6memory8policies10vectorizedILi8ESt5arrayIPcLm2EELi8EEEEEvT0_T1_.has_dyn_sized_stack, .L_ZN2at6native25elementwise_kernel_helperILb0EZZZNS0_15sin_kernel_cudaERNS_18TensorIteratorBaseEENKUlvE0_clEvENKUlvE1_clEvEUlN3c104HalfEE_NS0_6memory8policies11unroll_baseILi256ESt5arrayIPcLm2EE23TrivialOffsetCalculatorILi1EjESG_NS9_15LoadWithoutCastENS9_16StoreWithoutCastELi8ELi1EEEEEvT0_T1_.has_dyn_sized_stack)
	.set _ZN2at6native29vectorized_elementwise_kernelILi8EZZZNS0_15sin_kernel_cudaERNS_18TensorIteratorBaseEENKUlvE0_clEvENKUlvE1_clEvEUlN3c104HalfEE_St5arrayIPcLm2EEEEviT0_T1_.has_recursion, or(0, .L_ZN2at6native25elementwise_kernel_helperILb0EZZZNS0_15sin_kernel_cudaERNS_18TensorIteratorBaseEENKUlvE0_clEvENKUlvE1_clEvEUlN3c104HalfEE_NS0_6memory8policies10vectorizedILi8ESt5arrayIPcLm2EELi8EEEEEvT0_T1_.has_recursion, .L_ZN2at6native25elementwise_kernel_helperILb0EZZZNS0_15sin_kernel_cudaERNS_18TensorIteratorBaseEENKUlvE0_clEvENKUlvE1_clEvEUlN3c104HalfEE_NS0_6memory8policies11unroll_baseILi256ESt5arrayIPcLm2EE23TrivialOffsetCalculatorILi1EjESG_NS9_15LoadWithoutCastENS9_16StoreWithoutCastELi8ELi1EEEEEvT0_T1_.has_recursion)
	.set _ZN2at6native29vectorized_elementwise_kernelILi8EZZZNS0_15sin_kernel_cudaERNS_18TensorIteratorBaseEENKUlvE0_clEvENKUlvE1_clEvEUlN3c104HalfEE_St5arrayIPcLm2EEEEviT0_T1_.has_indirect_call, or(0, .L_ZN2at6native25elementwise_kernel_helperILb0EZZZNS0_15sin_kernel_cudaERNS_18TensorIteratorBaseEENKUlvE0_clEvENKUlvE1_clEvEUlN3c104HalfEE_NS0_6memory8policies10vectorizedILi8ESt5arrayIPcLm2EELi8EEEEEvT0_T1_.has_indirect_call, .L_ZN2at6native25elementwise_kernel_helperILb0EZZZNS0_15sin_kernel_cudaERNS_18TensorIteratorBaseEENKUlvE0_clEvENKUlvE1_clEvEUlN3c104HalfEE_NS0_6memory8policies11unroll_baseILi256ESt5arrayIPcLm2EE23TrivialOffsetCalculatorILi1EjESG_NS9_15LoadWithoutCastENS9_16StoreWithoutCastELi8ELi1EEEEEvT0_T1_.has_indirect_call)
	.section	.AMDGPU.csdata,"",@progbits
; Kernel info:
; codeLenInByte = 176
; TotalNumSgprs: 35
; NumVgprs: 71
; ScratchSize: 0
; MemoryBound: 0
; FloatMode: 240
; IeeeMode: 1
; LDSByteSize: 0 bytes/workgroup (compile time only)
; SGPRBlocks: 0
; VGPRBlocks: 8
; NumSGPRsForWavesPerEU: 35
; NumVGPRsForWavesPerEU: 71
; Occupancy: 12
; WaveLimiterHint : 0
; COMPUTE_PGM_RSRC2:SCRATCH_EN: 0
; COMPUTE_PGM_RSRC2:USER_SGPR: 6
; COMPUTE_PGM_RSRC2:TRAP_HANDLER: 0
; COMPUTE_PGM_RSRC2:TGID_X_EN: 1
; COMPUTE_PGM_RSRC2:TGID_Y_EN: 0
; COMPUTE_PGM_RSRC2:TGID_Z_EN: 0
; COMPUTE_PGM_RSRC2:TIDIG_COMP_CNT: 0
	.section	.text._ZN2at6native29vectorized_elementwise_kernelILi4EZZZNS0_15sin_kernel_cudaERNS_18TensorIteratorBaseEENKUlvE0_clEvENKUlvE1_clEvEUlN3c104HalfEE_St5arrayIPcLm2EEEEviT0_T1_,"axG",@progbits,_ZN2at6native29vectorized_elementwise_kernelILi4EZZZNS0_15sin_kernel_cudaERNS_18TensorIteratorBaseEENKUlvE0_clEvENKUlvE1_clEvEUlN3c104HalfEE_St5arrayIPcLm2EEEEviT0_T1_,comdat
	.globl	_ZN2at6native29vectorized_elementwise_kernelILi4EZZZNS0_15sin_kernel_cudaERNS_18TensorIteratorBaseEENKUlvE0_clEvENKUlvE1_clEvEUlN3c104HalfEE_St5arrayIPcLm2EEEEviT0_T1_ ; -- Begin function _ZN2at6native29vectorized_elementwise_kernelILi4EZZZNS0_15sin_kernel_cudaERNS_18TensorIteratorBaseEENKUlvE0_clEvENKUlvE1_clEvEUlN3c104HalfEE_St5arrayIPcLm2EEEEviT0_T1_
	.p2align	8
	.type	_ZN2at6native29vectorized_elementwise_kernelILi4EZZZNS0_15sin_kernel_cudaERNS_18TensorIteratorBaseEENKUlvE0_clEvENKUlvE1_clEvEUlN3c104HalfEE_St5arrayIPcLm2EEEEviT0_T1_,@function
_ZN2at6native29vectorized_elementwise_kernelILi4EZZZNS0_15sin_kernel_cudaERNS_18TensorIteratorBaseEENKUlvE0_clEvENKUlvE1_clEvEUlN3c104HalfEE_St5arrayIPcLm2EEEEviT0_T1_: ; @_ZN2at6native29vectorized_elementwise_kernelILi4EZZZNS0_15sin_kernel_cudaERNS_18TensorIteratorBaseEENKUlvE0_clEvENKUlvE1_clEvEUlN3c104HalfEE_St5arrayIPcLm2EEEEviT0_T1_
; %bb.0:
	s_add_u32 s0, s0, s7
	s_clause 0x1
	s_load_dword s7, s[4:5], 0x0
	s_load_dwordx4 s[8:11], s[4:5], 0x8
	s_addc_u32 s1, s1, 0
	s_lshl_b32 s4, s6, 11
	s_mov_b32 s12, -1
	s_mov_b32 s32, 0
	s_waitcnt lgkmcnt(0)
	s_sub_i32 s7, s7, s4
	s_cmpk_gt_i32 s7, 0x7ff
	s_cbranch_scc1 .LBB20_3
; %bb.1:
	s_and_b32 vcc_lo, exec_lo, s12
	s_cbranch_vccnz .LBB20_36
.LBB20_2:
	s_endpgm
.LBB20_3:
	s_ashr_i32 s5, s4, 31
	v_lshlrev_b32_e32 v7, 3, v0
	s_lshl_b64 s[12:13], s[4:5], 1
	v_mov_b32_e32 v6, 0
	s_add_u32 s4, s10, s12
	s_addc_u32 s5, s11, s13
                                        ; implicit-def: $vgpr10
                                        ; implicit-def: $vgpr5
	global_load_dwordx2 v[3:4], v7, s[4:5]
	v_add_co_u32 v1, s4, s4, v7
	v_add_co_ci_u32_e64 v2, null, s5, 0, s4
	s_mov_b32 s5, exec_lo
	v_add_co_u32 v1, vcc_lo, 0x800, v1
	v_add_co_ci_u32_e64 v2, null, 0, v2, vcc_lo
	global_load_dwordx2 v[1:2], v[1:2], off
	s_waitcnt vmcnt(1)
	v_cvt_f32_f16_e32 v8, v3
	v_and_b32_e32 v9, 0x7fffffff, v8
	v_cmpx_ngt_f32_e64 0x48000000, |v8|
	s_xor_b32 s14, exec_lo, s5
	s_cbranch_execz .LBB20_5
; %bb.4:
	s_mov_b32 s4, 0x7fffff
	v_lshrrev_b32_e32 v15, 23, v9
	v_and_or_b32 v17, v9, s4, 0x800000
	v_add_nc_u32_e32 v16, 0xffffff88, v15
	v_mad_u64_u32 v[10:11], null, 0xfe5163ab, v17, 0
	v_cmp_lt_u32_e32 vcc_lo, 63, v16
	v_mov_b32_e32 v5, v11
	v_cndmask_b32_e64 v18, 0, 0xffffffc0, vcc_lo
	v_mad_u64_u32 v[11:12], null, 0x3c439041, v17, v[5:6]
	v_add_nc_u32_e32 v18, v18, v16
	v_cmp_lt_u32_e64 s4, 31, v18
	v_mov_b32_e32 v5, v12
	v_cndmask_b32_e64 v19, 0, 0xffffffe0, s4
	v_mad_u64_u32 v[12:13], null, 0xdb629599, v17, v[5:6]
	v_mov_b32_e32 v5, v13
	v_cndmask_b32_e32 v10, v12, v10, vcc_lo
	v_mad_u64_u32 v[13:14], null, 0xf534ddc0, v17, v[5:6]
	v_mov_b32_e32 v5, v14
	v_cndmask_b32_e32 v11, v13, v11, vcc_lo
	v_mad_u64_u32 v[14:15], null, 0xfc2757d1, v17, v[5:6]
	v_cndmask_b32_e64 v10, v11, v10, s4
	v_mov_b32_e32 v5, v15
	v_mad_u64_u32 v[15:16], null, 0x4e441529, v17, v[5:6]
	v_mov_b32_e32 v5, v16
	v_add_nc_u32_e32 v16, v19, v18
	v_cndmask_b32_e32 v18, v15, v13, vcc_lo
	v_mad_u64_u32 v[5:6], null, 0xa2f9836e, v17, v[5:6]
	v_cmp_lt_u32_e64 s5, 31, v16
	v_cndmask_b32_e64 v17, 0, 0xffffffe0, s5
	v_cndmask_b32_e32 v5, v5, v14, vcc_lo
	v_cndmask_b32_e32 v6, v6, v15, vcc_lo
	;; [unrolled: 1-line block ×3, first 2 shown]
	v_add_nc_u32_e32 v15, v17, v16
	v_cndmask_b32_e64 v13, v5, v18, s4
	v_cndmask_b32_e64 v5, v6, v5, s4
	;; [unrolled: 1-line block ×4, first 2 shown]
	v_sub_nc_u32_e32 v16, 32, v15
	v_cmp_eq_u32_e32 vcc_lo, 0, v15
	v_cndmask_b32_e64 v5, v5, v13, s5
	v_cndmask_b32_e64 v13, v13, v6, s5
	;; [unrolled: 1-line block ×4, first 2 shown]
	v_alignbit_b32 v17, v5, v13, v16
	v_alignbit_b32 v12, v13, v6, v16
	v_alignbit_b32 v15, v6, v10, v16
	v_cndmask_b32_e32 v5, v17, v5, vcc_lo
	v_cndmask_b32_e32 v11, v12, v13, vcc_lo
	;; [unrolled: 1-line block ×3, first 2 shown]
	v_bfe_u32 v12, v5, 29, 1
	v_alignbit_b32 v13, v5, v11, 30
	v_alignbit_b32 v11, v11, v6, 30
	;; [unrolled: 1-line block ×3, first 2 shown]
	v_sub_nc_u32_e32 v14, 0, v12
	v_xor_b32_e32 v13, v13, v14
	v_xor_b32_e32 v10, v11, v14
	;; [unrolled: 1-line block ×3, first 2 shown]
	v_lshrrev_b32_e32 v14, 29, v5
	v_ffbh_u32_e32 v15, v13
	v_min_u32_e32 v15, 32, v15
	v_sub_nc_u32_e32 v11, 31, v15
	v_lshlrev_b32_e32 v16, 23, v15
	v_alignbit_b32 v13, v13, v10, v11
	v_alignbit_b32 v6, v10, v6, v11
	v_lshlrev_b32_e32 v10, 31, v14
	v_alignbit_b32 v11, v13, v6, 9
	v_or_b32_e32 v14, 0.5, v10
	v_lshrrev_b32_e32 v13, 9, v13
	v_or_b32_e32 v10, 0x33000000, v10
	v_ffbh_u32_e32 v17, v11
	v_sub_nc_u32_e32 v14, v14, v16
	v_min_u32_e32 v16, 32, v17
	v_or_b32_e32 v13, v13, v14
	v_not_b32_e32 v14, v16
	v_mul_f32_e32 v17, 0x3fc90fda, v13
	v_add_lshl_u32 v15, v16, v15, 23
	v_alignbit_b32 v6, v11, v6, v14
	v_fma_f32 v11, 0x3fc90fda, v13, -v17
	v_sub_nc_u32_e32 v10, v10, v15
	v_lshrrev_b32_e32 v6, 9, v6
	v_fmamk_f32 v11, v13, 0x33a22168, v11
	v_or_b32_e32 v6, v10, v6
	v_fmac_f32_e32 v11, 0x3fc90fda, v6
	v_lshrrev_b32_e32 v6, 30, v5
	v_add_f32_e32 v5, v17, v11
	v_add_nc_u32_e32 v10, v12, v6
.LBB20_5:
	s_andn2_saveexec_b32 s4, s14
; %bb.6:
	v_mul_f32_e64 v5, 0x3f22f983, |v8|
	v_rndne_f32_e32 v6, v5
	v_fma_f32 v5, 0xbfc90fda, v6, |v8|
	v_cvt_i32_f32_e32 v10, v6
	v_fmamk_f32 v5, v6, 0xb3a22168, v5
	v_fmamk_f32 v5, v6, 0xa7c234c4, v5
; %bb.7:
	s_or_b32 exec_lo, exec_lo, s4
	v_cvt_f32_f16_sdwa v3, v3 dst_sel:DWORD dst_unused:UNUSED_PAD src0_sel:WORD_1
                                        ; implicit-def: $vgpr14
                                        ; implicit-def: $vgpr12
	s_mov_b32 s5, exec_lo
	v_and_b32_e32 v6, 0x7fffffff, v3
	v_cmpx_ngt_f32_e64 0x48000000, |v3|
	s_xor_b32 s14, exec_lo, s5
	s_cbranch_execz .LBB20_9
; %bb.8:
	s_mov_b32 s4, 0x7fffff
	v_mov_b32_e32 v13, 0
	v_and_or_b32 v20, v6, s4, 0x800000
	v_lshrrev_b32_e32 v18, 23, v6
	v_mad_u64_u32 v[11:12], null, 0xfe5163ab, v20, 0
	v_add_nc_u32_e32 v19, 0xffffff88, v18
	v_cmp_lt_u32_e32 vcc_lo, 63, v19
	v_mad_u64_u32 v[14:15], null, 0x3c439041, v20, v[12:13]
	v_cndmask_b32_e64 v21, 0, 0xffffffc0, vcc_lo
	v_mov_b32_e32 v12, v15
	v_add_nc_u32_e32 v21, v21, v19
	v_mad_u64_u32 v[15:16], null, 0xdb629599, v20, v[12:13]
	v_cmp_lt_u32_e64 s4, 31, v21
	v_cndmask_b32_e64 v22, 0, 0xffffffe0, s4
	v_mov_b32_e32 v12, v16
	v_cndmask_b32_e32 v11, v15, v11, vcc_lo
	v_mad_u64_u32 v[16:17], null, 0xf534ddc0, v20, v[12:13]
	v_mov_b32_e32 v12, v17
	v_cndmask_b32_e32 v14, v16, v14, vcc_lo
	v_mad_u64_u32 v[17:18], null, 0xfc2757d1, v20, v[12:13]
	v_cndmask_b32_e64 v11, v14, v11, s4
	v_mov_b32_e32 v12, v18
	v_mad_u64_u32 v[18:19], null, 0x4e441529, v20, v[12:13]
	v_mov_b32_e32 v12, v19
	v_add_nc_u32_e32 v19, v22, v21
	v_cndmask_b32_e32 v21, v18, v16, vcc_lo
	v_mad_u64_u32 v[12:13], null, 0xa2f9836e, v20, v[12:13]
	v_cmp_lt_u32_e64 s5, 31, v19
	v_cndmask_b32_e64 v20, 0, 0xffffffe0, s5
	v_cndmask_b32_e32 v12, v12, v17, vcc_lo
	v_cndmask_b32_e32 v13, v13, v18, vcc_lo
	;; [unrolled: 1-line block ×3, first 2 shown]
	v_add_nc_u32_e32 v18, v20, v19
	v_cndmask_b32_e64 v16, v12, v21, s4
	v_cndmask_b32_e64 v12, v13, v12, s4
	;; [unrolled: 1-line block ×4, first 2 shown]
	v_sub_nc_u32_e32 v19, 32, v18
	v_cmp_eq_u32_e32 vcc_lo, 0, v18
	v_cndmask_b32_e64 v12, v12, v16, s5
	v_cndmask_b32_e64 v16, v16, v13, s5
	;; [unrolled: 1-line block ×4, first 2 shown]
	v_alignbit_b32 v20, v12, v16, v19
	v_alignbit_b32 v15, v16, v13, v19
	;; [unrolled: 1-line block ×3, first 2 shown]
	v_cndmask_b32_e32 v12, v20, v12, vcc_lo
	v_cndmask_b32_e32 v14, v15, v16, vcc_lo
	;; [unrolled: 1-line block ×3, first 2 shown]
	v_bfe_u32 v15, v12, 29, 1
	v_alignbit_b32 v16, v12, v14, 30
	v_alignbit_b32 v14, v14, v13, 30
	;; [unrolled: 1-line block ×3, first 2 shown]
	v_sub_nc_u32_e32 v17, 0, v15
	v_xor_b32_e32 v16, v16, v17
	v_xor_b32_e32 v13, v14, v17
	;; [unrolled: 1-line block ×3, first 2 shown]
	v_lshrrev_b32_e32 v17, 29, v12
	v_ffbh_u32_e32 v18, v16
	v_min_u32_e32 v18, 32, v18
	v_sub_nc_u32_e32 v14, 31, v18
	v_lshlrev_b32_e32 v19, 23, v18
	v_alignbit_b32 v16, v16, v13, v14
	v_alignbit_b32 v11, v13, v11, v14
	v_lshlrev_b32_e32 v13, 31, v17
	v_alignbit_b32 v14, v16, v11, 9
	v_or_b32_e32 v17, 0.5, v13
	v_lshrrev_b32_e32 v16, 9, v16
	v_or_b32_e32 v13, 0x33000000, v13
	v_ffbh_u32_e32 v20, v14
	v_sub_nc_u32_e32 v17, v17, v19
	v_min_u32_e32 v19, 32, v20
	v_or_b32_e32 v16, v16, v17
	v_not_b32_e32 v17, v19
	v_mul_f32_e32 v20, 0x3fc90fda, v16
	v_add_lshl_u32 v18, v19, v18, 23
	v_alignbit_b32 v11, v14, v11, v17
	v_fma_f32 v14, 0x3fc90fda, v16, -v20
	v_sub_nc_u32_e32 v13, v13, v18
	v_lshrrev_b32_e32 v11, 9, v11
	v_fmamk_f32 v14, v16, 0x33a22168, v14
	v_or_b32_e32 v11, v13, v11
	v_fmac_f32_e32 v14, 0x3fc90fda, v11
	v_lshrrev_b32_e32 v11, 30, v12
	v_add_f32_e32 v12, v20, v14
	v_add_nc_u32_e32 v14, v15, v11
.LBB20_9:
	s_andn2_saveexec_b32 s4, s14
; %bb.10:
	v_mul_f32_e64 v11, 0x3f22f983, |v3|
	v_rndne_f32_e32 v11, v11
	v_fma_f32 v12, 0xbfc90fda, v11, |v3|
	v_cvt_i32_f32_e32 v14, v11
	v_fmamk_f32 v12, v11, 0xb3a22168, v12
	v_fmamk_f32 v12, v11, 0xa7c234c4, v12
; %bb.11:
	s_or_b32 exec_lo, exec_lo, s4
	v_cvt_f32_f16_e32 v11, v4
                                        ; implicit-def: $vgpr18
                                        ; implicit-def: $vgpr15
	s_mov_b32 s5, exec_lo
	v_and_b32_e32 v13, 0x7fffffff, v11
	v_cmpx_ngt_f32_e64 0x48000000, |v11|
	s_xor_b32 s14, exec_lo, s5
	s_cbranch_execz .LBB20_13
; %bb.12:
	s_mov_b32 s4, 0x7fffff
	v_mov_b32_e32 v17, 0
	v_and_or_b32 v24, v13, s4, 0x800000
	v_lshrrev_b32_e32 v22, 23, v13
	v_mad_u64_u32 v[15:16], null, 0xfe5163ab, v24, 0
	v_add_nc_u32_e32 v23, 0xffffff88, v22
	v_cmp_lt_u32_e32 vcc_lo, 63, v23
	v_mad_u64_u32 v[18:19], null, 0x3c439041, v24, v[16:17]
	v_cndmask_b32_e64 v25, 0, 0xffffffc0, vcc_lo
	v_mov_b32_e32 v16, v19
	v_add_nc_u32_e32 v25, v25, v23
	v_mad_u64_u32 v[19:20], null, 0xdb629599, v24, v[16:17]
	v_cmp_lt_u32_e64 s4, 31, v25
	v_cndmask_b32_e64 v26, 0, 0xffffffe0, s4
	v_mov_b32_e32 v16, v20
	v_cndmask_b32_e32 v15, v19, v15, vcc_lo
	v_mad_u64_u32 v[20:21], null, 0xf534ddc0, v24, v[16:17]
	v_mov_b32_e32 v16, v21
	v_cndmask_b32_e32 v18, v20, v18, vcc_lo
	v_mad_u64_u32 v[21:22], null, 0xfc2757d1, v24, v[16:17]
	v_cndmask_b32_e64 v15, v18, v15, s4
	v_mov_b32_e32 v16, v22
	v_mad_u64_u32 v[22:23], null, 0x4e441529, v24, v[16:17]
	v_mov_b32_e32 v16, v23
	v_add_nc_u32_e32 v23, v26, v25
	v_cndmask_b32_e32 v25, v22, v20, vcc_lo
	v_mad_u64_u32 v[16:17], null, 0xa2f9836e, v24, v[16:17]
	v_cmp_lt_u32_e64 s5, 31, v23
	v_cndmask_b32_e64 v24, 0, 0xffffffe0, s5
	v_cndmask_b32_e32 v16, v16, v21, vcc_lo
	v_cndmask_b32_e32 v17, v17, v22, vcc_lo
	;; [unrolled: 1-line block ×3, first 2 shown]
	v_add_nc_u32_e32 v22, v24, v23
	v_cndmask_b32_e64 v20, v16, v25, s4
	v_cndmask_b32_e64 v16, v17, v16, s4
	;; [unrolled: 1-line block ×4, first 2 shown]
	v_sub_nc_u32_e32 v23, 32, v22
	v_cmp_eq_u32_e32 vcc_lo, 0, v22
	v_cndmask_b32_e64 v16, v16, v20, s5
	v_cndmask_b32_e64 v20, v20, v17, s5
	;; [unrolled: 1-line block ×4, first 2 shown]
	v_alignbit_b32 v24, v16, v20, v23
	v_alignbit_b32 v19, v20, v17, v23
	;; [unrolled: 1-line block ×3, first 2 shown]
	v_cndmask_b32_e32 v16, v24, v16, vcc_lo
	v_cndmask_b32_e32 v18, v19, v20, vcc_lo
	;; [unrolled: 1-line block ×3, first 2 shown]
	v_bfe_u32 v19, v16, 29, 1
	v_alignbit_b32 v20, v16, v18, 30
	v_alignbit_b32 v18, v18, v17, 30
	;; [unrolled: 1-line block ×3, first 2 shown]
	v_sub_nc_u32_e32 v21, 0, v19
	v_xor_b32_e32 v20, v20, v21
	v_xor_b32_e32 v17, v18, v21
	;; [unrolled: 1-line block ×3, first 2 shown]
	v_lshrrev_b32_e32 v21, 29, v16
	v_lshrrev_b32_e32 v16, 30, v16
	v_ffbh_u32_e32 v22, v20
	v_min_u32_e32 v22, 32, v22
	v_sub_nc_u32_e32 v18, 31, v22
	v_lshlrev_b32_e32 v23, 23, v22
	v_alignbit_b32 v20, v20, v17, v18
	v_alignbit_b32 v15, v17, v15, v18
	v_lshlrev_b32_e32 v17, 31, v21
	v_alignbit_b32 v18, v20, v15, 9
	v_or_b32_e32 v21, 0.5, v17
	v_lshrrev_b32_e32 v20, 9, v20
	v_or_b32_e32 v17, 0x33000000, v17
	v_ffbh_u32_e32 v24, v18
	v_sub_nc_u32_e32 v21, v21, v23
	v_min_u32_e32 v23, 32, v24
	v_or_b32_e32 v20, v20, v21
	v_not_b32_e32 v21, v23
	v_mul_f32_e32 v24, 0x3fc90fda, v20
	v_add_lshl_u32 v22, v23, v22, 23
	v_alignbit_b32 v15, v18, v15, v21
	v_fma_f32 v18, 0x3fc90fda, v20, -v24
	v_sub_nc_u32_e32 v17, v17, v22
	v_lshrrev_b32_e32 v15, 9, v15
	v_fmamk_f32 v18, v20, 0x33a22168, v18
	v_or_b32_e32 v15, v17, v15
	v_fmac_f32_e32 v18, 0x3fc90fda, v15
	v_add_f32_e32 v15, v24, v18
	v_add_nc_u32_e32 v18, v19, v16
.LBB20_13:
	s_andn2_saveexec_b32 s4, s14
; %bb.14:
	v_mul_f32_e64 v15, 0x3f22f983, |v11|
	v_rndne_f32_e32 v16, v15
	v_fma_f32 v15, 0xbfc90fda, v16, |v11|
	v_cvt_i32_f32_e32 v18, v16
	v_fmamk_f32 v15, v16, 0xb3a22168, v15
	v_fmamk_f32 v15, v16, 0xa7c234c4, v15
; %bb.15:
	s_or_b32 exec_lo, exec_lo, s4
	v_cvt_f32_f16_sdwa v4, v4 dst_sel:DWORD dst_unused:UNUSED_PAD src0_sel:WORD_1
                                        ; implicit-def: $vgpr22
                                        ; implicit-def: $vgpr19
	s_mov_b32 s5, exec_lo
	v_and_b32_e32 v16, 0x7fffffff, v4
	v_cmpx_ngt_f32_e64 0x48000000, |v4|
	s_xor_b32 s14, exec_lo, s5
	s_cbranch_execz .LBB20_17
; %bb.16:
	s_mov_b32 s4, 0x7fffff
	v_mov_b32_e32 v21, 0
	v_and_or_b32 v17, v16, s4, 0x800000
	v_lshrrev_b32_e32 v26, 23, v16
	v_mad_u64_u32 v[19:20], null, 0xfe5163ab, v17, 0
	v_add_nc_u32_e32 v27, 0xffffff88, v26
	v_cmp_lt_u32_e32 vcc_lo, 63, v27
	v_mad_u64_u32 v[22:23], null, 0x3c439041, v17, v[20:21]
	v_cndmask_b32_e64 v28, 0, 0xffffffc0, vcc_lo
	v_mov_b32_e32 v20, v23
	v_add_nc_u32_e32 v28, v28, v27
	v_mad_u64_u32 v[23:24], null, 0xdb629599, v17, v[20:21]
	v_cmp_lt_u32_e64 s4, 31, v28
	v_cndmask_b32_e64 v29, 0, 0xffffffe0, s4
	v_mov_b32_e32 v20, v24
	v_cndmask_b32_e32 v19, v23, v19, vcc_lo
	v_mad_u64_u32 v[24:25], null, 0xf534ddc0, v17, v[20:21]
	v_mov_b32_e32 v20, v25
	v_cndmask_b32_e32 v22, v24, v22, vcc_lo
	v_mad_u64_u32 v[25:26], null, 0xfc2757d1, v17, v[20:21]
	v_cndmask_b32_e64 v19, v22, v19, s4
	v_mov_b32_e32 v20, v26
	v_mad_u64_u32 v[26:27], null, 0x4e441529, v17, v[20:21]
	v_mov_b32_e32 v20, v27
	v_add_nc_u32_e32 v27, v29, v28
	v_cndmask_b32_e32 v28, v26, v24, vcc_lo
	v_mad_u64_u32 v[20:21], null, 0xa2f9836e, v17, v[20:21]
	v_cmp_lt_u32_e64 s5, 31, v27
	v_cndmask_b32_e64 v17, 0, 0xffffffe0, s5
	v_cndmask_b32_e32 v20, v20, v25, vcc_lo
	v_cndmask_b32_e32 v21, v21, v26, vcc_lo
	;; [unrolled: 1-line block ×3, first 2 shown]
	v_add_nc_u32_e32 v17, v17, v27
	v_cndmask_b32_e64 v24, v20, v28, s4
	v_cndmask_b32_e64 v20, v21, v20, s4
	;; [unrolled: 1-line block ×4, first 2 shown]
	v_sub_nc_u32_e32 v26, 32, v17
	v_cmp_eq_u32_e32 vcc_lo, 0, v17
	v_cndmask_b32_e64 v20, v20, v24, s5
	v_cndmask_b32_e64 v24, v24, v21, s5
	;; [unrolled: 1-line block ×4, first 2 shown]
	v_alignbit_b32 v27, v20, v24, v26
	v_alignbit_b32 v23, v24, v21, v26
	;; [unrolled: 1-line block ×3, first 2 shown]
	v_cndmask_b32_e32 v17, v27, v20, vcc_lo
	v_cndmask_b32_e32 v20, v23, v24, vcc_lo
	;; [unrolled: 1-line block ×3, first 2 shown]
	v_bfe_u32 v22, v17, 29, 1
	v_alignbit_b32 v23, v17, v20, 30
	v_alignbit_b32 v20, v20, v21, 30
	;; [unrolled: 1-line block ×3, first 2 shown]
	v_sub_nc_u32_e32 v24, 0, v22
	v_xor_b32_e32 v23, v23, v24
	v_xor_b32_e32 v20, v20, v24
	;; [unrolled: 1-line block ×3, first 2 shown]
	v_lshrrev_b32_e32 v24, 29, v17
	v_lshrrev_b32_e32 v17, 30, v17
	v_ffbh_u32_e32 v25, v23
	v_add_nc_u32_e32 v22, v22, v17
	v_min_u32_e32 v25, 32, v25
	v_sub_nc_u32_e32 v21, 31, v25
	v_lshlrev_b32_e32 v26, 23, v25
	v_alignbit_b32 v23, v23, v20, v21
	v_alignbit_b32 v19, v20, v19, v21
	v_lshlrev_b32_e32 v20, 31, v24
	v_alignbit_b32 v21, v23, v19, 9
	v_or_b32_e32 v24, 0.5, v20
	v_lshrrev_b32_e32 v23, 9, v23
	v_or_b32_e32 v20, 0x33000000, v20
	v_ffbh_u32_e32 v27, v21
	v_sub_nc_u32_e32 v24, v24, v26
	v_min_u32_e32 v26, 32, v27
	v_or_b32_e32 v23, v23, v24
	v_not_b32_e32 v24, v26
	v_mul_f32_e32 v27, 0x3fc90fda, v23
	v_add_lshl_u32 v25, v26, v25, 23
	v_alignbit_b32 v19, v21, v19, v24
	v_fma_f32 v21, 0x3fc90fda, v23, -v27
	v_sub_nc_u32_e32 v20, v20, v25
	v_lshrrev_b32_e32 v19, 9, v19
	v_fmamk_f32 v21, v23, 0x33a22168, v21
	v_or_b32_e32 v19, v20, v19
	v_fmac_f32_e32 v21, 0x3fc90fda, v19
	v_add_f32_e32 v19, v27, v21
.LBB20_17:
	s_andn2_saveexec_b32 s4, s14
; %bb.18:
	v_mul_f32_e64 v17, 0x3f22f983, |v4|
	v_rndne_f32_e32 v17, v17
	v_fma_f32 v19, 0xbfc90fda, v17, |v4|
	v_cvt_i32_f32_e32 v22, v17
	v_fmamk_f32 v19, v17, 0xb3a22168, v19
	v_fmamk_f32 v19, v17, 0xa7c234c4, v19
; %bb.19:
	s_or_b32 exec_lo, exec_lo, s4
	s_waitcnt vmcnt(0)
	v_cvt_f32_f16_e32 v17, v1
                                        ; implicit-def: $vgpr27
                                        ; implicit-def: $vgpr21
	s_mov_b32 s5, exec_lo
	v_and_b32_e32 v20, 0x7fffffff, v17
	v_cmpx_ngt_f32_e64 0x48000000, |v17|
	s_xor_b32 s14, exec_lo, s5
	s_cbranch_execz .LBB20_21
; %bb.20:
	s_mov_b32 s4, 0x7fffff
	v_mov_b32_e32 v25, 0
	v_and_or_b32 v21, v20, s4, 0x800000
	v_lshrrev_b32_e32 v30, 23, v20
	v_mad_u64_u32 v[23:24], null, 0xfe5163ab, v21, 0
	v_add_nc_u32_e32 v31, 0xffffff88, v30
	v_cmp_lt_u32_e32 vcc_lo, 63, v31
	v_mad_u64_u32 v[26:27], null, 0x3c439041, v21, v[24:25]
	v_cndmask_b32_e64 v32, 0, 0xffffffc0, vcc_lo
	v_mov_b32_e32 v24, v27
	v_add_nc_u32_e32 v32, v32, v31
	v_mad_u64_u32 v[27:28], null, 0xdb629599, v21, v[24:25]
	v_cmp_lt_u32_e64 s4, 31, v32
	v_cndmask_b32_e64 v33, 0, 0xffffffe0, s4
	v_mov_b32_e32 v24, v28
	v_cndmask_b32_e32 v23, v27, v23, vcc_lo
	v_mad_u64_u32 v[28:29], null, 0xf534ddc0, v21, v[24:25]
	v_mov_b32_e32 v24, v29
	v_cndmask_b32_e32 v26, v28, v26, vcc_lo
	v_mad_u64_u32 v[29:30], null, 0xfc2757d1, v21, v[24:25]
	v_cndmask_b32_e64 v23, v26, v23, s4
	v_mov_b32_e32 v24, v30
	v_mad_u64_u32 v[30:31], null, 0x4e441529, v21, v[24:25]
	v_mov_b32_e32 v24, v31
	v_add_nc_u32_e32 v31, v33, v32
	v_cndmask_b32_e32 v32, v30, v28, vcc_lo
	v_mad_u64_u32 v[24:25], null, 0xa2f9836e, v21, v[24:25]
	v_cmp_lt_u32_e64 s5, 31, v31
	v_cndmask_b32_e64 v21, 0, 0xffffffe0, s5
	v_cndmask_b32_e32 v24, v24, v29, vcc_lo
	v_cndmask_b32_e32 v25, v25, v30, vcc_lo
	;; [unrolled: 1-line block ×3, first 2 shown]
	v_add_nc_u32_e32 v21, v21, v31
	v_cndmask_b32_e64 v28, v24, v32, s4
	v_cndmask_b32_e64 v24, v25, v24, s4
	;; [unrolled: 1-line block ×4, first 2 shown]
	v_sub_nc_u32_e32 v30, 32, v21
	v_cmp_eq_u32_e32 vcc_lo, 0, v21
	v_cndmask_b32_e64 v24, v24, v28, s5
	v_cndmask_b32_e64 v28, v28, v25, s5
	;; [unrolled: 1-line block ×4, first 2 shown]
	v_alignbit_b32 v31, v24, v28, v30
	v_alignbit_b32 v27, v28, v25, v30
	;; [unrolled: 1-line block ×3, first 2 shown]
	v_cndmask_b32_e32 v21, v31, v24, vcc_lo
	v_cndmask_b32_e32 v24, v27, v28, vcc_lo
	;; [unrolled: 1-line block ×3, first 2 shown]
	v_bfe_u32 v26, v21, 29, 1
	v_alignbit_b32 v27, v21, v24, 30
	v_alignbit_b32 v24, v24, v25, 30
	;; [unrolled: 1-line block ×3, first 2 shown]
	v_sub_nc_u32_e32 v28, 0, v26
	v_xor_b32_e32 v27, v27, v28
	v_xor_b32_e32 v24, v24, v28
	;; [unrolled: 1-line block ×3, first 2 shown]
	v_lshrrev_b32_e32 v28, 29, v21
	v_ffbh_u32_e32 v29, v27
	v_min_u32_e32 v29, 32, v29
	v_sub_nc_u32_e32 v25, 31, v29
	v_lshlrev_b32_e32 v30, 23, v29
	v_alignbit_b32 v27, v27, v24, v25
	v_alignbit_b32 v23, v24, v23, v25
	v_lshlrev_b32_e32 v24, 31, v28
	v_alignbit_b32 v25, v27, v23, 9
	v_or_b32_e32 v28, 0.5, v24
	v_lshrrev_b32_e32 v27, 9, v27
	v_or_b32_e32 v24, 0x33000000, v24
	v_ffbh_u32_e32 v31, v25
	v_sub_nc_u32_e32 v28, v28, v30
	v_min_u32_e32 v30, 32, v31
	v_or_b32_e32 v27, v27, v28
	v_not_b32_e32 v28, v30
	v_mul_f32_e32 v31, 0x3fc90fda, v27
	v_add_lshl_u32 v29, v30, v29, 23
	v_alignbit_b32 v23, v25, v23, v28
	v_fma_f32 v25, 0x3fc90fda, v27, -v31
	v_sub_nc_u32_e32 v24, v24, v29
	v_lshrrev_b32_e32 v23, 9, v23
	v_fmamk_f32 v25, v27, 0x33a22168, v25
	v_or_b32_e32 v23, v24, v23
	v_fmac_f32_e32 v25, 0x3fc90fda, v23
	v_lshrrev_b32_e32 v23, 30, v21
	v_add_f32_e32 v21, v31, v25
	v_add_nc_u32_e32 v27, v26, v23
.LBB20_21:
	s_andn2_saveexec_b32 s4, s14
; %bb.22:
	v_mul_f32_e64 v21, 0x3f22f983, |v17|
	v_rndne_f32_e32 v23, v21
	v_fma_f32 v21, 0xbfc90fda, v23, |v17|
	v_cvt_i32_f32_e32 v27, v23
	v_fmamk_f32 v21, v23, 0xb3a22168, v21
	v_fmamk_f32 v21, v23, 0xa7c234c4, v21
; %bb.23:
	s_or_b32 exec_lo, exec_lo, s4
	v_cvt_f32_f16_sdwa v1, v1 dst_sel:DWORD dst_unused:UNUSED_PAD src0_sel:WORD_1
                                        ; implicit-def: $vgpr30
                                        ; implicit-def: $vgpr25
	s_mov_b32 s5, exec_lo
	v_and_b32_e32 v23, 0x7fffffff, v1
	v_cmpx_ngt_f32_e64 0x48000000, |v1|
	s_xor_b32 s14, exec_lo, s5
	s_cbranch_execz .LBB20_25
; %bb.24:
	s_mov_b32 s4, 0x7fffff
	v_mov_b32_e32 v26, 0
	v_and_or_b32 v34, v23, s4, 0x800000
	v_lshrrev_b32_e32 v32, 23, v23
	v_mad_u64_u32 v[24:25], null, 0xfe5163ab, v34, 0
	v_add_nc_u32_e32 v33, 0xffffff88, v32
	v_cmp_lt_u32_e32 vcc_lo, 63, v33
	v_mad_u64_u32 v[28:29], null, 0x3c439041, v34, v[25:26]
	v_cndmask_b32_e64 v35, 0, 0xffffffc0, vcc_lo
	v_mov_b32_e32 v25, v29
	v_add_nc_u32_e32 v35, v35, v33
	v_mad_u64_u32 v[29:30], null, 0xdb629599, v34, v[25:26]
	v_cmp_lt_u32_e64 s4, 31, v35
	v_cndmask_b32_e64 v36, 0, 0xffffffe0, s4
	v_mov_b32_e32 v25, v30
	v_cndmask_b32_e32 v24, v29, v24, vcc_lo
	v_mad_u64_u32 v[30:31], null, 0xf534ddc0, v34, v[25:26]
	v_mov_b32_e32 v25, v31
	v_cndmask_b32_e32 v28, v30, v28, vcc_lo
	v_mad_u64_u32 v[31:32], null, 0xfc2757d1, v34, v[25:26]
	v_cndmask_b32_e64 v24, v28, v24, s4
	v_mov_b32_e32 v25, v32
	v_mad_u64_u32 v[32:33], null, 0x4e441529, v34, v[25:26]
	v_mov_b32_e32 v25, v33
	v_add_nc_u32_e32 v33, v36, v35
	v_cndmask_b32_e32 v35, v32, v30, vcc_lo
	v_mad_u64_u32 v[25:26], null, 0xa2f9836e, v34, v[25:26]
	v_cmp_lt_u32_e64 s5, 31, v33
	v_cndmask_b32_e64 v34, 0, 0xffffffe0, s5
	v_cndmask_b32_e32 v25, v25, v31, vcc_lo
	v_cndmask_b32_e32 v26, v26, v32, vcc_lo
	;; [unrolled: 1-line block ×3, first 2 shown]
	v_add_nc_u32_e32 v32, v34, v33
	v_cndmask_b32_e64 v30, v25, v35, s4
	v_cndmask_b32_e64 v25, v26, v25, s4
	;; [unrolled: 1-line block ×4, first 2 shown]
	v_sub_nc_u32_e32 v33, 32, v32
	v_cmp_eq_u32_e32 vcc_lo, 0, v32
	v_cndmask_b32_e64 v25, v25, v30, s5
	v_cndmask_b32_e64 v30, v30, v26, s5
	;; [unrolled: 1-line block ×4, first 2 shown]
	v_alignbit_b32 v34, v25, v30, v33
	v_alignbit_b32 v29, v30, v26, v33
	;; [unrolled: 1-line block ×3, first 2 shown]
	v_cndmask_b32_e32 v25, v34, v25, vcc_lo
	v_cndmask_b32_e32 v28, v29, v30, vcc_lo
	;; [unrolled: 1-line block ×3, first 2 shown]
	v_bfe_u32 v29, v25, 29, 1
	v_alignbit_b32 v30, v25, v28, 30
	v_alignbit_b32 v28, v28, v26, 30
	;; [unrolled: 1-line block ×3, first 2 shown]
	v_sub_nc_u32_e32 v31, 0, v29
	v_xor_b32_e32 v30, v30, v31
	v_xor_b32_e32 v26, v28, v31
	;; [unrolled: 1-line block ×3, first 2 shown]
	v_lshrrev_b32_e32 v31, 29, v25
	v_ffbh_u32_e32 v32, v30
	v_min_u32_e32 v32, 32, v32
	v_sub_nc_u32_e32 v28, 31, v32
	v_lshlrev_b32_e32 v33, 23, v32
	v_alignbit_b32 v30, v30, v26, v28
	v_alignbit_b32 v24, v26, v24, v28
	v_lshlrev_b32_e32 v26, 31, v31
	v_alignbit_b32 v28, v30, v24, 9
	v_or_b32_e32 v31, 0.5, v26
	v_lshrrev_b32_e32 v30, 9, v30
	v_or_b32_e32 v26, 0x33000000, v26
	v_ffbh_u32_e32 v34, v28
	v_sub_nc_u32_e32 v31, v31, v33
	v_min_u32_e32 v33, 32, v34
	v_or_b32_e32 v30, v30, v31
	v_not_b32_e32 v31, v33
	v_mul_f32_e32 v34, 0x3fc90fda, v30
	v_add_lshl_u32 v32, v33, v32, 23
	v_alignbit_b32 v24, v28, v24, v31
	v_fma_f32 v28, 0x3fc90fda, v30, -v34
	v_sub_nc_u32_e32 v26, v26, v32
	v_lshrrev_b32_e32 v24, 9, v24
	v_fmamk_f32 v28, v30, 0x33a22168, v28
	v_or_b32_e32 v24, v26, v24
	v_fmac_f32_e32 v28, 0x3fc90fda, v24
	v_lshrrev_b32_e32 v24, 30, v25
	v_add_f32_e32 v25, v34, v28
	v_add_nc_u32_e32 v30, v29, v24
.LBB20_25:
	s_andn2_saveexec_b32 s4, s14
; %bb.26:
	v_mul_f32_e64 v24, 0x3f22f983, |v1|
	v_rndne_f32_e32 v24, v24
	v_fma_f32 v25, 0xbfc90fda, v24, |v1|
	v_cvt_i32_f32_e32 v30, v24
	v_fmamk_f32 v25, v24, 0xb3a22168, v25
	v_fmamk_f32 v25, v24, 0xa7c234c4, v25
; %bb.27:
	s_or_b32 exec_lo, exec_lo, s4
	v_cvt_f32_f16_e32 v24, v2
                                        ; implicit-def: $vgpr32
                                        ; implicit-def: $vgpr28
	s_mov_b32 s5, exec_lo
	v_and_b32_e32 v26, 0x7fffffff, v24
	v_cmpx_ngt_f32_e64 0x48000000, |v24|
	s_xor_b32 s14, exec_lo, s5
	s_cbranch_execz .LBB20_29
; %bb.28:
	s_mov_b32 s4, 0x7fffff
	v_mov_b32_e32 v32, 0
	v_and_or_b32 v39, v26, s4, 0x800000
	v_mad_u64_u32 v[28:29], null, 0xfe5163ab, v39, 0
	v_mov_b32_e32 v31, v29
	v_lshrrev_b32_e32 v29, 23, v26
	v_mad_u64_u32 v[33:34], null, 0x3c439041, v39, v[31:32]
	v_add_nc_u32_e32 v29, 0xffffff88, v29
	v_cmp_lt_u32_e32 vcc_lo, 63, v29
	v_mov_b32_e32 v31, v34
	v_cndmask_b32_e64 v38, 0, 0xffffffc0, vcc_lo
	v_mad_u64_u32 v[34:35], null, 0xdb629599, v39, v[31:32]
	v_add_nc_u32_e32 v29, v38, v29
	v_mov_b32_e32 v31, v35
	v_cmp_lt_u32_e64 s4, 31, v29
	v_cndmask_b32_e32 v28, v34, v28, vcc_lo
	v_mad_u64_u32 v[35:36], null, 0xf534ddc0, v39, v[31:32]
	v_cndmask_b32_e64 v40, 0, 0xffffffe0, s4
	v_add_nc_u32_e32 v29, v40, v29
	v_mov_b32_e32 v31, v36
	v_cndmask_b32_e32 v33, v35, v33, vcc_lo
	v_cmp_lt_u32_e64 s5, 31, v29
	v_mad_u64_u32 v[36:37], null, 0xfc2757d1, v39, v[31:32]
	v_cndmask_b32_e64 v28, v33, v28, s4
	v_mov_b32_e32 v31, v37
	v_mad_u64_u32 v[37:38], null, 0x4e441529, v39, v[31:32]
	v_mov_b32_e32 v31, v38
	v_cndmask_b32_e64 v38, 0, 0xffffffe0, s5
	v_mad_u64_u32 v[31:32], null, 0xa2f9836e, v39, v[31:32]
	v_cndmask_b32_e32 v39, v37, v35, vcc_lo
	v_add_nc_u32_e32 v29, v38, v29
	v_cndmask_b32_e32 v31, v31, v36, vcc_lo
	v_cndmask_b32_e32 v32, v32, v37, vcc_lo
	;; [unrolled: 1-line block ×3, first 2 shown]
	v_sub_nc_u32_e32 v37, 32, v29
	v_cmp_eq_u32_e32 vcc_lo, 0, v29
	v_cndmask_b32_e64 v35, v31, v39, s4
	v_cndmask_b32_e64 v31, v32, v31, s4
	;; [unrolled: 1-line block ×8, first 2 shown]
	v_alignbit_b32 v38, v31, v35, v37
	v_alignbit_b32 v34, v35, v32, v37
	;; [unrolled: 1-line block ×3, first 2 shown]
	v_cndmask_b32_e32 v29, v38, v31, vcc_lo
	v_cndmask_b32_e32 v31, v34, v35, vcc_lo
	;; [unrolled: 1-line block ×3, first 2 shown]
	v_bfe_u32 v33, v29, 29, 1
	v_alignbit_b32 v34, v29, v31, 30
	v_alignbit_b32 v31, v31, v32, 30
	;; [unrolled: 1-line block ×3, first 2 shown]
	v_sub_nc_u32_e32 v35, 0, v33
	v_xor_b32_e32 v34, v34, v35
	v_xor_b32_e32 v31, v31, v35
	;; [unrolled: 1-line block ×3, first 2 shown]
	v_lshrrev_b32_e32 v35, 29, v29
	v_lshrrev_b32_e32 v29, 30, v29
	v_ffbh_u32_e32 v36, v34
	v_min_u32_e32 v36, 32, v36
	v_sub_nc_u32_e32 v32, 31, v36
	v_lshlrev_b32_e32 v37, 23, v36
	v_alignbit_b32 v34, v34, v31, v32
	v_alignbit_b32 v28, v31, v28, v32
	v_lshlrev_b32_e32 v31, 31, v35
	v_alignbit_b32 v32, v34, v28, 9
	v_or_b32_e32 v35, 0.5, v31
	v_lshrrev_b32_e32 v34, 9, v34
	v_or_b32_e32 v31, 0x33000000, v31
	v_ffbh_u32_e32 v38, v32
	v_sub_nc_u32_e32 v35, v35, v37
	v_min_u32_e32 v37, 32, v38
	v_or_b32_e32 v34, v34, v35
	v_not_b32_e32 v35, v37
	v_mul_f32_e32 v38, 0x3fc90fda, v34
	v_add_lshl_u32 v36, v37, v36, 23
	v_alignbit_b32 v28, v32, v28, v35
	v_fma_f32 v32, 0x3fc90fda, v34, -v38
	v_sub_nc_u32_e32 v31, v31, v36
	v_lshrrev_b32_e32 v28, 9, v28
	v_fmamk_f32 v32, v34, 0x33a22168, v32
	v_or_b32_e32 v28, v31, v28
	v_fmac_f32_e32 v32, 0x3fc90fda, v28
	v_add_f32_e32 v28, v38, v32
	v_add_nc_u32_e32 v32, v33, v29
.LBB20_29:
	s_andn2_saveexec_b32 s4, s14
; %bb.30:
	v_mul_f32_e64 v28, 0x3f22f983, |v24|
	v_rndne_f32_e32 v29, v28
	v_fma_f32 v28, 0xbfc90fda, v29, |v24|
	v_cvt_i32_f32_e32 v32, v29
	v_fmamk_f32 v28, v29, 0xb3a22168, v28
	v_fmamk_f32 v28, v29, 0xa7c234c4, v28
; %bb.31:
	s_or_b32 exec_lo, exec_lo, s4
	v_cvt_f32_f16_sdwa v2, v2 dst_sel:DWORD dst_unused:UNUSED_PAD src0_sel:WORD_1
                                        ; implicit-def: $vgpr33
                                        ; implicit-def: $vgpr31
	s_mov_b32 s5, exec_lo
	v_and_b32_e32 v29, 0x7fffffff, v2
	v_cmpx_ngt_f32_e64 0x48000000, |v2|
	s_xor_b32 s14, exec_lo, s5
	s_cbranch_execz .LBB20_33
; %bb.32:
	s_mov_b32 s4, 0x7fffff
	v_mov_b32_e32 v35, 0
	v_and_or_b32 v31, v29, s4, 0x800000
	v_lshrrev_b32_e32 v40, 23, v29
	v_mad_u64_u32 v[33:34], null, 0xfe5163ab, v31, 0
	v_add_nc_u32_e32 v41, 0xffffff88, v40
	v_cmp_lt_u32_e32 vcc_lo, 63, v41
	v_mad_u64_u32 v[36:37], null, 0x3c439041, v31, v[34:35]
	v_cndmask_b32_e64 v42, 0, 0xffffffc0, vcc_lo
	v_mov_b32_e32 v34, v37
	v_add_nc_u32_e32 v42, v42, v41
	v_mad_u64_u32 v[37:38], null, 0xdb629599, v31, v[34:35]
	v_cmp_lt_u32_e64 s4, 31, v42
	v_cndmask_b32_e64 v43, 0, 0xffffffe0, s4
	v_mov_b32_e32 v34, v38
	v_cndmask_b32_e32 v33, v37, v33, vcc_lo
	v_mad_u64_u32 v[38:39], null, 0xf534ddc0, v31, v[34:35]
	v_mov_b32_e32 v34, v39
	v_cndmask_b32_e32 v36, v38, v36, vcc_lo
	v_mad_u64_u32 v[39:40], null, 0xfc2757d1, v31, v[34:35]
	v_cndmask_b32_e64 v33, v36, v33, s4
	v_mov_b32_e32 v34, v40
	v_mad_u64_u32 v[40:41], null, 0x4e441529, v31, v[34:35]
	v_mov_b32_e32 v34, v41
	v_add_nc_u32_e32 v41, v43, v42
	v_cndmask_b32_e32 v42, v40, v38, vcc_lo
	v_mad_u64_u32 v[34:35], null, 0xa2f9836e, v31, v[34:35]
	v_cmp_lt_u32_e64 s5, 31, v41
	v_cndmask_b32_e64 v31, 0, 0xffffffe0, s5
	v_cndmask_b32_e32 v34, v34, v39, vcc_lo
	v_cndmask_b32_e32 v35, v35, v40, vcc_lo
	;; [unrolled: 1-line block ×3, first 2 shown]
	v_add_nc_u32_e32 v31, v31, v41
	v_cndmask_b32_e64 v38, v34, v42, s4
	v_cndmask_b32_e64 v34, v35, v34, s4
	;; [unrolled: 1-line block ×4, first 2 shown]
	v_sub_nc_u32_e32 v40, 32, v31
	v_cmp_eq_u32_e32 vcc_lo, 0, v31
	v_cndmask_b32_e64 v34, v34, v38, s5
	v_cndmask_b32_e64 v38, v38, v35, s5
	;; [unrolled: 1-line block ×4, first 2 shown]
	v_alignbit_b32 v41, v34, v38, v40
	v_alignbit_b32 v37, v38, v35, v40
	;; [unrolled: 1-line block ×3, first 2 shown]
	v_cndmask_b32_e32 v31, v41, v34, vcc_lo
	v_cndmask_b32_e32 v34, v37, v38, vcc_lo
	;; [unrolled: 1-line block ×3, first 2 shown]
	v_bfe_u32 v36, v31, 29, 1
	v_alignbit_b32 v37, v31, v34, 30
	v_alignbit_b32 v34, v34, v35, 30
	;; [unrolled: 1-line block ×3, first 2 shown]
	v_sub_nc_u32_e32 v38, 0, v36
	v_xor_b32_e32 v37, v37, v38
	v_xor_b32_e32 v34, v34, v38
	;; [unrolled: 1-line block ×3, first 2 shown]
	v_lshrrev_b32_e32 v38, 29, v31
	v_ffbh_u32_e32 v39, v37
	v_min_u32_e32 v39, 32, v39
	v_sub_nc_u32_e32 v35, 31, v39
	v_lshlrev_b32_e32 v40, 23, v39
	v_alignbit_b32 v37, v37, v34, v35
	v_alignbit_b32 v33, v34, v33, v35
	v_lshlrev_b32_e32 v34, 31, v38
	v_alignbit_b32 v35, v37, v33, 9
	v_or_b32_e32 v38, 0.5, v34
	v_lshrrev_b32_e32 v37, 9, v37
	v_or_b32_e32 v34, 0x33000000, v34
	v_ffbh_u32_e32 v41, v35
	v_sub_nc_u32_e32 v38, v38, v40
	v_min_u32_e32 v40, 32, v41
	v_or_b32_e32 v37, v37, v38
	v_not_b32_e32 v38, v40
	v_mul_f32_e32 v41, 0x3fc90fda, v37
	v_add_lshl_u32 v39, v40, v39, 23
	v_alignbit_b32 v33, v35, v33, v38
	v_fma_f32 v35, 0x3fc90fda, v37, -v41
	v_sub_nc_u32_e32 v34, v34, v39
	v_lshrrev_b32_e32 v33, 9, v33
	v_fmamk_f32 v35, v37, 0x33a22168, v35
	v_or_b32_e32 v33, v34, v33
	v_fmac_f32_e32 v35, 0x3fc90fda, v33
	v_lshrrev_b32_e32 v33, 30, v31
	v_add_f32_e32 v31, v41, v35
	v_add_nc_u32_e32 v33, v36, v33
.LBB20_33:
	s_andn2_saveexec_b32 s4, s14
; %bb.34:
	v_mul_f32_e64 v31, 0x3f22f983, |v2|
	v_rndne_f32_e32 v33, v31
	v_fma_f32 v31, 0xbfc90fda, v33, |v2|
	v_fmamk_f32 v31, v33, 0xb3a22168, v31
	v_fmamk_f32 v31, v33, 0xa7c234c4, v31
	v_cvt_i32_f32_e32 v33, v33
; %bb.35:
	s_or_b32 exec_lo, exec_lo, s4
	v_mul_f32_e32 v48, v12, v12
	s_mov_b32 s14, 0xb94c1982
	s_mov_b32 s15, 0x37d75334
	v_mul_f32_e32 v47, v5, v5
	v_lshlrev_b32_e32 v45, 30, v14
	v_fmaak_f32 v49, s14, v48, 0x3c0881c4
	v_fmaak_f32 v50, s15, v48, 0xbab64f3b
	v_and_b32_e32 v14, 1, v14
	v_fmaak_f32 v51, s14, v47, 0x3c0881c4
	v_fmaak_f32 v52, s15, v47, 0xbab64f3b
	;; [unrolled: 1-line block ×4, first 2 shown]
	v_xor_b32_e32 v6, v6, v3
	v_and_b32_e32 v45, 0x80000000, v45
	v_fmaak_f32 v51, v47, v51, 0xbe2aaa9d
	v_fmaak_f32 v52, v47, v52, 0x3d2aabf7
	v_mul_f32_e32 v49, v48, v49
	v_fmaak_f32 v50, v48, v50, 0xbf000004
	v_lshlrev_b32_e32 v46, 30, v10
	v_and_b32_e32 v10, 1, v10
	v_mul_f32_e32 v51, v47, v51
	v_fmaak_f32 v52, v47, v52, 0xbf000004
	v_xor_b32_e32 v6, v6, v45
	v_fmac_f32_e32 v12, v12, v49
	v_fma_f32 v45, v48, v50, 1.0
	v_cmp_eq_u32_e32 vcc_lo, 0, v14
	v_xor_b32_e32 v9, v9, v8
	v_and_b32_e32 v46, 0x80000000, v46
	v_fmac_f32_e32 v5, v5, v51
	v_fma_f32 v47, v47, v52, 1.0
	v_cndmask_b32_e32 v12, v45, v12, vcc_lo
	v_cmp_eq_u32_e32 vcc_lo, 0, v10
	v_mul_f32_e32 v10, v19, v19
	v_mul_f32_e32 v44, v15, v15
	v_xor_b32_e32 v9, v9, v46
	v_xor_b32_e32 v6, v6, v12
	v_cndmask_b32_e32 v5, v47, v5, vcc_lo
	v_xor_b32_e32 v12, v13, v11
	v_fmaak_f32 v13, s14, v10, 0x3c0881c4
	v_fmaak_f32 v14, s15, v10, 0xbab64f3b
	;; [unrolled: 1-line block ×3, first 2 shown]
	v_xor_b32_e32 v5, v9, v5
	v_xor_b32_e32 v9, v16, v4
	v_fmaak_f32 v16, s14, v44, 0x3c0881c4
	v_fmaak_f32 v13, v10, v13, 0xbe2aaa9d
	;; [unrolled: 1-line block ×3, first 2 shown]
	v_lshlrev_b32_e32 v42, 30, v22
	v_and_b32_e32 v22, 1, v22
	v_fmaak_f32 v16, v44, v16, 0xbe2aaa9d
	v_fmaak_f32 v45, v44, v45, 0x3d2aabf7
	v_mul_f32_e32 v13, v10, v13
	v_fmaak_f32 v14, v10, v14, 0xbf000004
	v_lshlrev_b32_e32 v43, 30, v18
	v_and_b32_e32 v18, 1, v18
	v_mul_f32_e32 v16, v44, v16
	v_fmaak_f32 v45, v44, v45, 0xbf000004
	v_fmac_f32_e32 v19, v19, v13
	v_fma_f32 v10, v10, v14, 1.0
	v_cmp_eq_u32_e32 vcc_lo, 0, v22
	v_fmac_f32_e32 v15, v15, v16
	v_fma_f32 v13, v44, v45, 1.0
	v_and_b32_e32 v42, 0x80000000, v42
	v_and_b32_e32 v43, 0x80000000, v43
	v_cndmask_b32_e32 v10, v10, v19, vcc_lo
	v_cmp_eq_u32_e32 vcc_lo, 0, v18
	v_mul_f32_e32 v40, v21, v21
	v_xor_b32_e32 v9, v9, v42
	v_mul_f32_e32 v41, v25, v25
	v_xor_b32_e32 v12, v12, v43
	v_cndmask_b32_e32 v13, v13, v15, vcc_lo
	v_cmp_class_f32_e64 vcc_lo, v3, 0x1f8
	v_lshlrev_b32_e32 v38, 30, v30
	v_fmaak_f32 v14, s15, v41, 0xbab64f3b
	v_mul_f32_e32 v37, v31, v31
	v_lshlrev_b32_e32 v39, 30, v27
	v_cndmask_b32_e32 v3, 0x7fc00000, v6, vcc_lo
	v_cmp_class_f32_e64 vcc_lo, v8, 0x1f8
	v_xor_b32_e32 v6, v9, v10
	v_xor_b32_e32 v8, v12, v13
	v_fmaak_f32 v12, s14, v41, 0x3c0881c4
	v_fmaak_f32 v13, s15, v40, 0xbab64f3b
	v_cndmask_b32_e32 v5, 0x7fc00000, v5, vcc_lo
	v_cmp_class_f32_e64 vcc_lo, v4, 0x1f8
	v_and_b32_e32 v10, 0x80000000, v38
	v_fmaak_f32 v12, v41, v12, 0xbe2aaa9d
	v_fmaak_f32 v13, v40, v13, 0x3d2aabf7
	;; [unrolled: 1-line block ×3, first 2 shown]
	v_cndmask_b32_e32 v4, 0x7fc00000, v6, vcc_lo
	v_cmp_class_f32_e64 vcc_lo, v11, 0x1f8
	v_fmaak_f32 v11, s14, v40, 0x3c0881c4
	v_mul_f32_e32 v36, v28, v28
	v_and_b32_e32 v30, 1, v30
	v_xor_b32_e32 v9, v20, v17
	v_cndmask_b32_e32 v6, 0x7fc00000, v8, vcc_lo
	v_xor_b32_e32 v8, v23, v1
	v_fmaak_f32 v11, v40, v11, 0xbe2aaa9d
	v_and_b32_e32 v15, 0x80000000, v39
	v_and_b32_e32 v27, 1, v27
	v_cmp_eq_u32_e32 vcc_lo, 0, v30
	v_xor_b32_e32 v8, v8, v10
	v_mul_f32_e32 v10, v40, v11
	v_mul_f32_e32 v11, v41, v12
	v_fmaak_f32 v12, v40, v13, 0xbf000004
	v_fmaak_f32 v13, v41, v14, 0xbf000004
	;; [unrolled: 1-line block ×3, first 2 shown]
	v_fmac_f32_e32 v21, v21, v10
	v_xor_b32_e32 v9, v9, v15
	v_fma_f32 v10, v40, v12, 1.0
	v_fmaak_f32 v12, s14, v37, 0x3c0881c4
	v_fmac_f32_e32 v25, v25, v11
	v_fma_f32 v11, v41, v13, 1.0
	v_fmaak_f32 v13, s14, v36, 0x3c0881c4
	v_fmaak_f32 v15, s15, v36, 0xbab64f3b
	v_fmaak_f32 v12, v37, v12, 0xbe2aaa9d
	v_fmaak_f32 v14, v37, v14, 0x3d2aabf7
	v_lshlrev_b32_e32 v34, 30, v33
	v_and_b32_e32 v33, 1, v33
	v_cndmask_b32_e32 v11, v11, v25, vcc_lo
	v_fmaak_f32 v13, v36, v13, 0xbe2aaa9d
	v_fmaak_f32 v15, v36, v15, 0x3d2aabf7
	v_cmp_eq_u32_e32 vcc_lo, 0, v27
	v_mul_f32_e32 v12, v37, v12
	v_fmaak_f32 v14, v37, v14, 0xbf000004
	v_lshlrev_b32_e32 v35, 30, v32
	v_and_b32_e32 v32, 1, v32
	v_cndmask_b32_e32 v10, v10, v21, vcc_lo
	v_mul_f32_e32 v13, v36, v13
	v_fmaak_f32 v15, v36, v15, 0xbf000004
	v_fmac_f32_e32 v31, v31, v12
	v_fma_f32 v12, v37, v14, 1.0
	v_cmp_eq_u32_e32 vcc_lo, 0, v33
	v_xor_b32_e32 v9, v9, v10
	v_fmac_f32_e32 v28, v28, v13
	v_fma_f32 v10, v36, v15, 1.0
	v_and_b32_e32 v13, 0x80000000, v34
	v_cndmask_b32_e32 v12, v12, v31, vcc_lo
	v_cmp_eq_u32_e32 vcc_lo, 0, v32
	v_xor_b32_e32 v15, v29, v2
	v_and_b32_e32 v14, 0x80000000, v35
	v_xor_b32_e32 v16, v26, v24
	v_xor_b32_e32 v8, v8, v11
	v_cndmask_b32_e32 v10, v10, v28, vcc_lo
	v_cmp_class_f32_e64 vcc_lo, v17, 0x1f8
	v_xor_b32_e32 v13, v15, v13
	v_xor_b32_e32 v14, v16, v14
	s_add_u32 s4, s8, s12
	s_addc_u32 s5, s9, s13
	v_cndmask_b32_e32 v9, 0x7fc00000, v9, vcc_lo
	v_cmp_class_f32_e64 vcc_lo, v1, 0x1f8
	v_xor_b32_e32 v11, v13, v12
	v_xor_b32_e32 v10, v14, v10
	v_cvt_f16_f32_e32 v3, v3
	v_cvt_f16_f32_e32 v5, v5
	v_cndmask_b32_e32 v1, 0x7fc00000, v8, vcc_lo
	v_cmp_class_f32_e64 vcc_lo, v2, 0x1f8
	v_add_co_u32 v12, s12, s4, v7
	v_cvt_f16_f32_e32 v4, v4
	v_cvt_f16_f32_e32 v6, v6
	v_cndmask_b32_e32 v2, 0x7fc00000, v11, vcc_lo
	v_cmp_class_f32_e64 vcc_lo, v24, 0x1f8
	v_cvt_f16_f32_e32 v9, v9
	v_add_co_ci_u32_e64 v13, null, s5, 0, s12
	v_cvt_f16_f32_e32 v11, v2
	v_cndmask_b32_e32 v8, 0x7fc00000, v10, vcc_lo
	v_cvt_f16_f32_e32 v10, v1
	v_pack_b32_f16 v1, v5, v3
	v_add_co_u32 v5, vcc_lo, 0x800, v12
	v_cvt_f16_f32_e32 v8, v8
	v_pack_b32_f16 v2, v6, v4
	v_pack_b32_f16 v3, v9, v10
	v_add_co_ci_u32_e64 v6, null, 0, v13, vcc_lo
	v_pack_b32_f16 v4, v8, v11
	global_store_dwordx2 v7, v[1:2], s[4:5]
	global_store_dwordx2 v[5:6], v[3:4], off
	s_branch .LBB20_2
.LBB20_36:
	v_mov_b32_e32 v31, v0
	v_mov_b32_e32 v0, s8
	;; [unrolled: 1-line block ×6, first 2 shown]
	s_getpc_b64 s[4:5]
	s_add_u32 s4, s4, _ZN2at6native25elementwise_kernel_helperILb0EZZZNS0_15sin_kernel_cudaERNS_18TensorIteratorBaseEENKUlvE0_clEvENKUlvE1_clEvEUlN3c104HalfEE_NS0_6memory8policies11unroll_baseILi256ESt5arrayIPcLm2EE23TrivialOffsetCalculatorILi1EjESG_NS9_15LoadWithoutCastENS9_16StoreWithoutCastELi8ELi1EEEEEvT0_T1_@rel32@lo+4
	s_addc_u32 s5, s5, _ZN2at6native25elementwise_kernel_helperILb0EZZZNS0_15sin_kernel_cudaERNS_18TensorIteratorBaseEENKUlvE0_clEvENKUlvE1_clEvEUlN3c104HalfEE_NS0_6memory8policies11unroll_baseILi256ESt5arrayIPcLm2EE23TrivialOffsetCalculatorILi1EjESG_NS9_15LoadWithoutCastENS9_16StoreWithoutCastELi8ELi1EEEEEvT0_T1_@rel32@hi+12
	s_mov_b32 s12, s6
	s_swappc_b64 s[30:31], s[4:5]
	s_endpgm
	.section	.rodata,"a",@progbits
	.p2align	6, 0x0
	.amdhsa_kernel _ZN2at6native29vectorized_elementwise_kernelILi4EZZZNS0_15sin_kernel_cudaERNS_18TensorIteratorBaseEENKUlvE0_clEvENKUlvE1_clEvEUlN3c104HalfEE_St5arrayIPcLm2EEEEviT0_T1_
		.amdhsa_group_segment_fixed_size 0
		.amdhsa_private_segment_fixed_size 0
		.amdhsa_kernarg_size 24
		.amdhsa_user_sgpr_count 6
		.amdhsa_user_sgpr_private_segment_buffer 1
		.amdhsa_user_sgpr_dispatch_ptr 0
		.amdhsa_user_sgpr_queue_ptr 0
		.amdhsa_user_sgpr_kernarg_segment_ptr 1
		.amdhsa_user_sgpr_dispatch_id 0
		.amdhsa_user_sgpr_flat_scratch_init 0
		.amdhsa_user_sgpr_private_segment_size 0
		.amdhsa_wavefront_size32 1
		.amdhsa_uses_dynamic_stack 0
		.amdhsa_system_sgpr_private_segment_wavefront_offset 0
		.amdhsa_system_sgpr_workgroup_id_x 1
		.amdhsa_system_sgpr_workgroup_id_y 0
		.amdhsa_system_sgpr_workgroup_id_z 0
		.amdhsa_system_sgpr_workgroup_info 0
		.amdhsa_system_vgpr_workitem_id 0
		.amdhsa_next_free_vgpr 53
		.amdhsa_next_free_sgpr 33
		.amdhsa_reserve_vcc 1
		.amdhsa_reserve_flat_scratch 0
		.amdhsa_float_round_mode_32 0
		.amdhsa_float_round_mode_16_64 0
		.amdhsa_float_denorm_mode_32 3
		.amdhsa_float_denorm_mode_16_64 3
		.amdhsa_dx10_clamp 1
		.amdhsa_ieee_mode 1
		.amdhsa_fp16_overflow 0
		.amdhsa_workgroup_processor_mode 1
		.amdhsa_memory_ordered 1
		.amdhsa_forward_progress 1
		.amdhsa_shared_vgpr_count 0
		.amdhsa_exception_fp_ieee_invalid_op 0
		.amdhsa_exception_fp_denorm_src 0
		.amdhsa_exception_fp_ieee_div_zero 0
		.amdhsa_exception_fp_ieee_overflow 0
		.amdhsa_exception_fp_ieee_underflow 0
		.amdhsa_exception_fp_ieee_inexact 0
		.amdhsa_exception_int_div_zero 0
	.end_amdhsa_kernel
	.section	.text._ZN2at6native29vectorized_elementwise_kernelILi4EZZZNS0_15sin_kernel_cudaERNS_18TensorIteratorBaseEENKUlvE0_clEvENKUlvE1_clEvEUlN3c104HalfEE_St5arrayIPcLm2EEEEviT0_T1_,"axG",@progbits,_ZN2at6native29vectorized_elementwise_kernelILi4EZZZNS0_15sin_kernel_cudaERNS_18TensorIteratorBaseEENKUlvE0_clEvENKUlvE1_clEvEUlN3c104HalfEE_St5arrayIPcLm2EEEEviT0_T1_,comdat
.Lfunc_end20:
	.size	_ZN2at6native29vectorized_elementwise_kernelILi4EZZZNS0_15sin_kernel_cudaERNS_18TensorIteratorBaseEENKUlvE0_clEvENKUlvE1_clEvEUlN3c104HalfEE_St5arrayIPcLm2EEEEviT0_T1_, .Lfunc_end20-_ZN2at6native29vectorized_elementwise_kernelILi4EZZZNS0_15sin_kernel_cudaERNS_18TensorIteratorBaseEENKUlvE0_clEvENKUlvE1_clEvEUlN3c104HalfEE_St5arrayIPcLm2EEEEviT0_T1_
                                        ; -- End function
	.set _ZN2at6native29vectorized_elementwise_kernelILi4EZZZNS0_15sin_kernel_cudaERNS_18TensorIteratorBaseEENKUlvE0_clEvENKUlvE1_clEvEUlN3c104HalfEE_St5arrayIPcLm2EEEEviT0_T1_.num_vgpr, max(53, .L_ZN2at6native25elementwise_kernel_helperILb0EZZZNS0_15sin_kernel_cudaERNS_18TensorIteratorBaseEENKUlvE0_clEvENKUlvE1_clEvEUlN3c104HalfEE_NS0_6memory8policies11unroll_baseILi256ESt5arrayIPcLm2EE23TrivialOffsetCalculatorILi1EjESG_NS9_15LoadWithoutCastENS9_16StoreWithoutCastELi8ELi1EEEEEvT0_T1_.num_vgpr)
	.set _ZN2at6native29vectorized_elementwise_kernelILi4EZZZNS0_15sin_kernel_cudaERNS_18TensorIteratorBaseEENKUlvE0_clEvENKUlvE1_clEvEUlN3c104HalfEE_St5arrayIPcLm2EEEEviT0_T1_.num_agpr, max(0, .L_ZN2at6native25elementwise_kernel_helperILb0EZZZNS0_15sin_kernel_cudaERNS_18TensorIteratorBaseEENKUlvE0_clEvENKUlvE1_clEvEUlN3c104HalfEE_NS0_6memory8policies11unroll_baseILi256ESt5arrayIPcLm2EE23TrivialOffsetCalculatorILi1EjESG_NS9_15LoadWithoutCastENS9_16StoreWithoutCastELi8ELi1EEEEEvT0_T1_.num_agpr)
	.set _ZN2at6native29vectorized_elementwise_kernelILi4EZZZNS0_15sin_kernel_cudaERNS_18TensorIteratorBaseEENKUlvE0_clEvENKUlvE1_clEvEUlN3c104HalfEE_St5arrayIPcLm2EEEEviT0_T1_.numbered_sgpr, max(33, .L_ZN2at6native25elementwise_kernel_helperILb0EZZZNS0_15sin_kernel_cudaERNS_18TensorIteratorBaseEENKUlvE0_clEvENKUlvE1_clEvEUlN3c104HalfEE_NS0_6memory8policies11unroll_baseILi256ESt5arrayIPcLm2EE23TrivialOffsetCalculatorILi1EjESG_NS9_15LoadWithoutCastENS9_16StoreWithoutCastELi8ELi1EEEEEvT0_T1_.numbered_sgpr)
	.set _ZN2at6native29vectorized_elementwise_kernelILi4EZZZNS0_15sin_kernel_cudaERNS_18TensorIteratorBaseEENKUlvE0_clEvENKUlvE1_clEvEUlN3c104HalfEE_St5arrayIPcLm2EEEEviT0_T1_.num_named_barrier, max(0, .L_ZN2at6native25elementwise_kernel_helperILb0EZZZNS0_15sin_kernel_cudaERNS_18TensorIteratorBaseEENKUlvE0_clEvENKUlvE1_clEvEUlN3c104HalfEE_NS0_6memory8policies11unroll_baseILi256ESt5arrayIPcLm2EE23TrivialOffsetCalculatorILi1EjESG_NS9_15LoadWithoutCastENS9_16StoreWithoutCastELi8ELi1EEEEEvT0_T1_.num_named_barrier)
	.set _ZN2at6native29vectorized_elementwise_kernelILi4EZZZNS0_15sin_kernel_cudaERNS_18TensorIteratorBaseEENKUlvE0_clEvENKUlvE1_clEvEUlN3c104HalfEE_St5arrayIPcLm2EEEEviT0_T1_.private_seg_size, 0+max(.L_ZN2at6native25elementwise_kernel_helperILb0EZZZNS0_15sin_kernel_cudaERNS_18TensorIteratorBaseEENKUlvE0_clEvENKUlvE1_clEvEUlN3c104HalfEE_NS0_6memory8policies11unroll_baseILi256ESt5arrayIPcLm2EE23TrivialOffsetCalculatorILi1EjESG_NS9_15LoadWithoutCastENS9_16StoreWithoutCastELi8ELi1EEEEEvT0_T1_.private_seg_size)
	.set _ZN2at6native29vectorized_elementwise_kernelILi4EZZZNS0_15sin_kernel_cudaERNS_18TensorIteratorBaseEENKUlvE0_clEvENKUlvE1_clEvEUlN3c104HalfEE_St5arrayIPcLm2EEEEviT0_T1_.uses_vcc, or(1, .L_ZN2at6native25elementwise_kernel_helperILb0EZZZNS0_15sin_kernel_cudaERNS_18TensorIteratorBaseEENKUlvE0_clEvENKUlvE1_clEvEUlN3c104HalfEE_NS0_6memory8policies11unroll_baseILi256ESt5arrayIPcLm2EE23TrivialOffsetCalculatorILi1EjESG_NS9_15LoadWithoutCastENS9_16StoreWithoutCastELi8ELi1EEEEEvT0_T1_.uses_vcc)
	.set _ZN2at6native29vectorized_elementwise_kernelILi4EZZZNS0_15sin_kernel_cudaERNS_18TensorIteratorBaseEENKUlvE0_clEvENKUlvE1_clEvEUlN3c104HalfEE_St5arrayIPcLm2EEEEviT0_T1_.uses_flat_scratch, or(0, .L_ZN2at6native25elementwise_kernel_helperILb0EZZZNS0_15sin_kernel_cudaERNS_18TensorIteratorBaseEENKUlvE0_clEvENKUlvE1_clEvEUlN3c104HalfEE_NS0_6memory8policies11unroll_baseILi256ESt5arrayIPcLm2EE23TrivialOffsetCalculatorILi1EjESG_NS9_15LoadWithoutCastENS9_16StoreWithoutCastELi8ELi1EEEEEvT0_T1_.uses_flat_scratch)
	.set _ZN2at6native29vectorized_elementwise_kernelILi4EZZZNS0_15sin_kernel_cudaERNS_18TensorIteratorBaseEENKUlvE0_clEvENKUlvE1_clEvEUlN3c104HalfEE_St5arrayIPcLm2EEEEviT0_T1_.has_dyn_sized_stack, or(0, .L_ZN2at6native25elementwise_kernel_helperILb0EZZZNS0_15sin_kernel_cudaERNS_18TensorIteratorBaseEENKUlvE0_clEvENKUlvE1_clEvEUlN3c104HalfEE_NS0_6memory8policies11unroll_baseILi256ESt5arrayIPcLm2EE23TrivialOffsetCalculatorILi1EjESG_NS9_15LoadWithoutCastENS9_16StoreWithoutCastELi8ELi1EEEEEvT0_T1_.has_dyn_sized_stack)
	.set _ZN2at6native29vectorized_elementwise_kernelILi4EZZZNS0_15sin_kernel_cudaERNS_18TensorIteratorBaseEENKUlvE0_clEvENKUlvE1_clEvEUlN3c104HalfEE_St5arrayIPcLm2EEEEviT0_T1_.has_recursion, or(0, .L_ZN2at6native25elementwise_kernel_helperILb0EZZZNS0_15sin_kernel_cudaERNS_18TensorIteratorBaseEENKUlvE0_clEvENKUlvE1_clEvEUlN3c104HalfEE_NS0_6memory8policies11unroll_baseILi256ESt5arrayIPcLm2EE23TrivialOffsetCalculatorILi1EjESG_NS9_15LoadWithoutCastENS9_16StoreWithoutCastELi8ELi1EEEEEvT0_T1_.has_recursion)
	.set _ZN2at6native29vectorized_elementwise_kernelILi4EZZZNS0_15sin_kernel_cudaERNS_18TensorIteratorBaseEENKUlvE0_clEvENKUlvE1_clEvEUlN3c104HalfEE_St5arrayIPcLm2EEEEviT0_T1_.has_indirect_call, or(0, .L_ZN2at6native25elementwise_kernel_helperILb0EZZZNS0_15sin_kernel_cudaERNS_18TensorIteratorBaseEENKUlvE0_clEvENKUlvE1_clEvEUlN3c104HalfEE_NS0_6memory8policies11unroll_baseILi256ESt5arrayIPcLm2EE23TrivialOffsetCalculatorILi1EjESG_NS9_15LoadWithoutCastENS9_16StoreWithoutCastELi8ELi1EEEEEvT0_T1_.has_indirect_call)
	.section	.AMDGPU.csdata,"",@progbits
; Kernel info:
; codeLenInByte = 6484
; TotalNumSgprs: 35
; NumVgprs: 53
; ScratchSize: 0
; MemoryBound: 0
; FloatMode: 240
; IeeeMode: 1
; LDSByteSize: 0 bytes/workgroup (compile time only)
; SGPRBlocks: 0
; VGPRBlocks: 6
; NumSGPRsForWavesPerEU: 35
; NumVGPRsForWavesPerEU: 53
; Occupancy: 16
; WaveLimiterHint : 1
; COMPUTE_PGM_RSRC2:SCRATCH_EN: 0
; COMPUTE_PGM_RSRC2:USER_SGPR: 6
; COMPUTE_PGM_RSRC2:TRAP_HANDLER: 0
; COMPUTE_PGM_RSRC2:TGID_X_EN: 1
; COMPUTE_PGM_RSRC2:TGID_Y_EN: 0
; COMPUTE_PGM_RSRC2:TGID_Z_EN: 0
; COMPUTE_PGM_RSRC2:TIDIG_COMP_CNT: 0
	.section	.text._ZN2at6native29vectorized_elementwise_kernelILi2EZZZNS0_15sin_kernel_cudaERNS_18TensorIteratorBaseEENKUlvE0_clEvENKUlvE1_clEvEUlN3c104HalfEE_St5arrayIPcLm2EEEEviT0_T1_,"axG",@progbits,_ZN2at6native29vectorized_elementwise_kernelILi2EZZZNS0_15sin_kernel_cudaERNS_18TensorIteratorBaseEENKUlvE0_clEvENKUlvE1_clEvEUlN3c104HalfEE_St5arrayIPcLm2EEEEviT0_T1_,comdat
	.globl	_ZN2at6native29vectorized_elementwise_kernelILi2EZZZNS0_15sin_kernel_cudaERNS_18TensorIteratorBaseEENKUlvE0_clEvENKUlvE1_clEvEUlN3c104HalfEE_St5arrayIPcLm2EEEEviT0_T1_ ; -- Begin function _ZN2at6native29vectorized_elementwise_kernelILi2EZZZNS0_15sin_kernel_cudaERNS_18TensorIteratorBaseEENKUlvE0_clEvENKUlvE1_clEvEUlN3c104HalfEE_St5arrayIPcLm2EEEEviT0_T1_
	.p2align	8
	.type	_ZN2at6native29vectorized_elementwise_kernelILi2EZZZNS0_15sin_kernel_cudaERNS_18TensorIteratorBaseEENKUlvE0_clEvENKUlvE1_clEvEUlN3c104HalfEE_St5arrayIPcLm2EEEEviT0_T1_,@function
_ZN2at6native29vectorized_elementwise_kernelILi2EZZZNS0_15sin_kernel_cudaERNS_18TensorIteratorBaseEENKUlvE0_clEvENKUlvE1_clEvEUlN3c104HalfEE_St5arrayIPcLm2EEEEviT0_T1_: ; @_ZN2at6native29vectorized_elementwise_kernelILi2EZZZNS0_15sin_kernel_cudaERNS_18TensorIteratorBaseEENKUlvE0_clEvENKUlvE1_clEvEUlN3c104HalfEE_St5arrayIPcLm2EEEEviT0_T1_
; %bb.0:
	s_add_u32 s0, s0, s7
	s_clause 0x1
	s_load_dword s7, s[4:5], 0x0
	s_load_dwordx4 s[8:11], s[4:5], 0x8
	s_addc_u32 s1, s1, 0
	s_lshl_b32 s4, s6, 11
	s_mov_b32 s12, -1
	s_mov_b32 s32, 0
	s_waitcnt lgkmcnt(0)
	s_sub_i32 s7, s7, s4
	s_cmpk_gt_i32 s7, 0x7ff
	s_cbranch_scc1 .LBB21_3
; %bb.1:
	s_and_b32 vcc_lo, exec_lo, s12
	s_cbranch_vccnz .LBB21_36
.LBB21_2:
	s_endpgm
.LBB21_3:
	s_ashr_i32 s5, s4, 31
	v_lshlrev_b32_e32 v3, 2, v0
	s_lshl_b64 s[12:13], s[4:5], 1
                                        ; implicit-def: $vgpr7
                                        ; implicit-def: $vgpr6
	s_add_u32 s4, s10, s12
	s_addc_u32 s5, s11, s13
	v_add_co_u32 v1, s14, s4, v3
	v_add_co_ci_u32_e64 v2, null, s5, 0, s14
	global_load_dword v9, v3, s[4:5]
	v_add_co_u32 v1, vcc_lo, 0x800, v1
	v_add_co_ci_u32_e64 v2, null, 0, v2, vcc_lo
	s_clause 0x2
	global_load_dword v14, v3, s[4:5] offset:1024
	global_load_dword v18, v[1:2], off
	global_load_dword v8, v[1:2], off offset:1024
	v_mov_b32_e32 v2, 0
	s_mov_b32 s5, exec_lo
	s_waitcnt vmcnt(3)
	v_cvt_f32_f16_e32 v4, v9
	v_and_b32_e32 v5, 0x7fffffff, v4
	v_cmpx_ngt_f32_e64 0x48000000, |v4|
	s_xor_b32 s14, exec_lo, s5
	s_cbranch_execz .LBB21_5
; %bb.4:
	s_mov_b32 s4, 0x7fffff
	v_and_or_b32 v19, v5, s4, 0x800000
	v_mad_u64_u32 v[6:7], null, 0xfe5163ab, v19, 0
	v_mov_b32_e32 v1, v7
	v_lshrrev_b32_e32 v7, 23, v5
	v_mad_u64_u32 v[10:11], null, 0x3c439041, v19, v[1:2]
	v_add_nc_u32_e32 v7, 0xffffff88, v7
	v_cmp_lt_u32_e32 vcc_lo, 63, v7
	v_mov_b32_e32 v1, v11
	v_mad_u64_u32 v[11:12], null, 0xdb629599, v19, v[1:2]
	v_mov_b32_e32 v1, v12
	v_cndmask_b32_e32 v6, v11, v6, vcc_lo
	v_mad_u64_u32 v[12:13], null, 0xf534ddc0, v19, v[1:2]
	v_mov_b32_e32 v1, v13
	v_cndmask_b32_e64 v13, 0, 0xffffffc0, vcc_lo
	v_cndmask_b32_e32 v10, v12, v10, vcc_lo
	v_mad_u64_u32 v[15:16], null, 0xfc2757d1, v19, v[1:2]
	v_add_nc_u32_e32 v7, v13, v7
	v_cmp_lt_u32_e64 s4, 31, v7
	v_mov_b32_e32 v1, v16
	v_cndmask_b32_e64 v13, 0, 0xffffffe0, s4
	v_mad_u64_u32 v[16:17], null, 0x4e441529, v19, v[1:2]
	v_cndmask_b32_e64 v6, v10, v6, s4
	v_add_nc_u32_e32 v7, v13, v7
	v_mov_b32_e32 v1, v17
	v_cmp_lt_u32_e64 s5, 31, v7
	v_cndmask_b32_e32 v17, v16, v12, vcc_lo
	v_mad_u64_u32 v[1:2], null, 0xa2f9836e, v19, v[1:2]
	v_cndmask_b32_e64 v13, 0, 0xffffffe0, s5
	v_add_nc_u32_e32 v7, v13, v7
	v_cndmask_b32_e32 v1, v1, v15, vcc_lo
	v_cndmask_b32_e32 v2, v2, v16, vcc_lo
	;; [unrolled: 1-line block ×3, first 2 shown]
	v_sub_nc_u32_e32 v13, 32, v7
	v_cndmask_b32_e64 v12, v1, v17, s4
	v_cndmask_b32_e64 v1, v2, v1, s4
	;; [unrolled: 1-line block ×4, first 2 shown]
	v_cmp_eq_u32_e32 vcc_lo, 0, v7
	v_cndmask_b32_e64 v1, v1, v12, s5
	v_cndmask_b32_e64 v12, v12, v2, s5
	;; [unrolled: 1-line block ×4, first 2 shown]
	v_alignbit_b32 v16, v1, v12, v13
	v_alignbit_b32 v11, v12, v2, v13
	v_alignbit_b32 v13, v2, v6, v13
	v_cndmask_b32_e32 v1, v16, v1, vcc_lo
	v_cndmask_b32_e32 v7, v11, v12, vcc_lo
	;; [unrolled: 1-line block ×3, first 2 shown]
	v_bfe_u32 v10, v1, 29, 1
	v_alignbit_b32 v11, v1, v7, 30
	v_alignbit_b32 v7, v7, v2, 30
	;; [unrolled: 1-line block ×3, first 2 shown]
	v_sub_nc_u32_e32 v12, 0, v10
	v_xor_b32_e32 v11, v11, v12
	v_xor_b32_e32 v6, v7, v12
	;; [unrolled: 1-line block ×3, first 2 shown]
	v_lshrrev_b32_e32 v12, 29, v1
	v_lshrrev_b32_e32 v1, 30, v1
	v_ffbh_u32_e32 v13, v11
	v_min_u32_e32 v13, 32, v13
	v_sub_nc_u32_e32 v7, 31, v13
	v_lshlrev_b32_e32 v15, 23, v13
	v_alignbit_b32 v11, v11, v6, v7
	v_alignbit_b32 v2, v6, v2, v7
	v_lshlrev_b32_e32 v6, 31, v12
	v_alignbit_b32 v7, v11, v2, 9
	v_or_b32_e32 v12, 0.5, v6
	v_lshrrev_b32_e32 v11, 9, v11
	v_or_b32_e32 v6, 0x33000000, v6
	v_ffbh_u32_e32 v16, v7
	v_sub_nc_u32_e32 v12, v12, v15
	v_min_u32_e32 v15, 32, v16
	v_or_b32_e32 v11, v11, v12
	v_not_b32_e32 v12, v15
	v_mul_f32_e32 v16, 0x3fc90fda, v11
	v_add_lshl_u32 v13, v15, v13, 23
	v_alignbit_b32 v2, v7, v2, v12
	v_fma_f32 v7, 0x3fc90fda, v11, -v16
	v_sub_nc_u32_e32 v6, v6, v13
	v_lshrrev_b32_e32 v2, 9, v2
	v_fmamk_f32 v7, v11, 0x33a22168, v7
	v_or_b32_e32 v2, v6, v2
	v_fmac_f32_e32 v7, 0x3fc90fda, v2
	v_add_f32_e32 v6, v16, v7
	v_add_nc_u32_e32 v7, v10, v1
.LBB21_5:
	s_andn2_saveexec_b32 s4, s14
; %bb.6:
	v_mul_f32_e64 v1, 0x3f22f983, |v4|
	v_rndne_f32_e32 v1, v1
	v_fma_f32 v2, 0xbfc90fda, v1, |v4|
	v_cvt_i32_f32_e32 v7, v1
	v_fmamk_f32 v2, v1, 0xb3a22168, v2
	v_fmamk_f32 v6, v1, 0xa7c234c4, v2
; %bb.7:
	s_or_b32 exec_lo, exec_lo, s4
	v_cvt_f32_f16_sdwa v1, v9 dst_sel:DWORD dst_unused:UNUSED_PAD src0_sel:WORD_1
                                        ; implicit-def: $vgpr12
                                        ; implicit-def: $vgpr10
	s_mov_b32 s5, exec_lo
	v_and_b32_e32 v2, 0x7fffffff, v1
	v_cmpx_ngt_f32_e64 0x48000000, |v1|
	s_xor_b32 s14, exec_lo, s5
	s_cbranch_execz .LBB21_9
; %bb.8:
	s_mov_b32 s4, 0x7fffff
	v_mov_b32_e32 v11, 0
	v_and_or_b32 v22, v2, s4, 0x800000
	v_mad_u64_u32 v[9:10], null, 0xfe5163ab, v22, 0
	v_mad_u64_u32 v[12:13], null, 0x3c439041, v22, v[10:11]
	v_mov_b32_e32 v10, v13
	v_lshrrev_b32_e32 v13, 23, v2
	v_mad_u64_u32 v[15:16], null, 0xdb629599, v22, v[10:11]
	v_add_nc_u32_e32 v13, 0xffffff88, v13
	v_cmp_lt_u32_e32 vcc_lo, 63, v13
	v_mov_b32_e32 v10, v16
	v_cndmask_b32_e32 v9, v15, v9, vcc_lo
	v_mad_u64_u32 v[16:17], null, 0xf534ddc0, v22, v[10:11]
	v_mov_b32_e32 v10, v17
	v_cndmask_b32_e64 v17, 0, 0xffffffc0, vcc_lo
	v_cndmask_b32_e32 v12, v16, v12, vcc_lo
	v_mad_u64_u32 v[19:20], null, 0xfc2757d1, v22, v[10:11]
	v_add_nc_u32_e32 v13, v17, v13
	v_cmp_lt_u32_e64 s4, 31, v13
	v_mov_b32_e32 v10, v20
	v_cndmask_b32_e64 v17, 0, 0xffffffe0, s4
	v_mad_u64_u32 v[20:21], null, 0x4e441529, v22, v[10:11]
	v_cndmask_b32_e64 v9, v12, v9, s4
	v_add_nc_u32_e32 v13, v17, v13
	v_mov_b32_e32 v10, v21
	v_cmp_lt_u32_e64 s5, 31, v13
	v_cndmask_b32_e32 v21, v20, v16, vcc_lo
	v_mad_u64_u32 v[10:11], null, 0xa2f9836e, v22, v[10:11]
	v_cndmask_b32_e64 v17, 0, 0xffffffe0, s5
	v_add_nc_u32_e32 v13, v17, v13
	v_cndmask_b32_e32 v10, v10, v19, vcc_lo
	v_cndmask_b32_e32 v11, v11, v20, vcc_lo
	;; [unrolled: 1-line block ×3, first 2 shown]
	v_sub_nc_u32_e32 v17, 32, v13
	v_cndmask_b32_e64 v16, v10, v21, s4
	v_cndmask_b32_e64 v10, v11, v10, s4
	;; [unrolled: 1-line block ×4, first 2 shown]
	v_cmp_eq_u32_e32 vcc_lo, 0, v13
	v_cndmask_b32_e64 v10, v10, v16, s5
	v_cndmask_b32_e64 v16, v16, v11, s5
	;; [unrolled: 1-line block ×4, first 2 shown]
	v_alignbit_b32 v20, v10, v16, v17
	v_alignbit_b32 v15, v16, v11, v17
	;; [unrolled: 1-line block ×3, first 2 shown]
	v_cndmask_b32_e32 v10, v20, v10, vcc_lo
	v_cndmask_b32_e32 v12, v15, v16, vcc_lo
	;; [unrolled: 1-line block ×3, first 2 shown]
	v_bfe_u32 v13, v10, 29, 1
	v_alignbit_b32 v15, v10, v12, 30
	v_alignbit_b32 v12, v12, v11, 30
	;; [unrolled: 1-line block ×3, first 2 shown]
	v_sub_nc_u32_e32 v16, 0, v13
	v_xor_b32_e32 v15, v15, v16
	v_xor_b32_e32 v11, v12, v16
	;; [unrolled: 1-line block ×3, first 2 shown]
	v_lshrrev_b32_e32 v16, 29, v10
	v_ffbh_u32_e32 v17, v15
	v_min_u32_e32 v17, 32, v17
	v_sub_nc_u32_e32 v12, 31, v17
	v_lshlrev_b32_e32 v19, 23, v17
	v_alignbit_b32 v15, v15, v11, v12
	v_alignbit_b32 v9, v11, v9, v12
	v_lshlrev_b32_e32 v11, 31, v16
	v_alignbit_b32 v12, v15, v9, 9
	v_or_b32_e32 v16, 0.5, v11
	v_lshrrev_b32_e32 v15, 9, v15
	v_or_b32_e32 v11, 0x33000000, v11
	v_ffbh_u32_e32 v20, v12
	v_sub_nc_u32_e32 v16, v16, v19
	v_min_u32_e32 v19, 32, v20
	v_or_b32_e32 v15, v15, v16
	v_not_b32_e32 v16, v19
	v_mul_f32_e32 v20, 0x3fc90fda, v15
	v_add_lshl_u32 v17, v19, v17, 23
	v_alignbit_b32 v9, v12, v9, v16
	v_fma_f32 v12, 0x3fc90fda, v15, -v20
	v_sub_nc_u32_e32 v11, v11, v17
	v_lshrrev_b32_e32 v9, 9, v9
	v_fmamk_f32 v12, v15, 0x33a22168, v12
	v_or_b32_e32 v9, v11, v9
	v_fmac_f32_e32 v12, 0x3fc90fda, v9
	v_lshrrev_b32_e32 v9, 30, v10
	v_add_f32_e32 v10, v20, v12
	v_add_nc_u32_e32 v12, v13, v9
.LBB21_9:
	s_andn2_saveexec_b32 s4, s14
; %bb.10:
	v_mul_f32_e64 v9, 0x3f22f983, |v1|
	v_rndne_f32_e32 v9, v9
	v_fma_f32 v10, 0xbfc90fda, v9, |v1|
	v_cvt_i32_f32_e32 v12, v9
	v_fmamk_f32 v10, v9, 0xb3a22168, v10
	v_fmamk_f32 v10, v9, 0xa7c234c4, v10
; %bb.11:
	s_or_b32 exec_lo, exec_lo, s4
	s_waitcnt vmcnt(2)
	v_cvt_f32_f16_e32 v9, v14
                                        ; implicit-def: $vgpr17
                                        ; implicit-def: $vgpr13
	s_mov_b32 s5, exec_lo
	v_and_b32_e32 v11, 0x7fffffff, v9
	v_cmpx_ngt_f32_e64 0x48000000, |v9|
	s_xor_b32 s14, exec_lo, s5
	s_cbranch_execz .LBB21_13
; %bb.12:
	s_mov_b32 s4, 0x7fffff
	v_mov_b32_e32 v17, 0
	v_and_or_b32 v13, v11, s4, 0x800000
	v_lshrrev_b32_e32 v23, 23, v11
	v_mad_u64_u32 v[15:16], null, 0xfe5163ab, v13, 0
	v_add_nc_u32_e32 v24, 0xffffff88, v23
	v_cmp_lt_u32_e32 vcc_lo, 63, v24
	v_mad_u64_u32 v[19:20], null, 0x3c439041, v13, v[16:17]
	v_cndmask_b32_e64 v25, 0, 0xffffffc0, vcc_lo
	v_mov_b32_e32 v16, v20
	v_add_nc_u32_e32 v25, v25, v24
	v_mad_u64_u32 v[20:21], null, 0xdb629599, v13, v[16:17]
	v_cmp_lt_u32_e64 s4, 31, v25
	v_cndmask_b32_e64 v26, 0, 0xffffffe0, s4
	v_mov_b32_e32 v16, v21
	v_cndmask_b32_e32 v15, v20, v15, vcc_lo
	v_mad_u64_u32 v[21:22], null, 0xf534ddc0, v13, v[16:17]
	v_mov_b32_e32 v16, v22
	v_cndmask_b32_e32 v19, v21, v19, vcc_lo
	v_mad_u64_u32 v[22:23], null, 0xfc2757d1, v13, v[16:17]
	v_cndmask_b32_e64 v15, v19, v15, s4
	v_mov_b32_e32 v16, v23
	v_mad_u64_u32 v[23:24], null, 0x4e441529, v13, v[16:17]
	v_mov_b32_e32 v16, v24
	v_add_nc_u32_e32 v24, v26, v25
	v_cndmask_b32_e32 v25, v23, v21, vcc_lo
	v_mad_u64_u32 v[16:17], null, 0xa2f9836e, v13, v[16:17]
	v_cmp_lt_u32_e64 s5, 31, v24
	v_cndmask_b32_e64 v13, 0, 0xffffffe0, s5
	v_cndmask_b32_e32 v16, v16, v22, vcc_lo
	v_cndmask_b32_e32 v17, v17, v23, vcc_lo
	;; [unrolled: 1-line block ×3, first 2 shown]
	v_add_nc_u32_e32 v13, v13, v24
	v_cndmask_b32_e64 v21, v16, v25, s4
	v_cndmask_b32_e64 v16, v17, v16, s4
	;; [unrolled: 1-line block ×4, first 2 shown]
	v_sub_nc_u32_e32 v23, 32, v13
	v_cmp_eq_u32_e32 vcc_lo, 0, v13
	v_cndmask_b32_e64 v16, v16, v21, s5
	v_cndmask_b32_e64 v21, v21, v17, s5
	;; [unrolled: 1-line block ×4, first 2 shown]
	v_alignbit_b32 v24, v16, v21, v23
	v_alignbit_b32 v20, v21, v17, v23
	;; [unrolled: 1-line block ×3, first 2 shown]
	v_cndmask_b32_e32 v13, v24, v16, vcc_lo
	v_cndmask_b32_e32 v16, v20, v21, vcc_lo
	;; [unrolled: 1-line block ×3, first 2 shown]
	v_bfe_u32 v19, v13, 29, 1
	v_alignbit_b32 v20, v13, v16, 30
	v_alignbit_b32 v16, v16, v17, 30
	;; [unrolled: 1-line block ×3, first 2 shown]
	v_sub_nc_u32_e32 v21, 0, v19
	v_xor_b32_e32 v20, v20, v21
	v_xor_b32_e32 v16, v16, v21
	;; [unrolled: 1-line block ×3, first 2 shown]
	v_lshrrev_b32_e32 v21, 29, v13
	v_ffbh_u32_e32 v22, v20
	v_min_u32_e32 v22, 32, v22
	v_sub_nc_u32_e32 v17, 31, v22
	v_lshlrev_b32_e32 v23, 23, v22
	v_alignbit_b32 v20, v20, v16, v17
	v_alignbit_b32 v15, v16, v15, v17
	v_lshlrev_b32_e32 v16, 31, v21
	v_alignbit_b32 v17, v20, v15, 9
	v_or_b32_e32 v21, 0.5, v16
	v_lshrrev_b32_e32 v20, 9, v20
	v_or_b32_e32 v16, 0x33000000, v16
	v_ffbh_u32_e32 v24, v17
	v_sub_nc_u32_e32 v21, v21, v23
	v_min_u32_e32 v23, 32, v24
	v_or_b32_e32 v20, v20, v21
	v_not_b32_e32 v21, v23
	v_mul_f32_e32 v24, 0x3fc90fda, v20
	v_add_lshl_u32 v22, v23, v22, 23
	v_alignbit_b32 v15, v17, v15, v21
	v_fma_f32 v17, 0x3fc90fda, v20, -v24
	v_sub_nc_u32_e32 v16, v16, v22
	v_lshrrev_b32_e32 v15, 9, v15
	v_fmamk_f32 v17, v20, 0x33a22168, v17
	v_or_b32_e32 v15, v16, v15
	v_fmac_f32_e32 v17, 0x3fc90fda, v15
	v_lshrrev_b32_e32 v15, 30, v13
	v_add_f32_e32 v13, v24, v17
	v_add_nc_u32_e32 v17, v19, v15
.LBB21_13:
	s_andn2_saveexec_b32 s4, s14
; %bb.14:
	v_mul_f32_e64 v13, 0x3f22f983, |v9|
	v_rndne_f32_e32 v15, v13
	v_fma_f32 v13, 0xbfc90fda, v15, |v9|
	v_cvt_i32_f32_e32 v17, v15
	v_fmamk_f32 v13, v15, 0xb3a22168, v13
	v_fmamk_f32 v13, v15, 0xa7c234c4, v13
; %bb.15:
	s_or_b32 exec_lo, exec_lo, s4
	v_cvt_f32_f16_sdwa v14, v14 dst_sel:DWORD dst_unused:UNUSED_PAD src0_sel:WORD_1
                                        ; implicit-def: $vgpr21
                                        ; implicit-def: $vgpr19
	s_mov_b32 s5, exec_lo
	v_and_b32_e32 v15, 0x7fffffff, v14
	v_cmpx_ngt_f32_e64 0x48000000, |v14|
	s_xor_b32 s14, exec_lo, s5
	s_cbranch_execz .LBB21_17
; %bb.16:
	s_mov_b32 s4, 0x7fffff
	v_mov_b32_e32 v21, 0
	v_and_or_b32 v16, v15, s4, 0x800000
	v_lshrrev_b32_e32 v26, 23, v15
	v_mad_u64_u32 v[19:20], null, 0xfe5163ab, v16, 0
	v_add_nc_u32_e32 v27, 0xffffff88, v26
	v_cmp_lt_u32_e32 vcc_lo, 63, v27
	v_mad_u64_u32 v[22:23], null, 0x3c439041, v16, v[20:21]
	v_cndmask_b32_e64 v28, 0, 0xffffffc0, vcc_lo
	v_mov_b32_e32 v20, v23
	v_add_nc_u32_e32 v28, v28, v27
	v_mad_u64_u32 v[23:24], null, 0xdb629599, v16, v[20:21]
	v_cmp_lt_u32_e64 s4, 31, v28
	v_cndmask_b32_e64 v29, 0, 0xffffffe0, s4
	v_mov_b32_e32 v20, v24
	v_cndmask_b32_e32 v19, v23, v19, vcc_lo
	v_mad_u64_u32 v[24:25], null, 0xf534ddc0, v16, v[20:21]
	v_mov_b32_e32 v20, v25
	v_cndmask_b32_e32 v22, v24, v22, vcc_lo
	v_mad_u64_u32 v[25:26], null, 0xfc2757d1, v16, v[20:21]
	v_cndmask_b32_e64 v19, v22, v19, s4
	v_mov_b32_e32 v20, v26
	v_mad_u64_u32 v[26:27], null, 0x4e441529, v16, v[20:21]
	v_mov_b32_e32 v20, v27
	v_add_nc_u32_e32 v27, v29, v28
	v_cndmask_b32_e32 v28, v26, v24, vcc_lo
	v_mad_u64_u32 v[20:21], null, 0xa2f9836e, v16, v[20:21]
	v_cmp_lt_u32_e64 s5, 31, v27
	v_cndmask_b32_e64 v16, 0, 0xffffffe0, s5
	v_cndmask_b32_e32 v20, v20, v25, vcc_lo
	v_cndmask_b32_e32 v21, v21, v26, vcc_lo
	;; [unrolled: 1-line block ×3, first 2 shown]
	v_add_nc_u32_e32 v16, v16, v27
	v_cndmask_b32_e64 v24, v20, v28, s4
	v_cndmask_b32_e64 v20, v21, v20, s4
	;; [unrolled: 1-line block ×4, first 2 shown]
	v_sub_nc_u32_e32 v26, 32, v16
	v_cmp_eq_u32_e32 vcc_lo, 0, v16
	v_cndmask_b32_e64 v20, v20, v24, s5
	v_cndmask_b32_e64 v24, v24, v21, s5
	;; [unrolled: 1-line block ×4, first 2 shown]
	v_alignbit_b32 v27, v20, v24, v26
	v_alignbit_b32 v23, v24, v21, v26
	;; [unrolled: 1-line block ×3, first 2 shown]
	v_cndmask_b32_e32 v16, v27, v20, vcc_lo
	v_cndmask_b32_e32 v20, v23, v24, vcc_lo
	;; [unrolled: 1-line block ×3, first 2 shown]
	v_bfe_u32 v22, v16, 29, 1
	v_alignbit_b32 v23, v16, v20, 30
	v_alignbit_b32 v20, v20, v21, 30
	;; [unrolled: 1-line block ×3, first 2 shown]
	v_sub_nc_u32_e32 v24, 0, v22
	v_xor_b32_e32 v23, v23, v24
	v_xor_b32_e32 v20, v20, v24
	;; [unrolled: 1-line block ×3, first 2 shown]
	v_lshrrev_b32_e32 v24, 29, v16
	v_lshrrev_b32_e32 v16, 30, v16
	v_ffbh_u32_e32 v25, v23
	v_min_u32_e32 v25, 32, v25
	v_sub_nc_u32_e32 v21, 31, v25
	v_lshlrev_b32_e32 v26, 23, v25
	v_alignbit_b32 v23, v23, v20, v21
	v_alignbit_b32 v19, v20, v19, v21
	v_lshlrev_b32_e32 v20, 31, v24
	v_alignbit_b32 v21, v23, v19, 9
	v_or_b32_e32 v24, 0.5, v20
	v_lshrrev_b32_e32 v23, 9, v23
	v_or_b32_e32 v20, 0x33000000, v20
	v_ffbh_u32_e32 v27, v21
	v_sub_nc_u32_e32 v24, v24, v26
	v_min_u32_e32 v26, 32, v27
	v_or_b32_e32 v23, v23, v24
	v_not_b32_e32 v24, v26
	v_mul_f32_e32 v27, 0x3fc90fda, v23
	v_add_lshl_u32 v25, v26, v25, 23
	v_alignbit_b32 v19, v21, v19, v24
	v_fma_f32 v21, 0x3fc90fda, v23, -v27
	v_sub_nc_u32_e32 v20, v20, v25
	v_lshrrev_b32_e32 v19, 9, v19
	v_fmamk_f32 v21, v23, 0x33a22168, v21
	v_or_b32_e32 v19, v20, v19
	v_fmac_f32_e32 v21, 0x3fc90fda, v19
	v_add_f32_e32 v19, v27, v21
	v_add_nc_u32_e32 v21, v22, v16
.LBB21_17:
	s_andn2_saveexec_b32 s4, s14
; %bb.18:
	v_mul_f32_e64 v16, 0x3f22f983, |v14|
	v_rndne_f32_e32 v16, v16
	v_fma_f32 v19, 0xbfc90fda, v16, |v14|
	v_cvt_i32_f32_e32 v21, v16
	v_fmamk_f32 v19, v16, 0xb3a22168, v19
	v_fmamk_f32 v19, v16, 0xa7c234c4, v19
; %bb.19:
	s_or_b32 exec_lo, exec_lo, s4
	s_waitcnt vmcnt(1)
	v_cvt_f32_f16_e32 v16, v18
                                        ; implicit-def: $vgpr26
                                        ; implicit-def: $vgpr22
	s_mov_b32 s5, exec_lo
	v_and_b32_e32 v20, 0x7fffffff, v16
	v_cmpx_ngt_f32_e64 0x48000000, |v16|
	s_xor_b32 s14, exec_lo, s5
	s_cbranch_execz .LBB21_21
; %bb.20:
	s_mov_b32 s4, 0x7fffff
	v_mov_b32_e32 v24, 0
	v_and_or_b32 v31, v20, s4, 0x800000
	v_lshrrev_b32_e32 v29, 23, v20
	v_mad_u64_u32 v[22:23], null, 0xfe5163ab, v31, 0
	v_add_nc_u32_e32 v30, 0xffffff88, v29
	v_cmp_lt_u32_e32 vcc_lo, 63, v30
	v_mad_u64_u32 v[25:26], null, 0x3c439041, v31, v[23:24]
	v_cndmask_b32_e64 v32, 0, 0xffffffc0, vcc_lo
	v_mov_b32_e32 v23, v26
	v_add_nc_u32_e32 v32, v32, v30
	v_mad_u64_u32 v[26:27], null, 0xdb629599, v31, v[23:24]
	v_cmp_lt_u32_e64 s4, 31, v32
	v_cndmask_b32_e64 v33, 0, 0xffffffe0, s4
	v_mov_b32_e32 v23, v27
	v_cndmask_b32_e32 v22, v26, v22, vcc_lo
	v_mad_u64_u32 v[27:28], null, 0xf534ddc0, v31, v[23:24]
	v_mov_b32_e32 v23, v28
	v_cndmask_b32_e32 v25, v27, v25, vcc_lo
	v_mad_u64_u32 v[28:29], null, 0xfc2757d1, v31, v[23:24]
	v_cndmask_b32_e64 v22, v25, v22, s4
	v_mov_b32_e32 v23, v29
	v_mad_u64_u32 v[29:30], null, 0x4e441529, v31, v[23:24]
	v_mov_b32_e32 v23, v30
	v_add_nc_u32_e32 v30, v33, v32
	v_cndmask_b32_e32 v32, v29, v27, vcc_lo
	v_mad_u64_u32 v[23:24], null, 0xa2f9836e, v31, v[23:24]
	v_cmp_lt_u32_e64 s5, 31, v30
	v_cndmask_b32_e64 v31, 0, 0xffffffe0, s5
	v_cndmask_b32_e32 v23, v23, v28, vcc_lo
	v_cndmask_b32_e32 v24, v24, v29, vcc_lo
	;; [unrolled: 1-line block ×3, first 2 shown]
	v_add_nc_u32_e32 v29, v31, v30
	v_cndmask_b32_e64 v27, v23, v32, s4
	v_cndmask_b32_e64 v23, v24, v23, s4
	;; [unrolled: 1-line block ×4, first 2 shown]
	v_sub_nc_u32_e32 v30, 32, v29
	v_cmp_eq_u32_e32 vcc_lo, 0, v29
	v_cndmask_b32_e64 v23, v23, v27, s5
	v_cndmask_b32_e64 v27, v27, v24, s5
	;; [unrolled: 1-line block ×4, first 2 shown]
	v_alignbit_b32 v31, v23, v27, v30
	v_alignbit_b32 v26, v27, v24, v30
	;; [unrolled: 1-line block ×3, first 2 shown]
	v_cndmask_b32_e32 v23, v31, v23, vcc_lo
	v_cndmask_b32_e32 v25, v26, v27, vcc_lo
	;; [unrolled: 1-line block ×3, first 2 shown]
	v_bfe_u32 v26, v23, 29, 1
	v_alignbit_b32 v27, v23, v25, 30
	v_alignbit_b32 v25, v25, v24, 30
	;; [unrolled: 1-line block ×3, first 2 shown]
	v_sub_nc_u32_e32 v28, 0, v26
	v_xor_b32_e32 v27, v27, v28
	v_xor_b32_e32 v24, v25, v28
	;; [unrolled: 1-line block ×3, first 2 shown]
	v_lshrrev_b32_e32 v28, 29, v23
	v_lshrrev_b32_e32 v23, 30, v23
	v_ffbh_u32_e32 v29, v27
	v_add_nc_u32_e32 v26, v26, v23
	v_min_u32_e32 v29, 32, v29
	v_sub_nc_u32_e32 v25, 31, v29
	v_lshlrev_b32_e32 v30, 23, v29
	v_alignbit_b32 v27, v27, v24, v25
	v_alignbit_b32 v22, v24, v22, v25
	v_lshlrev_b32_e32 v24, 31, v28
	v_alignbit_b32 v25, v27, v22, 9
	v_or_b32_e32 v28, 0.5, v24
	v_lshrrev_b32_e32 v27, 9, v27
	v_or_b32_e32 v24, 0x33000000, v24
	v_ffbh_u32_e32 v31, v25
	v_sub_nc_u32_e32 v28, v28, v30
	v_min_u32_e32 v30, 32, v31
	v_or_b32_e32 v27, v27, v28
	v_not_b32_e32 v28, v30
	v_mul_f32_e32 v31, 0x3fc90fda, v27
	v_add_lshl_u32 v29, v30, v29, 23
	v_alignbit_b32 v22, v25, v22, v28
	v_fma_f32 v25, 0x3fc90fda, v27, -v31
	v_sub_nc_u32_e32 v24, v24, v29
	v_lshrrev_b32_e32 v22, 9, v22
	v_fmamk_f32 v25, v27, 0x33a22168, v25
	v_or_b32_e32 v22, v24, v22
	v_fmac_f32_e32 v25, 0x3fc90fda, v22
	v_add_f32_e32 v22, v31, v25
.LBB21_21:
	s_andn2_saveexec_b32 s4, s14
; %bb.22:
	v_mul_f32_e64 v22, 0x3f22f983, |v16|
	v_rndne_f32_e32 v23, v22
	v_fma_f32 v22, 0xbfc90fda, v23, |v16|
	v_cvt_i32_f32_e32 v26, v23
	v_fmamk_f32 v22, v23, 0xb3a22168, v22
	v_fmamk_f32 v22, v23, 0xa7c234c4, v22
; %bb.23:
	s_or_b32 exec_lo, exec_lo, s4
	v_cvt_f32_f16_sdwa v18, v18 dst_sel:DWORD dst_unused:UNUSED_PAD src0_sel:WORD_1
                                        ; implicit-def: $vgpr30
                                        ; implicit-def: $vgpr27
	s_mov_b32 s5, exec_lo
	v_and_b32_e32 v23, 0x7fffffff, v18
	v_cmpx_ngt_f32_e64 0x48000000, |v18|
	s_xor_b32 s14, exec_lo, s5
	s_cbranch_execz .LBB21_25
; %bb.24:
	s_mov_b32 s4, 0x7fffff
	v_mov_b32_e32 v28, 0
	v_and_or_b32 v35, v23, s4, 0x800000
	v_mad_u64_u32 v[24:25], null, 0xfe5163ab, v35, 0
	v_mov_b32_e32 v27, v25
	v_lshrrev_b32_e32 v25, 23, v23
	v_mad_u64_u32 v[29:30], null, 0x3c439041, v35, v[27:28]
	v_add_nc_u32_e32 v25, 0xffffff88, v25
	v_cmp_lt_u32_e32 vcc_lo, 63, v25
	v_mov_b32_e32 v27, v30
	v_cndmask_b32_e64 v34, 0, 0xffffffc0, vcc_lo
	v_mad_u64_u32 v[30:31], null, 0xdb629599, v35, v[27:28]
	v_add_nc_u32_e32 v25, v34, v25
	v_mov_b32_e32 v27, v31
	v_cmp_lt_u32_e64 s4, 31, v25
	v_cndmask_b32_e32 v24, v30, v24, vcc_lo
	v_mad_u64_u32 v[31:32], null, 0xf534ddc0, v35, v[27:28]
	v_cndmask_b32_e64 v36, 0, 0xffffffe0, s4
	v_add_nc_u32_e32 v25, v36, v25
	v_mov_b32_e32 v27, v32
	v_cndmask_b32_e32 v29, v31, v29, vcc_lo
	v_cmp_lt_u32_e64 s5, 31, v25
	v_mad_u64_u32 v[32:33], null, 0xfc2757d1, v35, v[27:28]
	v_cndmask_b32_e64 v24, v29, v24, s4
	v_mov_b32_e32 v27, v33
	v_mad_u64_u32 v[33:34], null, 0x4e441529, v35, v[27:28]
	v_mov_b32_e32 v27, v34
	v_cndmask_b32_e64 v34, 0, 0xffffffe0, s5
	v_mad_u64_u32 v[27:28], null, 0xa2f9836e, v35, v[27:28]
	v_cndmask_b32_e32 v35, v33, v31, vcc_lo
	v_add_nc_u32_e32 v25, v34, v25
	v_cndmask_b32_e32 v27, v27, v32, vcc_lo
	v_cndmask_b32_e32 v28, v28, v33, vcc_lo
	;; [unrolled: 1-line block ×3, first 2 shown]
	v_sub_nc_u32_e32 v33, 32, v25
	v_cmp_eq_u32_e32 vcc_lo, 0, v25
	v_cndmask_b32_e64 v31, v27, v35, s4
	v_cndmask_b32_e64 v27, v28, v27, s4
	;; [unrolled: 1-line block ×8, first 2 shown]
	v_alignbit_b32 v34, v27, v31, v33
	v_alignbit_b32 v30, v31, v28, v33
	;; [unrolled: 1-line block ×3, first 2 shown]
	v_cndmask_b32_e32 v25, v34, v27, vcc_lo
	v_cndmask_b32_e32 v27, v30, v31, vcc_lo
	;; [unrolled: 1-line block ×3, first 2 shown]
	v_bfe_u32 v29, v25, 29, 1
	v_alignbit_b32 v30, v25, v27, 30
	v_alignbit_b32 v27, v27, v28, 30
	;; [unrolled: 1-line block ×3, first 2 shown]
	v_sub_nc_u32_e32 v31, 0, v29
	v_xor_b32_e32 v30, v30, v31
	v_xor_b32_e32 v27, v27, v31
	;; [unrolled: 1-line block ×3, first 2 shown]
	v_lshrrev_b32_e32 v31, 29, v25
	v_ffbh_u32_e32 v32, v30
	v_min_u32_e32 v32, 32, v32
	v_sub_nc_u32_e32 v28, 31, v32
	v_lshlrev_b32_e32 v33, 23, v32
	v_alignbit_b32 v30, v30, v27, v28
	v_alignbit_b32 v24, v27, v24, v28
	v_lshlrev_b32_e32 v27, 31, v31
	v_alignbit_b32 v28, v30, v24, 9
	v_or_b32_e32 v31, 0.5, v27
	v_lshrrev_b32_e32 v30, 9, v30
	v_or_b32_e32 v27, 0x33000000, v27
	v_ffbh_u32_e32 v34, v28
	v_sub_nc_u32_e32 v31, v31, v33
	v_min_u32_e32 v33, 32, v34
	v_or_b32_e32 v30, v30, v31
	v_not_b32_e32 v31, v33
	v_mul_f32_e32 v34, 0x3fc90fda, v30
	v_add_lshl_u32 v32, v33, v32, 23
	v_alignbit_b32 v24, v28, v24, v31
	v_fma_f32 v28, 0x3fc90fda, v30, -v34
	v_sub_nc_u32_e32 v27, v27, v32
	v_lshrrev_b32_e32 v24, 9, v24
	v_fmamk_f32 v28, v30, 0x33a22168, v28
	v_or_b32_e32 v24, v27, v24
	v_fmac_f32_e32 v28, 0x3fc90fda, v24
	v_lshrrev_b32_e32 v24, 30, v25
	v_add_f32_e32 v27, v34, v28
	v_add_nc_u32_e32 v30, v29, v24
.LBB21_25:
	s_andn2_saveexec_b32 s4, s14
; %bb.26:
	v_mul_f32_e64 v24, 0x3f22f983, |v18|
	v_rndne_f32_e32 v24, v24
	v_fma_f32 v25, 0xbfc90fda, v24, |v18|
	v_cvt_i32_f32_e32 v30, v24
	v_fmamk_f32 v25, v24, 0xb3a22168, v25
	v_fmamk_f32 v27, v24, 0xa7c234c4, v25
; %bb.27:
	s_or_b32 exec_lo, exec_lo, s4
	s_waitcnt vmcnt(0)
	v_cvt_f32_f16_e32 v24, v8
                                        ; implicit-def: $vgpr32
                                        ; implicit-def: $vgpr28
	s_mov_b32 s5, exec_lo
	v_and_b32_e32 v25, 0x7fffffff, v24
	v_cmpx_ngt_f32_e64 0x48000000, |v24|
	s_xor_b32 s14, exec_lo, s5
	s_cbranch_execz .LBB21_29
; %bb.28:
	s_mov_b32 s4, 0x7fffff
	v_mov_b32_e32 v32, 0
	v_and_or_b32 v39, v25, s4, 0x800000
	v_mad_u64_u32 v[28:29], null, 0xfe5163ab, v39, 0
	v_mov_b32_e32 v31, v29
	v_lshrrev_b32_e32 v29, 23, v25
	v_mad_u64_u32 v[33:34], null, 0x3c439041, v39, v[31:32]
	v_add_nc_u32_e32 v29, 0xffffff88, v29
	v_cmp_lt_u32_e32 vcc_lo, 63, v29
	v_mov_b32_e32 v31, v34
	v_cndmask_b32_e64 v38, 0, 0xffffffc0, vcc_lo
	v_mad_u64_u32 v[34:35], null, 0xdb629599, v39, v[31:32]
	v_add_nc_u32_e32 v29, v38, v29
	v_mov_b32_e32 v31, v35
	v_cmp_lt_u32_e64 s4, 31, v29
	v_cndmask_b32_e32 v28, v34, v28, vcc_lo
	v_mad_u64_u32 v[35:36], null, 0xf534ddc0, v39, v[31:32]
	v_cndmask_b32_e64 v40, 0, 0xffffffe0, s4
	v_add_nc_u32_e32 v29, v40, v29
	v_mov_b32_e32 v31, v36
	v_cndmask_b32_e32 v33, v35, v33, vcc_lo
	v_cmp_lt_u32_e64 s5, 31, v29
	v_mad_u64_u32 v[36:37], null, 0xfc2757d1, v39, v[31:32]
	v_cndmask_b32_e64 v28, v33, v28, s4
	v_mov_b32_e32 v31, v37
	v_mad_u64_u32 v[37:38], null, 0x4e441529, v39, v[31:32]
	v_mov_b32_e32 v31, v38
	v_cndmask_b32_e64 v38, 0, 0xffffffe0, s5
	v_mad_u64_u32 v[31:32], null, 0xa2f9836e, v39, v[31:32]
	v_cndmask_b32_e32 v39, v37, v35, vcc_lo
	v_add_nc_u32_e32 v29, v38, v29
	v_cndmask_b32_e32 v31, v31, v36, vcc_lo
	v_cndmask_b32_e32 v32, v32, v37, vcc_lo
	;; [unrolled: 1-line block ×3, first 2 shown]
	v_sub_nc_u32_e32 v37, 32, v29
	v_cmp_eq_u32_e32 vcc_lo, 0, v29
	v_cndmask_b32_e64 v35, v31, v39, s4
	v_cndmask_b32_e64 v31, v32, v31, s4
	;; [unrolled: 1-line block ×8, first 2 shown]
	v_alignbit_b32 v38, v31, v35, v37
	v_alignbit_b32 v34, v35, v32, v37
	;; [unrolled: 1-line block ×3, first 2 shown]
	v_cndmask_b32_e32 v29, v38, v31, vcc_lo
	v_cndmask_b32_e32 v31, v34, v35, vcc_lo
	;; [unrolled: 1-line block ×3, first 2 shown]
	v_bfe_u32 v33, v29, 29, 1
	v_alignbit_b32 v34, v29, v31, 30
	v_alignbit_b32 v31, v31, v32, 30
	;; [unrolled: 1-line block ×3, first 2 shown]
	v_sub_nc_u32_e32 v35, 0, v33
	v_xor_b32_e32 v34, v34, v35
	v_xor_b32_e32 v31, v31, v35
	;; [unrolled: 1-line block ×3, first 2 shown]
	v_lshrrev_b32_e32 v35, 29, v29
	v_lshrrev_b32_e32 v29, 30, v29
	v_ffbh_u32_e32 v36, v34
	v_min_u32_e32 v36, 32, v36
	v_sub_nc_u32_e32 v32, 31, v36
	v_lshlrev_b32_e32 v37, 23, v36
	v_alignbit_b32 v34, v34, v31, v32
	v_alignbit_b32 v28, v31, v28, v32
	v_lshlrev_b32_e32 v31, 31, v35
	v_alignbit_b32 v32, v34, v28, 9
	v_or_b32_e32 v35, 0.5, v31
	v_lshrrev_b32_e32 v34, 9, v34
	v_or_b32_e32 v31, 0x33000000, v31
	v_ffbh_u32_e32 v38, v32
	v_sub_nc_u32_e32 v35, v35, v37
	v_min_u32_e32 v37, 32, v38
	v_or_b32_e32 v34, v34, v35
	v_not_b32_e32 v35, v37
	v_mul_f32_e32 v38, 0x3fc90fda, v34
	v_add_lshl_u32 v36, v37, v36, 23
	v_alignbit_b32 v28, v32, v28, v35
	v_fma_f32 v32, 0x3fc90fda, v34, -v38
	v_sub_nc_u32_e32 v31, v31, v36
	v_lshrrev_b32_e32 v28, 9, v28
	v_fmamk_f32 v32, v34, 0x33a22168, v32
	v_or_b32_e32 v28, v31, v28
	v_fmac_f32_e32 v32, 0x3fc90fda, v28
	v_add_f32_e32 v28, v38, v32
	v_add_nc_u32_e32 v32, v33, v29
.LBB21_29:
	s_andn2_saveexec_b32 s4, s14
; %bb.30:
	v_mul_f32_e64 v28, 0x3f22f983, |v24|
	v_rndne_f32_e32 v29, v28
	v_fma_f32 v28, 0xbfc90fda, v29, |v24|
	v_cvt_i32_f32_e32 v32, v29
	v_fmamk_f32 v28, v29, 0xb3a22168, v28
	v_fmamk_f32 v28, v29, 0xa7c234c4, v28
; %bb.31:
	s_or_b32 exec_lo, exec_lo, s4
	v_cvt_f32_f16_sdwa v8, v8 dst_sel:DWORD dst_unused:UNUSED_PAD src0_sel:WORD_1
                                        ; implicit-def: $vgpr33
                                        ; implicit-def: $vgpr31
	s_mov_b32 s5, exec_lo
	v_and_b32_e32 v29, 0x7fffffff, v8
	v_cmpx_ngt_f32_e64 0x48000000, |v8|
	s_xor_b32 s14, exec_lo, s5
	s_cbranch_execz .LBB21_33
; %bb.32:
	s_mov_b32 s4, 0x7fffff
	v_mov_b32_e32 v35, 0
	v_and_or_b32 v31, v29, s4, 0x800000
	v_lshrrev_b32_e32 v40, 23, v29
	v_mad_u64_u32 v[33:34], null, 0xfe5163ab, v31, 0
	v_add_nc_u32_e32 v41, 0xffffff88, v40
	v_cmp_lt_u32_e32 vcc_lo, 63, v41
	v_mad_u64_u32 v[36:37], null, 0x3c439041, v31, v[34:35]
	v_cndmask_b32_e64 v42, 0, 0xffffffc0, vcc_lo
	v_mov_b32_e32 v34, v37
	v_add_nc_u32_e32 v42, v42, v41
	v_mad_u64_u32 v[37:38], null, 0xdb629599, v31, v[34:35]
	v_cmp_lt_u32_e64 s4, 31, v42
	v_cndmask_b32_e64 v43, 0, 0xffffffe0, s4
	v_mov_b32_e32 v34, v38
	v_cndmask_b32_e32 v33, v37, v33, vcc_lo
	v_mad_u64_u32 v[38:39], null, 0xf534ddc0, v31, v[34:35]
	v_mov_b32_e32 v34, v39
	v_cndmask_b32_e32 v36, v38, v36, vcc_lo
	v_mad_u64_u32 v[39:40], null, 0xfc2757d1, v31, v[34:35]
	v_cndmask_b32_e64 v33, v36, v33, s4
	v_mov_b32_e32 v34, v40
	v_mad_u64_u32 v[40:41], null, 0x4e441529, v31, v[34:35]
	v_mov_b32_e32 v34, v41
	v_add_nc_u32_e32 v41, v43, v42
	v_cndmask_b32_e32 v42, v40, v38, vcc_lo
	v_mad_u64_u32 v[34:35], null, 0xa2f9836e, v31, v[34:35]
	v_cmp_lt_u32_e64 s5, 31, v41
	v_cndmask_b32_e64 v31, 0, 0xffffffe0, s5
	v_cndmask_b32_e32 v34, v34, v39, vcc_lo
	v_cndmask_b32_e32 v35, v35, v40, vcc_lo
	;; [unrolled: 1-line block ×3, first 2 shown]
	v_add_nc_u32_e32 v31, v31, v41
	v_cndmask_b32_e64 v38, v34, v42, s4
	v_cndmask_b32_e64 v34, v35, v34, s4
	;; [unrolled: 1-line block ×4, first 2 shown]
	v_sub_nc_u32_e32 v40, 32, v31
	v_cmp_eq_u32_e32 vcc_lo, 0, v31
	v_cndmask_b32_e64 v34, v34, v38, s5
	v_cndmask_b32_e64 v38, v38, v35, s5
	;; [unrolled: 1-line block ×4, first 2 shown]
	v_alignbit_b32 v41, v34, v38, v40
	v_alignbit_b32 v37, v38, v35, v40
	;; [unrolled: 1-line block ×3, first 2 shown]
	v_cndmask_b32_e32 v31, v41, v34, vcc_lo
	v_cndmask_b32_e32 v34, v37, v38, vcc_lo
	;; [unrolled: 1-line block ×3, first 2 shown]
	v_bfe_u32 v36, v31, 29, 1
	v_alignbit_b32 v37, v31, v34, 30
	v_alignbit_b32 v34, v34, v35, 30
	;; [unrolled: 1-line block ×3, first 2 shown]
	v_sub_nc_u32_e32 v38, 0, v36
	v_xor_b32_e32 v37, v37, v38
	v_xor_b32_e32 v34, v34, v38
	;; [unrolled: 1-line block ×3, first 2 shown]
	v_lshrrev_b32_e32 v38, 29, v31
	v_ffbh_u32_e32 v39, v37
	v_min_u32_e32 v39, 32, v39
	v_sub_nc_u32_e32 v35, 31, v39
	v_lshlrev_b32_e32 v40, 23, v39
	v_alignbit_b32 v37, v37, v34, v35
	v_alignbit_b32 v33, v34, v33, v35
	v_lshlrev_b32_e32 v34, 31, v38
	v_alignbit_b32 v35, v37, v33, 9
	v_or_b32_e32 v38, 0.5, v34
	v_lshrrev_b32_e32 v37, 9, v37
	v_or_b32_e32 v34, 0x33000000, v34
	v_ffbh_u32_e32 v41, v35
	v_sub_nc_u32_e32 v38, v38, v40
	v_min_u32_e32 v40, 32, v41
	v_or_b32_e32 v37, v37, v38
	v_not_b32_e32 v38, v40
	v_mul_f32_e32 v41, 0x3fc90fda, v37
	v_add_lshl_u32 v39, v40, v39, 23
	v_alignbit_b32 v33, v35, v33, v38
	v_fma_f32 v35, 0x3fc90fda, v37, -v41
	v_sub_nc_u32_e32 v34, v34, v39
	v_lshrrev_b32_e32 v33, 9, v33
	v_fmamk_f32 v35, v37, 0x33a22168, v35
	v_or_b32_e32 v33, v34, v33
	v_fmac_f32_e32 v35, 0x3fc90fda, v33
	v_lshrrev_b32_e32 v33, 30, v31
	v_add_f32_e32 v31, v41, v35
	v_add_nc_u32_e32 v33, v36, v33
.LBB21_33:
	s_andn2_saveexec_b32 s4, s14
; %bb.34:
	v_mul_f32_e64 v31, 0x3f22f983, |v8|
	v_rndne_f32_e32 v33, v31
	v_fma_f32 v31, 0xbfc90fda, v33, |v8|
	v_fmamk_f32 v31, v33, 0xb3a22168, v31
	v_fmamk_f32 v31, v33, 0xa7c234c4, v31
	v_cvt_i32_f32_e32 v33, v33
; %bb.35:
	s_or_b32 exec_lo, exec_lo, s4
	v_mul_f32_e32 v49, v10, v10
	s_add_u32 s4, s8, s12
	s_addc_u32 s5, s9, s13
	s_mov_b32 s12, 0xb94c1982
	s_mov_b32 s13, 0x37d75334
	v_mul_f32_e32 v48, v6, v6
	v_fmaak_f32 v50, s12, v49, 0x3c0881c4
	v_fmaak_f32 v51, s13, v49, 0xbab64f3b
	v_lshlrev_b32_e32 v46, 30, v12
	v_and_b32_e32 v12, 1, v12
	v_fmaak_f32 v52, s12, v48, 0x3c0881c4
	v_fmaak_f32 v53, s13, v48, 0xbab64f3b
	;; [unrolled: 1-line block ×4, first 2 shown]
	v_xor_b32_e32 v2, v2, v1
	v_and_b32_e32 v46, 0x80000000, v46
	v_fmaak_f32 v52, v48, v52, 0xbe2aaa9d
	v_fmaak_f32 v53, v48, v53, 0x3d2aabf7
	v_mul_f32_e32 v50, v49, v50
	v_fmaak_f32 v51, v49, v51, 0xbf000004
	v_lshlrev_b32_e32 v47, 30, v7
	v_and_b32_e32 v7, 1, v7
	v_mul_f32_e32 v52, v48, v52
	v_fmaak_f32 v53, v48, v53, 0xbf000004
	v_xor_b32_e32 v2, v2, v46
	v_fmac_f32_e32 v10, v10, v50
	v_fma_f32 v46, v49, v51, 1.0
	v_cmp_eq_u32_e32 vcc_lo, 0, v12
	v_xor_b32_e32 v5, v5, v4
	v_and_b32_e32 v47, 0x80000000, v47
	v_fmac_f32_e32 v6, v6, v52
	v_fma_f32 v48, v48, v53, 1.0
	v_cndmask_b32_e32 v10, v46, v10, vcc_lo
	v_cmp_eq_u32_e32 vcc_lo, 0, v7
	v_mul_f32_e32 v45, v19, v19
	v_xor_b32_e32 v5, v5, v47
	v_mul_f32_e32 v44, v13, v13
	v_xor_b32_e32 v2, v2, v10
	v_cndmask_b32_e32 v6, v48, v6, vcc_lo
	v_xor_b32_e32 v10, v11, v9
	v_fmaak_f32 v11, s12, v45, 0x3c0881c4
	v_fmaak_f32 v46, s12, v44, 0x3c0881c4
	;; [unrolled: 1-line block ×3, first 2 shown]
	v_xor_b32_e32 v5, v5, v6
	v_xor_b32_e32 v6, v15, v14
	v_fmaak_f32 v15, s13, v45, 0xbab64f3b
	v_fmaak_f32 v11, v45, v11, 0xbe2aaa9d
	v_lshlrev_b32_e32 v42, 30, v21
	v_and_b32_e32 v21, 1, v21
	v_fmaak_f32 v46, v44, v46, 0xbe2aaa9d
	v_fmaak_f32 v15, v45, v15, 0x3d2aabf7
	;; [unrolled: 1-line block ×3, first 2 shown]
	v_mul_f32_e32 v11, v45, v11
	v_lshlrev_b32_e32 v43, 30, v17
	v_and_b32_e32 v17, 1, v17
	v_fmaak_f32 v15, v45, v15, 0xbf000004
	v_mul_f32_e32 v46, v44, v46
	v_fmaak_f32 v47, v44, v47, 0xbf000004
	v_fmac_f32_e32 v19, v19, v11
	v_cmp_eq_u32_e32 vcc_lo, 0, v21
	v_fma_f32 v11, v45, v15, 1.0
	v_fmac_f32_e32 v13, v13, v46
	v_fma_f32 v15, v44, v47, 1.0
	v_and_b32_e32 v42, 0x80000000, v42
	v_and_b32_e32 v43, 0x80000000, v43
	v_cndmask_b32_e32 v11, v11, v19, vcc_lo
	v_cmp_eq_u32_e32 vcc_lo, 0, v17
	v_mul_f32_e32 v41, v27, v27
	v_xor_b32_e32 v6, v6, v42
	v_xor_b32_e32 v10, v10, v43
	v_mul_f32_e32 v40, v22, v22
	v_cndmask_b32_e32 v13, v15, v13, vcc_lo
	v_cmp_class_f32_e64 vcc_lo, v1, 0x1f8
	v_lshlrev_b32_e32 v38, 30, v30
	v_and_b32_e32 v30, 1, v30
	v_mul_f32_e32 v36, v28, v28
	v_mul_f32_e32 v37, v31, v31
	v_cndmask_b32_e32 v1, 0x7fc00000, v2, vcc_lo
	v_cmp_class_f32_e64 vcc_lo, v4, 0x1f8
	v_xor_b32_e32 v2, v6, v11
	v_fmaak_f32 v11, s13, v41, 0xbab64f3b
	v_lshlrev_b32_e32 v39, 30, v26
	v_and_b32_e32 v26, 1, v26
	v_cndmask_b32_e32 v4, 0x7fc00000, v5, vcc_lo
	v_xor_b32_e32 v5, v10, v13
	v_fmaak_f32 v10, s12, v41, 0x3c0881c4
	v_cmp_class_f32_e64 vcc_lo, v14, 0x1f8
	v_fmaak_f32 v13, s12, v40, 0x3c0881c4
	v_fmaak_f32 v14, s13, v40, 0xbab64f3b
	;; [unrolled: 1-line block ×4, first 2 shown]
	v_cndmask_b32_e32 v2, 0x7fc00000, v2, vcc_lo
	v_cmp_class_f32_e64 vcc_lo, v9, 0x1f8
	v_fmaak_f32 v13, v40, v13, 0xbe2aaa9d
	v_fmaak_f32 v14, v40, v14, 0x3d2aabf7
	v_mul_f32_e32 v10, v41, v10
	v_fmaak_f32 v11, v41, v11, 0xbf000004
	v_cndmask_b32_e32 v5, 0x7fc00000, v5, vcc_lo
	v_xor_b32_e32 v6, v23, v18
	v_and_b32_e32 v15, 0x80000000, v38
	v_mul_f32_e32 v13, v40, v13
	v_fmaak_f32 v14, v40, v14, 0xbf000004
	v_fmac_f32_e32 v27, v27, v10
	v_fma_f32 v10, v41, v11, 1.0
	v_cmp_eq_u32_e32 vcc_lo, 0, v30
	v_xor_b32_e32 v9, v20, v16
	v_and_b32_e32 v17, 0x80000000, v39
	v_xor_b32_e32 v6, v6, v15
	v_fmac_f32_e32 v22, v22, v13
	v_fma_f32 v11, v40, v14, 1.0
	v_cndmask_b32_e32 v10, v10, v27, vcc_lo
	v_cmp_eq_u32_e32 vcc_lo, 0, v26
	v_fmaak_f32 v13, s12, v37, 0x3c0881c4
	v_fmaak_f32 v14, s12, v36, 0x3c0881c4
	;; [unrolled: 1-line block ×3, first 2 shown]
	v_xor_b32_e32 v9, v9, v17
	v_cndmask_b32_e32 v11, v11, v22, vcc_lo
	v_fmaak_f32 v17, s13, v36, 0xbab64f3b
	v_xor_b32_e32 v6, v6, v10
	v_fmaak_f32 v10, v37, v13, 0xbe2aaa9d
	v_fmaak_f32 v13, v36, v14, 0xbe2aaa9d
	;; [unrolled: 1-line block ×3, first 2 shown]
	v_lshlrev_b32_e32 v34, 30, v33
	v_and_b32_e32 v33, 1, v33
	v_fmaak_f32 v15, v36, v17, 0x3d2aabf7
	v_xor_b32_e32 v9, v9, v11
	v_mul_f32_e32 v10, v37, v10
	v_mul_f32_e32 v11, v36, v13
	v_fmaak_f32 v13, v37, v14, 0xbf000004
	v_cmp_class_f32_e64 vcc_lo, v18, 0x1f8
	v_lshlrev_b32_e32 v35, 30, v32
	v_and_b32_e32 v32, 1, v32
	v_fmaak_f32 v14, v36, v15, 0xbf000004
	v_fmac_f32_e32 v28, v28, v11
	v_cndmask_b32_e32 v6, 0x7fc00000, v6, vcc_lo
	v_fmac_f32_e32 v31, v31, v10
	v_fma_f32 v11, v37, v13, 1.0
	v_cmp_eq_u32_e32 vcc_lo, 0, v33
	v_fma_f32 v10, v36, v14, 1.0
	v_and_b32_e32 v13, 0x80000000, v34
	v_xor_b32_e32 v15, v29, v8
	v_and_b32_e32 v14, 0x80000000, v35
	v_cndmask_b32_e32 v11, v11, v31, vcc_lo
	v_cmp_eq_u32_e32 vcc_lo, 0, v32
	v_xor_b32_e32 v17, v25, v24
	v_xor_b32_e32 v13, v15, v13
	v_cvt_f16_f32_e32 v6, v6
	v_add_co_u32 v7, s14, s4, v3
	v_cndmask_b32_e32 v10, v10, v28, vcc_lo
	v_cmp_class_f32_e64 vcc_lo, v16, 0x1f8
	v_xor_b32_e32 v14, v17, v14
	v_xor_b32_e32 v11, v13, v11
	v_cvt_f16_f32_e32 v1, v1
	v_cvt_f16_f32_e32 v4, v4
	v_cndmask_b32_e32 v9, 0x7fc00000, v9, vcc_lo
	v_cmp_class_f32_e64 vcc_lo, v8, 0x1f8
	v_xor_b32_e32 v10, v14, v10
	v_cvt_f16_f32_e32 v2, v2
	v_cvt_f16_f32_e32 v5, v5
	;; [unrolled: 1-line block ×3, first 2 shown]
	v_cndmask_b32_e32 v8, 0x7fc00000, v11, vcc_lo
	v_cmp_class_f32_e64 vcc_lo, v24, 0x1f8
	v_add_co_ci_u32_e64 v12, null, s5, 0, s14
	v_pack_b32_f16 v6, v9, v6
	v_cvt_f16_f32_e32 v8, v8
	v_cndmask_b32_e32 v10, 0x7fc00000, v10, vcc_lo
	v_pack_b32_f16 v4, v4, v1
	v_add_co_u32 v1, vcc_lo, 0x800, v7
	v_pack_b32_f16 v5, v5, v2
	v_cvt_f16_f32_e32 v9, v10
	v_add_co_ci_u32_e64 v2, null, 0, v12, vcc_lo
	v_pack_b32_f16 v7, v9, v8
	global_store_dword v3, v4, s[4:5]
	global_store_dword v3, v5, s[4:5] offset:1024
	global_store_dword v[1:2], v6, off
	global_store_dword v[1:2], v7, off offset:1024
	s_branch .LBB21_2
.LBB21_36:
	v_mov_b32_e32 v31, v0
	v_mov_b32_e32 v0, s8
	;; [unrolled: 1-line block ×6, first 2 shown]
	s_getpc_b64 s[4:5]
	s_add_u32 s4, s4, _ZN2at6native25elementwise_kernel_helperILb0EZZZNS0_15sin_kernel_cudaERNS_18TensorIteratorBaseEENKUlvE0_clEvENKUlvE1_clEvEUlN3c104HalfEE_NS0_6memory8policies11unroll_baseILi256ESt5arrayIPcLm2EE23TrivialOffsetCalculatorILi1EjESG_NS9_15LoadWithoutCastENS9_16StoreWithoutCastELi8ELi1EEEEEvT0_T1_@rel32@lo+4
	s_addc_u32 s5, s5, _ZN2at6native25elementwise_kernel_helperILb0EZZZNS0_15sin_kernel_cudaERNS_18TensorIteratorBaseEENKUlvE0_clEvENKUlvE1_clEvEUlN3c104HalfEE_NS0_6memory8policies11unroll_baseILi256ESt5arrayIPcLm2EE23TrivialOffsetCalculatorILi1EjESG_NS9_15LoadWithoutCastENS9_16StoreWithoutCastELi8ELi1EEEEEvT0_T1_@rel32@hi+12
	s_mov_b32 s12, s6
	s_swappc_b64 s[30:31], s[4:5]
	s_endpgm
	.section	.rodata,"a",@progbits
	.p2align	6, 0x0
	.amdhsa_kernel _ZN2at6native29vectorized_elementwise_kernelILi2EZZZNS0_15sin_kernel_cudaERNS_18TensorIteratorBaseEENKUlvE0_clEvENKUlvE1_clEvEUlN3c104HalfEE_St5arrayIPcLm2EEEEviT0_T1_
		.amdhsa_group_segment_fixed_size 0
		.amdhsa_private_segment_fixed_size 0
		.amdhsa_kernarg_size 24
		.amdhsa_user_sgpr_count 6
		.amdhsa_user_sgpr_private_segment_buffer 1
		.amdhsa_user_sgpr_dispatch_ptr 0
		.amdhsa_user_sgpr_queue_ptr 0
		.amdhsa_user_sgpr_kernarg_segment_ptr 1
		.amdhsa_user_sgpr_dispatch_id 0
		.amdhsa_user_sgpr_flat_scratch_init 0
		.amdhsa_user_sgpr_private_segment_size 0
		.amdhsa_wavefront_size32 1
		.amdhsa_uses_dynamic_stack 0
		.amdhsa_system_sgpr_private_segment_wavefront_offset 0
		.amdhsa_system_sgpr_workgroup_id_x 1
		.amdhsa_system_sgpr_workgroup_id_y 0
		.amdhsa_system_sgpr_workgroup_id_z 0
		.amdhsa_system_sgpr_workgroup_info 0
		.amdhsa_system_vgpr_workitem_id 0
		.amdhsa_next_free_vgpr 54
		.amdhsa_next_free_sgpr 33
		.amdhsa_reserve_vcc 1
		.amdhsa_reserve_flat_scratch 0
		.amdhsa_float_round_mode_32 0
		.amdhsa_float_round_mode_16_64 0
		.amdhsa_float_denorm_mode_32 3
		.amdhsa_float_denorm_mode_16_64 3
		.amdhsa_dx10_clamp 1
		.amdhsa_ieee_mode 1
		.amdhsa_fp16_overflow 0
		.amdhsa_workgroup_processor_mode 1
		.amdhsa_memory_ordered 1
		.amdhsa_forward_progress 1
		.amdhsa_shared_vgpr_count 0
		.amdhsa_exception_fp_ieee_invalid_op 0
		.amdhsa_exception_fp_denorm_src 0
		.amdhsa_exception_fp_ieee_div_zero 0
		.amdhsa_exception_fp_ieee_overflow 0
		.amdhsa_exception_fp_ieee_underflow 0
		.amdhsa_exception_fp_ieee_inexact 0
		.amdhsa_exception_int_div_zero 0
	.end_amdhsa_kernel
	.section	.text._ZN2at6native29vectorized_elementwise_kernelILi2EZZZNS0_15sin_kernel_cudaERNS_18TensorIteratorBaseEENKUlvE0_clEvENKUlvE1_clEvEUlN3c104HalfEE_St5arrayIPcLm2EEEEviT0_T1_,"axG",@progbits,_ZN2at6native29vectorized_elementwise_kernelILi2EZZZNS0_15sin_kernel_cudaERNS_18TensorIteratorBaseEENKUlvE0_clEvENKUlvE1_clEvEUlN3c104HalfEE_St5arrayIPcLm2EEEEviT0_T1_,comdat
.Lfunc_end21:
	.size	_ZN2at6native29vectorized_elementwise_kernelILi2EZZZNS0_15sin_kernel_cudaERNS_18TensorIteratorBaseEENKUlvE0_clEvENKUlvE1_clEvEUlN3c104HalfEE_St5arrayIPcLm2EEEEviT0_T1_, .Lfunc_end21-_ZN2at6native29vectorized_elementwise_kernelILi2EZZZNS0_15sin_kernel_cudaERNS_18TensorIteratorBaseEENKUlvE0_clEvENKUlvE1_clEvEUlN3c104HalfEE_St5arrayIPcLm2EEEEviT0_T1_
                                        ; -- End function
	.set _ZN2at6native29vectorized_elementwise_kernelILi2EZZZNS0_15sin_kernel_cudaERNS_18TensorIteratorBaseEENKUlvE0_clEvENKUlvE1_clEvEUlN3c104HalfEE_St5arrayIPcLm2EEEEviT0_T1_.num_vgpr, max(54, .L_ZN2at6native25elementwise_kernel_helperILb0EZZZNS0_15sin_kernel_cudaERNS_18TensorIteratorBaseEENKUlvE0_clEvENKUlvE1_clEvEUlN3c104HalfEE_NS0_6memory8policies11unroll_baseILi256ESt5arrayIPcLm2EE23TrivialOffsetCalculatorILi1EjESG_NS9_15LoadWithoutCastENS9_16StoreWithoutCastELi8ELi1EEEEEvT0_T1_.num_vgpr)
	.set _ZN2at6native29vectorized_elementwise_kernelILi2EZZZNS0_15sin_kernel_cudaERNS_18TensorIteratorBaseEENKUlvE0_clEvENKUlvE1_clEvEUlN3c104HalfEE_St5arrayIPcLm2EEEEviT0_T1_.num_agpr, max(0, .L_ZN2at6native25elementwise_kernel_helperILb0EZZZNS0_15sin_kernel_cudaERNS_18TensorIteratorBaseEENKUlvE0_clEvENKUlvE1_clEvEUlN3c104HalfEE_NS0_6memory8policies11unroll_baseILi256ESt5arrayIPcLm2EE23TrivialOffsetCalculatorILi1EjESG_NS9_15LoadWithoutCastENS9_16StoreWithoutCastELi8ELi1EEEEEvT0_T1_.num_agpr)
	.set _ZN2at6native29vectorized_elementwise_kernelILi2EZZZNS0_15sin_kernel_cudaERNS_18TensorIteratorBaseEENKUlvE0_clEvENKUlvE1_clEvEUlN3c104HalfEE_St5arrayIPcLm2EEEEviT0_T1_.numbered_sgpr, max(33, .L_ZN2at6native25elementwise_kernel_helperILb0EZZZNS0_15sin_kernel_cudaERNS_18TensorIteratorBaseEENKUlvE0_clEvENKUlvE1_clEvEUlN3c104HalfEE_NS0_6memory8policies11unroll_baseILi256ESt5arrayIPcLm2EE23TrivialOffsetCalculatorILi1EjESG_NS9_15LoadWithoutCastENS9_16StoreWithoutCastELi8ELi1EEEEEvT0_T1_.numbered_sgpr)
	.set _ZN2at6native29vectorized_elementwise_kernelILi2EZZZNS0_15sin_kernel_cudaERNS_18TensorIteratorBaseEENKUlvE0_clEvENKUlvE1_clEvEUlN3c104HalfEE_St5arrayIPcLm2EEEEviT0_T1_.num_named_barrier, max(0, .L_ZN2at6native25elementwise_kernel_helperILb0EZZZNS0_15sin_kernel_cudaERNS_18TensorIteratorBaseEENKUlvE0_clEvENKUlvE1_clEvEUlN3c104HalfEE_NS0_6memory8policies11unroll_baseILi256ESt5arrayIPcLm2EE23TrivialOffsetCalculatorILi1EjESG_NS9_15LoadWithoutCastENS9_16StoreWithoutCastELi8ELi1EEEEEvT0_T1_.num_named_barrier)
	.set _ZN2at6native29vectorized_elementwise_kernelILi2EZZZNS0_15sin_kernel_cudaERNS_18TensorIteratorBaseEENKUlvE0_clEvENKUlvE1_clEvEUlN3c104HalfEE_St5arrayIPcLm2EEEEviT0_T1_.private_seg_size, 0+max(.L_ZN2at6native25elementwise_kernel_helperILb0EZZZNS0_15sin_kernel_cudaERNS_18TensorIteratorBaseEENKUlvE0_clEvENKUlvE1_clEvEUlN3c104HalfEE_NS0_6memory8policies11unroll_baseILi256ESt5arrayIPcLm2EE23TrivialOffsetCalculatorILi1EjESG_NS9_15LoadWithoutCastENS9_16StoreWithoutCastELi8ELi1EEEEEvT0_T1_.private_seg_size)
	.set _ZN2at6native29vectorized_elementwise_kernelILi2EZZZNS0_15sin_kernel_cudaERNS_18TensorIteratorBaseEENKUlvE0_clEvENKUlvE1_clEvEUlN3c104HalfEE_St5arrayIPcLm2EEEEviT0_T1_.uses_vcc, or(1, .L_ZN2at6native25elementwise_kernel_helperILb0EZZZNS0_15sin_kernel_cudaERNS_18TensorIteratorBaseEENKUlvE0_clEvENKUlvE1_clEvEUlN3c104HalfEE_NS0_6memory8policies11unroll_baseILi256ESt5arrayIPcLm2EE23TrivialOffsetCalculatorILi1EjESG_NS9_15LoadWithoutCastENS9_16StoreWithoutCastELi8ELi1EEEEEvT0_T1_.uses_vcc)
	.set _ZN2at6native29vectorized_elementwise_kernelILi2EZZZNS0_15sin_kernel_cudaERNS_18TensorIteratorBaseEENKUlvE0_clEvENKUlvE1_clEvEUlN3c104HalfEE_St5arrayIPcLm2EEEEviT0_T1_.uses_flat_scratch, or(0, .L_ZN2at6native25elementwise_kernel_helperILb0EZZZNS0_15sin_kernel_cudaERNS_18TensorIteratorBaseEENKUlvE0_clEvENKUlvE1_clEvEUlN3c104HalfEE_NS0_6memory8policies11unroll_baseILi256ESt5arrayIPcLm2EE23TrivialOffsetCalculatorILi1EjESG_NS9_15LoadWithoutCastENS9_16StoreWithoutCastELi8ELi1EEEEEvT0_T1_.uses_flat_scratch)
	.set _ZN2at6native29vectorized_elementwise_kernelILi2EZZZNS0_15sin_kernel_cudaERNS_18TensorIteratorBaseEENKUlvE0_clEvENKUlvE1_clEvEUlN3c104HalfEE_St5arrayIPcLm2EEEEviT0_T1_.has_dyn_sized_stack, or(0, .L_ZN2at6native25elementwise_kernel_helperILb0EZZZNS0_15sin_kernel_cudaERNS_18TensorIteratorBaseEENKUlvE0_clEvENKUlvE1_clEvEUlN3c104HalfEE_NS0_6memory8policies11unroll_baseILi256ESt5arrayIPcLm2EE23TrivialOffsetCalculatorILi1EjESG_NS9_15LoadWithoutCastENS9_16StoreWithoutCastELi8ELi1EEEEEvT0_T1_.has_dyn_sized_stack)
	.set _ZN2at6native29vectorized_elementwise_kernelILi2EZZZNS0_15sin_kernel_cudaERNS_18TensorIteratorBaseEENKUlvE0_clEvENKUlvE1_clEvEUlN3c104HalfEE_St5arrayIPcLm2EEEEviT0_T1_.has_recursion, or(0, .L_ZN2at6native25elementwise_kernel_helperILb0EZZZNS0_15sin_kernel_cudaERNS_18TensorIteratorBaseEENKUlvE0_clEvENKUlvE1_clEvEUlN3c104HalfEE_NS0_6memory8policies11unroll_baseILi256ESt5arrayIPcLm2EE23TrivialOffsetCalculatorILi1EjESG_NS9_15LoadWithoutCastENS9_16StoreWithoutCastELi8ELi1EEEEEvT0_T1_.has_recursion)
	.set _ZN2at6native29vectorized_elementwise_kernelILi2EZZZNS0_15sin_kernel_cudaERNS_18TensorIteratorBaseEENKUlvE0_clEvENKUlvE1_clEvEUlN3c104HalfEE_St5arrayIPcLm2EEEEviT0_T1_.has_indirect_call, or(0, .L_ZN2at6native25elementwise_kernel_helperILb0EZZZNS0_15sin_kernel_cudaERNS_18TensorIteratorBaseEENKUlvE0_clEvENKUlvE1_clEvEUlN3c104HalfEE_NS0_6memory8policies11unroll_baseILi256ESt5arrayIPcLm2EE23TrivialOffsetCalculatorILi1EjESG_NS9_15LoadWithoutCastENS9_16StoreWithoutCastELi8ELi1EEEEEvT0_T1_.has_indirect_call)
	.section	.AMDGPU.csdata,"",@progbits
; Kernel info:
; codeLenInByte = 6532
; TotalNumSgprs: 35
; NumVgprs: 54
; ScratchSize: 0
; MemoryBound: 0
; FloatMode: 240
; IeeeMode: 1
; LDSByteSize: 0 bytes/workgroup (compile time only)
; SGPRBlocks: 0
; VGPRBlocks: 6
; NumSGPRsForWavesPerEU: 35
; NumVGPRsForWavesPerEU: 54
; Occupancy: 16
; WaveLimiterHint : 1
; COMPUTE_PGM_RSRC2:SCRATCH_EN: 0
; COMPUTE_PGM_RSRC2:USER_SGPR: 6
; COMPUTE_PGM_RSRC2:TRAP_HANDLER: 0
; COMPUTE_PGM_RSRC2:TGID_X_EN: 1
; COMPUTE_PGM_RSRC2:TGID_Y_EN: 0
; COMPUTE_PGM_RSRC2:TGID_Z_EN: 0
; COMPUTE_PGM_RSRC2:TIDIG_COMP_CNT: 0
	.section	.text._ZN2at6native27unrolled_elementwise_kernelIZZZNS0_15sin_kernel_cudaERNS_18TensorIteratorBaseEENKUlvE0_clEvENKUlvE1_clEvEUlN3c104HalfEE_St5arrayIPcLm2EELi4E23TrivialOffsetCalculatorILi1EjESD_NS0_6memory15LoadWithoutCastENSE_16StoreWithoutCastEEEviT_T0_T2_T3_T4_T5_,"axG",@progbits,_ZN2at6native27unrolled_elementwise_kernelIZZZNS0_15sin_kernel_cudaERNS_18TensorIteratorBaseEENKUlvE0_clEvENKUlvE1_clEvEUlN3c104HalfEE_St5arrayIPcLm2EELi4E23TrivialOffsetCalculatorILi1EjESD_NS0_6memory15LoadWithoutCastENSE_16StoreWithoutCastEEEviT_T0_T2_T3_T4_T5_,comdat
	.globl	_ZN2at6native27unrolled_elementwise_kernelIZZZNS0_15sin_kernel_cudaERNS_18TensorIteratorBaseEENKUlvE0_clEvENKUlvE1_clEvEUlN3c104HalfEE_St5arrayIPcLm2EELi4E23TrivialOffsetCalculatorILi1EjESD_NS0_6memory15LoadWithoutCastENSE_16StoreWithoutCastEEEviT_T0_T2_T3_T4_T5_ ; -- Begin function _ZN2at6native27unrolled_elementwise_kernelIZZZNS0_15sin_kernel_cudaERNS_18TensorIteratorBaseEENKUlvE0_clEvENKUlvE1_clEvEUlN3c104HalfEE_St5arrayIPcLm2EELi4E23TrivialOffsetCalculatorILi1EjESD_NS0_6memory15LoadWithoutCastENSE_16StoreWithoutCastEEEviT_T0_T2_T3_T4_T5_
	.p2align	8
	.type	_ZN2at6native27unrolled_elementwise_kernelIZZZNS0_15sin_kernel_cudaERNS_18TensorIteratorBaseEENKUlvE0_clEvENKUlvE1_clEvEUlN3c104HalfEE_St5arrayIPcLm2EELi4E23TrivialOffsetCalculatorILi1EjESD_NS0_6memory15LoadWithoutCastENSE_16StoreWithoutCastEEEviT_T0_T2_T3_T4_T5_,@function
_ZN2at6native27unrolled_elementwise_kernelIZZZNS0_15sin_kernel_cudaERNS_18TensorIteratorBaseEENKUlvE0_clEvENKUlvE1_clEvEUlN3c104HalfEE_St5arrayIPcLm2EELi4E23TrivialOffsetCalculatorILi1EjESD_NS0_6memory15LoadWithoutCastENSE_16StoreWithoutCastEEEviT_T0_T2_T3_T4_T5_: ; @_ZN2at6native27unrolled_elementwise_kernelIZZZNS0_15sin_kernel_cudaERNS_18TensorIteratorBaseEENKUlvE0_clEvENKUlvE1_clEvEUlN3c104HalfEE_St5arrayIPcLm2EELi4E23TrivialOffsetCalculatorILi1EjESD_NS0_6memory15LoadWithoutCastENSE_16StoreWithoutCastEEEviT_T0_T2_T3_T4_T5_
; %bb.0:
	s_clause 0x1
	s_load_dword s0, s[4:5], 0x0
	s_load_dwordx4 s[8:11], s[4:5], 0x8
	s_lshl_b32 s3, s6, 10
	v_mov_b32_e32 v6, 0
	v_mov_b32_e32 v7, 0
	v_or_b32_e32 v1, s3, v0
	v_or_b32_e32 v3, 0x100, v0
	v_mov_b32_e32 v4, v0
	s_waitcnt lgkmcnt(0)
	s_sub_i32 s4, s0, s3
	v_cmp_gt_i32_e32 vcc_lo, s4, v0
	s_and_saveexec_b32 s1, vcc_lo
	s_cbranch_execz .LBB22_2
; %bb.1:
	v_mov_b32_e32 v2, 0
	v_lshlrev_b64 v[4:5], 1, v[1:2]
	v_add_co_u32 v4, s0, s10, v4
	v_add_co_ci_u32_e64 v5, null, s11, v5, s0
	global_load_ushort v2, v[4:5], off
	v_or_b32_e32 v4, 0x100, v0
	s_waitcnt vmcnt(0)
	v_cvt_f32_f16_e32 v7, v2
.LBB22_2:
	s_or_b32 exec_lo, exec_lo, s1
	s_mov_b32 s1, exec_lo
	v_cmpx_gt_i32_e64 s4, v4
	s_cbranch_execz .LBB22_4
; %bb.3:
	v_add_nc_u32_e32 v5, s3, v4
	v_mov_b32_e32 v6, 0
	v_add_nc_u32_e32 v4, 0x100, v4
	v_lshlrev_b64 v[5:6], 1, v[5:6]
	v_add_co_u32 v5, s0, s10, v5
	v_add_co_ci_u32_e64 v6, null, s11, v6, s0
	global_load_ushort v2, v[5:6], off
	s_waitcnt vmcnt(0)
	v_cvt_f32_f16_e32 v6, v2
.LBB22_4:
	s_or_b32 exec_lo, exec_lo, s1
	v_mov_b32_e32 v2, 0
	v_mov_b32_e32 v5, 0
	s_mov_b32 s1, exec_lo
	v_cmpx_gt_i32_e64 s4, v4
	s_cbranch_execz .LBB22_8
; %bb.5:
	v_add_nc_u32_e32 v8, s3, v4
	v_mov_b32_e32 v9, 0
	v_add_nc_u32_e32 v4, 0x100, v4
	v_lshlrev_b64 v[8:9], 1, v[8:9]
	v_add_co_u32 v8, s0, s10, v8
	v_add_co_ci_u32_e64 v9, null, s11, v9, s0
	global_load_ushort v5, v[8:9], off
	s_waitcnt vmcnt(0)
	v_cvt_f32_f16_e32 v5, v5
	s_or_b32 exec_lo, exec_lo, s1
	s_mov_b32 s1, exec_lo
	v_cmpx_gt_i32_e64 s4, v4
	s_cbranch_execnz .LBB22_9
.LBB22_6:
	s_or_b32 exec_lo, exec_lo, s1
                                        ; implicit-def: $vgpr4
	s_and_saveexec_b32 s5, vcc_lo
	s_cbranch_execnz .LBB22_10
.LBB22_7:
	s_or_b32 exec_lo, exec_lo, s5
	s_mov_b32 s5, exec_lo
                                        ; implicit-def: $vgpr7
	v_cmpx_gt_i32_e64 s4, v3
	s_cbranch_execz .LBB22_20
	s_branch .LBB22_15
.LBB22_8:
	s_or_b32 exec_lo, exec_lo, s1
	s_mov_b32 s1, exec_lo
	v_cmpx_gt_i32_e64 s4, v4
	s_cbranch_execz .LBB22_6
.LBB22_9:
	v_add_nc_u32_e32 v8, s3, v4
	v_mov_b32_e32 v9, 0
	v_lshlrev_b64 v[8:9], 1, v[8:9]
	v_add_co_u32 v8, s0, s10, v8
	v_add_co_ci_u32_e64 v9, null, s11, v9, s0
	global_load_ushort v2, v[8:9], off
	s_waitcnt vmcnt(0)
	v_cvt_f32_f16_e32 v2, v2
	s_or_b32 exec_lo, exec_lo, s1
                                        ; implicit-def: $vgpr4
	s_and_saveexec_b32 s5, vcc_lo
	s_cbranch_execz .LBB22_7
.LBB22_10:
	v_and_b32_e32 v4, 0x7fffffff, v7
                                        ; implicit-def: $vgpr9
                                        ; implicit-def: $vgpr8
	s_mov_b32 s1, exec_lo
	v_cmpx_ngt_f32_e64 0x48000000, |v7|
	s_xor_b32 s6, exec_lo, s1
	s_cbranch_execz .LBB22_12
; %bb.11:
	s_mov_b32 s0, 0x7fffff
	v_mov_b32_e32 v10, 0
	v_and_or_b32 v17, v4, s0, 0x800000
	v_lshrrev_b32_e32 v15, 23, v4
	v_mad_u64_u32 v[8:9], null, 0xfe5163ab, v17, 0
	v_add_nc_u32_e32 v16, 0xffffff88, v15
	v_cmp_lt_u32_e64 s0, 63, v16
	v_mad_u64_u32 v[11:12], null, 0x3c439041, v17, v[9:10]
	v_cndmask_b32_e64 v18, 0, 0xffffffc0, s0
	v_mov_b32_e32 v9, v12
	v_add_nc_u32_e32 v18, v18, v16
	v_mad_u64_u32 v[12:13], null, 0xdb629599, v17, v[9:10]
	v_cmp_lt_u32_e64 s1, 31, v18
	v_cndmask_b32_e64 v19, 0, 0xffffffe0, s1
	v_mov_b32_e32 v9, v13
	v_cndmask_b32_e64 v8, v12, v8, s0
	v_mad_u64_u32 v[13:14], null, 0xf534ddc0, v17, v[9:10]
	v_mov_b32_e32 v9, v14
	v_cndmask_b32_e64 v11, v13, v11, s0
	v_mad_u64_u32 v[14:15], null, 0xfc2757d1, v17, v[9:10]
	v_cndmask_b32_e64 v8, v11, v8, s1
	v_mov_b32_e32 v9, v15
	v_mad_u64_u32 v[15:16], null, 0x4e441529, v17, v[9:10]
	v_mov_b32_e32 v9, v16
	v_add_nc_u32_e32 v16, v19, v18
	v_cndmask_b32_e64 v18, v15, v13, s0
	v_mad_u64_u32 v[9:10], null, 0xa2f9836e, v17, v[9:10]
	v_cmp_lt_u32_e64 s2, 31, v16
	v_cndmask_b32_e64 v17, 0, 0xffffffe0, s2
	v_cndmask_b32_e64 v9, v9, v14, s0
	;; [unrolled: 1-line block ×4, first 2 shown]
	v_add_nc_u32_e32 v15, v17, v16
	v_cndmask_b32_e64 v13, v9, v18, s1
	v_cndmask_b32_e64 v9, v10, v9, s1
	;; [unrolled: 1-line block ×4, first 2 shown]
	v_sub_nc_u32_e32 v16, 32, v15
	v_cmp_eq_u32_e64 s0, 0, v15
	v_cndmask_b32_e64 v9, v9, v13, s2
	v_cndmask_b32_e64 v13, v13, v10, s2
	;; [unrolled: 1-line block ×4, first 2 shown]
	v_alignbit_b32 v17, v9, v13, v16
	v_alignbit_b32 v12, v13, v10, v16
	;; [unrolled: 1-line block ×3, first 2 shown]
	v_cndmask_b32_e64 v9, v17, v9, s0
	v_cndmask_b32_e64 v11, v12, v13, s0
	;; [unrolled: 1-line block ×3, first 2 shown]
	v_bfe_u32 v12, v9, 29, 1
	v_alignbit_b32 v13, v9, v11, 30
	v_alignbit_b32 v11, v11, v10, 30
	;; [unrolled: 1-line block ×3, first 2 shown]
	v_sub_nc_u32_e32 v14, 0, v12
	v_xor_b32_e32 v13, v13, v14
	v_xor_b32_e32 v10, v11, v14
	v_xor_b32_e32 v8, v8, v14
	v_lshrrev_b32_e32 v14, 29, v9
	v_lshrrev_b32_e32 v9, 30, v9
	v_ffbh_u32_e32 v15, v13
	v_add_nc_u32_e32 v9, v12, v9
	v_min_u32_e32 v15, 32, v15
	v_sub_nc_u32_e32 v11, 31, v15
	v_lshlrev_b32_e32 v16, 23, v15
	v_alignbit_b32 v13, v13, v10, v11
	v_alignbit_b32 v8, v10, v8, v11
	v_lshlrev_b32_e32 v10, 31, v14
	v_alignbit_b32 v11, v13, v8, 9
	v_or_b32_e32 v14, 0.5, v10
	v_lshrrev_b32_e32 v13, 9, v13
	v_or_b32_e32 v10, 0x33000000, v10
	v_ffbh_u32_e32 v17, v11
	v_sub_nc_u32_e32 v14, v14, v16
	v_min_u32_e32 v16, 32, v17
	v_or_b32_e32 v13, v13, v14
	v_not_b32_e32 v14, v16
	v_mul_f32_e32 v17, 0x3fc90fda, v13
	v_add_lshl_u32 v15, v16, v15, 23
	v_alignbit_b32 v8, v11, v8, v14
	v_fma_f32 v11, 0x3fc90fda, v13, -v17
	v_sub_nc_u32_e32 v10, v10, v15
	v_lshrrev_b32_e32 v8, 9, v8
	v_fmamk_f32 v11, v13, 0x33a22168, v11
	v_or_b32_e32 v8, v10, v8
	v_fmac_f32_e32 v11, 0x3fc90fda, v8
	v_add_f32_e32 v8, v17, v11
.LBB22_12:
	s_andn2_saveexec_b32 s0, s6
; %bb.13:
	v_mul_f32_e64 v8, 0x3f22f983, |v7|
	v_rndne_f32_e32 v9, v8
	v_fma_f32 v8, 0xbfc90fda, v9, |v7|
	v_fmamk_f32 v8, v9, 0xb3a22168, v8
	v_fmamk_f32 v8, v9, 0xa7c234c4, v8
	v_cvt_i32_f32_e32 v9, v9
; %bb.14:
	s_or_b32 exec_lo, exec_lo, s0
	v_mul_f32_e32 v10, v8, v8
	s_mov_b32 s0, 0xb94c1982
	s_mov_b32 s1, 0x37d75334
	v_and_b32_e32 v13, 1, v9
	v_lshlrev_b32_e32 v9, 30, v9
	v_fmaak_f32 v11, s0, v10, 0x3c0881c4
	v_fmaak_f32 v12, s1, v10, 0xbab64f3b
	v_xor_b32_e32 v4, v4, v7
	v_cmp_eq_u32_e64 s0, 0, v13
	v_and_b32_e32 v9, 0x80000000, v9
	v_fmaak_f32 v11, v10, v11, 0xbe2aaa9d
	v_fmaak_f32 v12, v10, v12, 0x3d2aabf7
	v_mul_f32_e32 v11, v10, v11
	v_fmaak_f32 v12, v10, v12, 0xbf000004
	v_fmac_f32_e32 v8, v8, v11
	v_fma_f32 v10, v10, v12, 1.0
	v_cndmask_b32_e64 v8, v10, v8, s0
	v_cmp_class_f32_e64 s0, v7, 0x1f8
	v_xor3_b32 v4, v4, v9, v8
	v_cndmask_b32_e64 v4, 0x7fc00000, v4, s0
	v_cvt_f16_f32_e32 v4, v4
	s_or_b32 exec_lo, exec_lo, s5
	s_mov_b32 s5, exec_lo
                                        ; implicit-def: $vgpr7
	v_cmpx_gt_i32_e64 s4, v3
	s_cbranch_execz .LBB22_20
.LBB22_15:
	v_and_b32_e32 v7, 0x7fffffff, v6
                                        ; implicit-def: $vgpr9
                                        ; implicit-def: $vgpr8
	s_mov_b32 s1, exec_lo
	v_cmpx_ngt_f32_e64 0x48000000, |v6|
	s_xor_b32 s6, exec_lo, s1
	s_cbranch_execz .LBB22_17
; %bb.16:
	s_mov_b32 s0, 0x7fffff
	v_mov_b32_e32 v10, 0
	v_and_or_b32 v17, v7, s0, 0x800000
	v_lshrrev_b32_e32 v15, 23, v7
	v_mad_u64_u32 v[8:9], null, 0xfe5163ab, v17, 0
	v_add_nc_u32_e32 v16, 0xffffff88, v15
	v_cmp_lt_u32_e64 s0, 63, v16
	v_mad_u64_u32 v[11:12], null, 0x3c439041, v17, v[9:10]
	v_cndmask_b32_e64 v18, 0, 0xffffffc0, s0
	v_mov_b32_e32 v9, v12
	v_add_nc_u32_e32 v18, v18, v16
	v_mad_u64_u32 v[12:13], null, 0xdb629599, v17, v[9:10]
	v_cmp_lt_u32_e64 s1, 31, v18
	v_cndmask_b32_e64 v19, 0, 0xffffffe0, s1
	v_mov_b32_e32 v9, v13
	v_cndmask_b32_e64 v8, v12, v8, s0
	v_mad_u64_u32 v[13:14], null, 0xf534ddc0, v17, v[9:10]
	v_mov_b32_e32 v9, v14
	v_cndmask_b32_e64 v11, v13, v11, s0
	v_mad_u64_u32 v[14:15], null, 0xfc2757d1, v17, v[9:10]
	v_cndmask_b32_e64 v8, v11, v8, s1
	v_mov_b32_e32 v9, v15
	v_mad_u64_u32 v[15:16], null, 0x4e441529, v17, v[9:10]
	v_mov_b32_e32 v9, v16
	v_add_nc_u32_e32 v16, v19, v18
	v_cndmask_b32_e64 v18, v15, v13, s0
	v_mad_u64_u32 v[9:10], null, 0xa2f9836e, v17, v[9:10]
	v_cmp_lt_u32_e64 s2, 31, v16
	v_cndmask_b32_e64 v17, 0, 0xffffffe0, s2
	v_cndmask_b32_e64 v9, v9, v14, s0
	;; [unrolled: 1-line block ×4, first 2 shown]
	v_add_nc_u32_e32 v15, v17, v16
	v_cndmask_b32_e64 v13, v9, v18, s1
	v_cndmask_b32_e64 v9, v10, v9, s1
	;; [unrolled: 1-line block ×4, first 2 shown]
	v_sub_nc_u32_e32 v16, 32, v15
	v_cmp_eq_u32_e64 s0, 0, v15
	v_cndmask_b32_e64 v9, v9, v13, s2
	v_cndmask_b32_e64 v13, v13, v10, s2
	;; [unrolled: 1-line block ×4, first 2 shown]
	v_alignbit_b32 v17, v9, v13, v16
	v_alignbit_b32 v12, v13, v10, v16
	;; [unrolled: 1-line block ×3, first 2 shown]
	v_cndmask_b32_e64 v9, v17, v9, s0
	v_cndmask_b32_e64 v11, v12, v13, s0
	;; [unrolled: 1-line block ×3, first 2 shown]
	v_bfe_u32 v12, v9, 29, 1
	v_alignbit_b32 v13, v9, v11, 30
	v_alignbit_b32 v11, v11, v10, 30
	;; [unrolled: 1-line block ×3, first 2 shown]
	v_sub_nc_u32_e32 v14, 0, v12
	v_xor_b32_e32 v13, v13, v14
	v_xor_b32_e32 v10, v11, v14
	;; [unrolled: 1-line block ×3, first 2 shown]
	v_lshrrev_b32_e32 v14, 29, v9
	v_lshrrev_b32_e32 v9, 30, v9
	v_ffbh_u32_e32 v15, v13
	v_add_nc_u32_e32 v9, v12, v9
	v_min_u32_e32 v15, 32, v15
	v_sub_nc_u32_e32 v11, 31, v15
	v_lshlrev_b32_e32 v16, 23, v15
	v_alignbit_b32 v13, v13, v10, v11
	v_alignbit_b32 v8, v10, v8, v11
	v_lshlrev_b32_e32 v10, 31, v14
	v_alignbit_b32 v11, v13, v8, 9
	v_or_b32_e32 v14, 0.5, v10
	v_lshrrev_b32_e32 v13, 9, v13
	v_or_b32_e32 v10, 0x33000000, v10
	v_ffbh_u32_e32 v17, v11
	v_sub_nc_u32_e32 v14, v14, v16
	v_min_u32_e32 v16, 32, v17
	v_or_b32_e32 v13, v13, v14
	v_not_b32_e32 v14, v16
	v_mul_f32_e32 v17, 0x3fc90fda, v13
	v_add_lshl_u32 v15, v16, v15, 23
	v_alignbit_b32 v8, v11, v8, v14
	v_fma_f32 v11, 0x3fc90fda, v13, -v17
	v_sub_nc_u32_e32 v10, v10, v15
	v_lshrrev_b32_e32 v8, 9, v8
	v_fmamk_f32 v11, v13, 0x33a22168, v11
	v_or_b32_e32 v8, v10, v8
	v_fmac_f32_e32 v11, 0x3fc90fda, v8
	v_add_f32_e32 v8, v17, v11
.LBB22_17:
	s_andn2_saveexec_b32 s0, s6
; %bb.18:
	v_mul_f32_e64 v8, 0x3f22f983, |v6|
	v_rndne_f32_e32 v9, v8
	v_fma_f32 v8, 0xbfc90fda, v9, |v6|
	v_fmamk_f32 v8, v9, 0xb3a22168, v8
	v_fmamk_f32 v8, v9, 0xa7c234c4, v8
	v_cvt_i32_f32_e32 v9, v9
; %bb.19:
	s_or_b32 exec_lo, exec_lo, s0
	v_mul_f32_e32 v10, v8, v8
	s_mov_b32 s0, 0xb94c1982
	s_mov_b32 s1, 0x37d75334
	v_and_b32_e32 v13, 1, v9
	v_lshlrev_b32_e32 v9, 30, v9
	v_fmaak_f32 v11, s0, v10, 0x3c0881c4
	v_fmaak_f32 v12, s1, v10, 0xbab64f3b
	v_xor_b32_e32 v7, v7, v6
	v_cmp_eq_u32_e64 s0, 0, v13
	v_and_b32_e32 v9, 0x80000000, v9
	v_fmaak_f32 v11, v10, v11, 0xbe2aaa9d
	v_fmaak_f32 v12, v10, v12, 0x3d2aabf7
	v_mul_f32_e32 v11, v10, v11
	v_fmaak_f32 v12, v10, v12, 0xbf000004
	v_fmac_f32_e32 v8, v8, v11
	v_fma_f32 v10, v10, v12, 1.0
	v_cndmask_b32_e64 v8, v10, v8, s0
	v_cmp_class_f32_e64 s0, v6, 0x1f8
	v_xor3_b32 v7, v7, v9, v8
	v_cndmask_b32_e64 v6, 0x7fc00000, v7, s0
	v_cvt_f16_f32_e32 v7, v6
.LBB22_20:
	s_or_b32 exec_lo, exec_lo, s5
	v_or_b32_e32 v6, 0x200, v0
	v_cmp_gt_i32_e64 s0, s4, v6
                                        ; implicit-def: $vgpr6
	s_and_saveexec_b32 s5, s0
	s_cbranch_execz .LBB22_26
; %bb.21:
	v_and_b32_e32 v6, 0x7fffffff, v5
                                        ; implicit-def: $vgpr9
                                        ; implicit-def: $vgpr8
	s_mov_b32 s1, exec_lo
	v_cmpx_ngt_f32_e64 0x48000000, |v5|
	s_xor_b32 s6, exec_lo, s1
	s_cbranch_execz .LBB22_23
; %bb.22:
	s_mov_b32 s0, 0x7fffff
	v_mov_b32_e32 v10, 0
	v_and_or_b32 v17, v6, s0, 0x800000
	v_lshrrev_b32_e32 v15, 23, v6
	v_mad_u64_u32 v[8:9], null, 0xfe5163ab, v17, 0
	v_add_nc_u32_e32 v16, 0xffffff88, v15
	v_cmp_lt_u32_e64 s0, 63, v16
	v_mad_u64_u32 v[11:12], null, 0x3c439041, v17, v[9:10]
	v_cndmask_b32_e64 v18, 0, 0xffffffc0, s0
	v_mov_b32_e32 v9, v12
	v_add_nc_u32_e32 v18, v18, v16
	v_mad_u64_u32 v[12:13], null, 0xdb629599, v17, v[9:10]
	v_cmp_lt_u32_e64 s1, 31, v18
	v_cndmask_b32_e64 v19, 0, 0xffffffe0, s1
	v_mov_b32_e32 v9, v13
	v_cndmask_b32_e64 v8, v12, v8, s0
	v_mad_u64_u32 v[13:14], null, 0xf534ddc0, v17, v[9:10]
	v_mov_b32_e32 v9, v14
	v_cndmask_b32_e64 v11, v13, v11, s0
	v_mad_u64_u32 v[14:15], null, 0xfc2757d1, v17, v[9:10]
	v_cndmask_b32_e64 v8, v11, v8, s1
	v_mov_b32_e32 v9, v15
	v_mad_u64_u32 v[15:16], null, 0x4e441529, v17, v[9:10]
	v_mov_b32_e32 v9, v16
	v_add_nc_u32_e32 v16, v19, v18
	v_cndmask_b32_e64 v18, v15, v13, s0
	v_mad_u64_u32 v[9:10], null, 0xa2f9836e, v17, v[9:10]
	v_cmp_lt_u32_e64 s2, 31, v16
	v_cndmask_b32_e64 v17, 0, 0xffffffe0, s2
	v_cndmask_b32_e64 v9, v9, v14, s0
	;; [unrolled: 1-line block ×4, first 2 shown]
	v_add_nc_u32_e32 v15, v17, v16
	v_cndmask_b32_e64 v13, v9, v18, s1
	v_cndmask_b32_e64 v9, v10, v9, s1
	v_cndmask_b32_e64 v10, v18, v14, s1
	v_cndmask_b32_e64 v14, v14, v11, s1
	v_sub_nc_u32_e32 v16, 32, v15
	v_cmp_eq_u32_e64 s0, 0, v15
	v_cndmask_b32_e64 v9, v9, v13, s2
	v_cndmask_b32_e64 v13, v13, v10, s2
	;; [unrolled: 1-line block ×4, first 2 shown]
	v_alignbit_b32 v17, v9, v13, v16
	v_alignbit_b32 v12, v13, v10, v16
	;; [unrolled: 1-line block ×3, first 2 shown]
	v_cndmask_b32_e64 v9, v17, v9, s0
	v_cndmask_b32_e64 v11, v12, v13, s0
	;; [unrolled: 1-line block ×3, first 2 shown]
	v_bfe_u32 v12, v9, 29, 1
	v_alignbit_b32 v13, v9, v11, 30
	v_alignbit_b32 v11, v11, v10, 30
	;; [unrolled: 1-line block ×3, first 2 shown]
	v_sub_nc_u32_e32 v14, 0, v12
	v_xor_b32_e32 v13, v13, v14
	v_xor_b32_e32 v10, v11, v14
	;; [unrolled: 1-line block ×3, first 2 shown]
	v_lshrrev_b32_e32 v14, 29, v9
	v_lshrrev_b32_e32 v9, 30, v9
	v_ffbh_u32_e32 v15, v13
	v_add_nc_u32_e32 v9, v12, v9
	v_min_u32_e32 v15, 32, v15
	v_sub_nc_u32_e32 v11, 31, v15
	v_lshlrev_b32_e32 v16, 23, v15
	v_alignbit_b32 v13, v13, v10, v11
	v_alignbit_b32 v8, v10, v8, v11
	v_lshlrev_b32_e32 v10, 31, v14
	v_alignbit_b32 v11, v13, v8, 9
	v_or_b32_e32 v14, 0.5, v10
	v_lshrrev_b32_e32 v13, 9, v13
	v_or_b32_e32 v10, 0x33000000, v10
	v_ffbh_u32_e32 v17, v11
	v_sub_nc_u32_e32 v14, v14, v16
	v_min_u32_e32 v16, 32, v17
	v_or_b32_e32 v13, v13, v14
	v_not_b32_e32 v14, v16
	v_mul_f32_e32 v17, 0x3fc90fda, v13
	v_add_lshl_u32 v15, v16, v15, 23
	v_alignbit_b32 v8, v11, v8, v14
	v_fma_f32 v11, 0x3fc90fda, v13, -v17
	v_sub_nc_u32_e32 v10, v10, v15
	v_lshrrev_b32_e32 v8, 9, v8
	v_fmamk_f32 v11, v13, 0x33a22168, v11
	v_or_b32_e32 v8, v10, v8
	v_fmac_f32_e32 v11, 0x3fc90fda, v8
	v_add_f32_e32 v8, v17, v11
.LBB22_23:
	s_andn2_saveexec_b32 s0, s6
; %bb.24:
	v_mul_f32_e64 v8, 0x3f22f983, |v5|
	v_rndne_f32_e32 v9, v8
	v_fma_f32 v8, 0xbfc90fda, v9, |v5|
	v_fmamk_f32 v8, v9, 0xb3a22168, v8
	v_fmamk_f32 v8, v9, 0xa7c234c4, v8
	v_cvt_i32_f32_e32 v9, v9
; %bb.25:
	s_or_b32 exec_lo, exec_lo, s0
	v_mul_f32_e32 v10, v8, v8
	s_mov_b32 s0, 0xb94c1982
	s_mov_b32 s1, 0x37d75334
	v_and_b32_e32 v13, 1, v9
	v_lshlrev_b32_e32 v9, 30, v9
	v_fmaak_f32 v11, s0, v10, 0x3c0881c4
	v_fmaak_f32 v12, s1, v10, 0xbab64f3b
	v_xor_b32_e32 v6, v6, v5
	v_cmp_eq_u32_e64 s0, 0, v13
	v_and_b32_e32 v9, 0x80000000, v9
	v_fmaak_f32 v11, v10, v11, 0xbe2aaa9d
	v_fmaak_f32 v12, v10, v12, 0x3d2aabf7
	v_mul_f32_e32 v11, v10, v11
	v_fmaak_f32 v12, v10, v12, 0xbf000004
	v_fmac_f32_e32 v8, v8, v11
	v_fma_f32 v10, v10, v12, 1.0
	v_cndmask_b32_e64 v8, v10, v8, s0
	v_cmp_class_f32_e64 s0, v5, 0x1f8
	v_xor3_b32 v6, v6, v9, v8
	v_cndmask_b32_e64 v5, 0x7fc00000, v6, s0
	v_cvt_f16_f32_e32 v6, v5
.LBB22_26:
	s_or_b32 exec_lo, exec_lo, s5
	v_or_b32_e32 v5, 0x300, v0
	v_cmp_gt_i32_e64 s0, s4, v5
                                        ; implicit-def: $vgpr5
	s_and_saveexec_b32 s5, s0
	s_cbranch_execz .LBB22_36
; %bb.27:
	v_and_b32_e32 v5, 0x7fffffff, v2
                                        ; implicit-def: $vgpr9
                                        ; implicit-def: $vgpr8
	s_mov_b32 s1, exec_lo
	v_cmpx_ngt_f32_e64 0x48000000, |v2|
	s_xor_b32 s6, exec_lo, s1
	s_cbranch_execz .LBB22_29
; %bb.28:
	s_mov_b32 s0, 0x7fffff
	v_mov_b32_e32 v10, 0
	v_and_or_b32 v17, v5, s0, 0x800000
	v_lshrrev_b32_e32 v15, 23, v5
	v_mad_u64_u32 v[8:9], null, 0xfe5163ab, v17, 0
	v_add_nc_u32_e32 v16, 0xffffff88, v15
	v_cmp_lt_u32_e64 s0, 63, v16
	v_mad_u64_u32 v[11:12], null, 0x3c439041, v17, v[9:10]
	v_cndmask_b32_e64 v18, 0, 0xffffffc0, s0
	v_mov_b32_e32 v9, v12
	v_add_nc_u32_e32 v18, v18, v16
	v_mad_u64_u32 v[12:13], null, 0xdb629599, v17, v[9:10]
	v_cmp_lt_u32_e64 s1, 31, v18
	v_cndmask_b32_e64 v19, 0, 0xffffffe0, s1
	v_mov_b32_e32 v9, v13
	v_cndmask_b32_e64 v8, v12, v8, s0
	v_mad_u64_u32 v[13:14], null, 0xf534ddc0, v17, v[9:10]
	v_mov_b32_e32 v9, v14
	v_cndmask_b32_e64 v11, v13, v11, s0
	v_mad_u64_u32 v[14:15], null, 0xfc2757d1, v17, v[9:10]
	v_cndmask_b32_e64 v8, v11, v8, s1
	v_mov_b32_e32 v9, v15
	v_mad_u64_u32 v[15:16], null, 0x4e441529, v17, v[9:10]
	v_mov_b32_e32 v9, v16
	v_add_nc_u32_e32 v16, v19, v18
	v_cndmask_b32_e64 v18, v15, v13, s0
	v_mad_u64_u32 v[9:10], null, 0xa2f9836e, v17, v[9:10]
	v_cmp_lt_u32_e64 s2, 31, v16
	v_cndmask_b32_e64 v17, 0, 0xffffffe0, s2
	v_cndmask_b32_e64 v9, v9, v14, s0
	;; [unrolled: 1-line block ×4, first 2 shown]
	v_add_nc_u32_e32 v15, v17, v16
	v_cndmask_b32_e64 v13, v9, v18, s1
	v_cndmask_b32_e64 v9, v10, v9, s1
	;; [unrolled: 1-line block ×4, first 2 shown]
	v_sub_nc_u32_e32 v16, 32, v15
	v_cmp_eq_u32_e64 s0, 0, v15
	v_cndmask_b32_e64 v9, v9, v13, s2
	v_cndmask_b32_e64 v13, v13, v10, s2
	;; [unrolled: 1-line block ×4, first 2 shown]
	v_alignbit_b32 v17, v9, v13, v16
	v_alignbit_b32 v12, v13, v10, v16
	;; [unrolled: 1-line block ×3, first 2 shown]
	v_cndmask_b32_e64 v9, v17, v9, s0
	v_cndmask_b32_e64 v11, v12, v13, s0
	;; [unrolled: 1-line block ×3, first 2 shown]
	v_bfe_u32 v12, v9, 29, 1
	v_alignbit_b32 v13, v9, v11, 30
	v_alignbit_b32 v11, v11, v10, 30
	;; [unrolled: 1-line block ×3, first 2 shown]
	v_sub_nc_u32_e32 v14, 0, v12
	v_xor_b32_e32 v13, v13, v14
	v_xor_b32_e32 v10, v11, v14
	;; [unrolled: 1-line block ×3, first 2 shown]
	v_lshrrev_b32_e32 v14, 29, v9
	v_lshrrev_b32_e32 v9, 30, v9
	v_ffbh_u32_e32 v15, v13
	v_add_nc_u32_e32 v9, v12, v9
	v_min_u32_e32 v15, 32, v15
	v_sub_nc_u32_e32 v11, 31, v15
	v_lshlrev_b32_e32 v16, 23, v15
	v_alignbit_b32 v13, v13, v10, v11
	v_alignbit_b32 v8, v10, v8, v11
	v_lshlrev_b32_e32 v10, 31, v14
	v_alignbit_b32 v11, v13, v8, 9
	v_or_b32_e32 v14, 0.5, v10
	v_lshrrev_b32_e32 v13, 9, v13
	v_or_b32_e32 v10, 0x33000000, v10
	v_ffbh_u32_e32 v17, v11
	v_sub_nc_u32_e32 v14, v14, v16
	v_min_u32_e32 v16, 32, v17
	v_or_b32_e32 v13, v13, v14
	v_not_b32_e32 v14, v16
	v_mul_f32_e32 v17, 0x3fc90fda, v13
	v_add_lshl_u32 v15, v16, v15, 23
	v_alignbit_b32 v8, v11, v8, v14
	v_fma_f32 v11, 0x3fc90fda, v13, -v17
	v_sub_nc_u32_e32 v10, v10, v15
	v_lshrrev_b32_e32 v8, 9, v8
	v_fmamk_f32 v11, v13, 0x33a22168, v11
	v_or_b32_e32 v8, v10, v8
	v_fmac_f32_e32 v11, 0x3fc90fda, v8
	v_add_f32_e32 v8, v17, v11
.LBB22_29:
	s_andn2_saveexec_b32 s0, s6
; %bb.30:
	v_mul_f32_e64 v8, 0x3f22f983, |v2|
	v_rndne_f32_e32 v9, v8
	v_fma_f32 v8, 0xbfc90fda, v9, |v2|
	v_fmamk_f32 v8, v9, 0xb3a22168, v8
	v_fmamk_f32 v8, v9, 0xa7c234c4, v8
	v_cvt_i32_f32_e32 v9, v9
; %bb.31:
	s_or_b32 exec_lo, exec_lo, s0
	v_mul_f32_e32 v10, v8, v8
	s_mov_b32 s0, 0xb94c1982
	s_mov_b32 s1, 0x37d75334
	v_and_b32_e32 v13, 1, v9
	v_lshlrev_b32_e32 v9, 30, v9
	v_fmaak_f32 v11, s0, v10, 0x3c0881c4
	v_fmaak_f32 v12, s1, v10, 0xbab64f3b
	v_xor_b32_e32 v5, v5, v2
	v_cmp_eq_u32_e64 s0, 0, v13
	v_and_b32_e32 v9, 0x80000000, v9
	v_fmaak_f32 v11, v10, v11, 0xbe2aaa9d
	v_fmaak_f32 v12, v10, v12, 0x3d2aabf7
	v_mul_f32_e32 v11, v10, v11
	v_fmaak_f32 v12, v10, v12, 0xbf000004
	v_fmac_f32_e32 v8, v8, v11
	v_fma_f32 v10, v10, v12, 1.0
	v_cndmask_b32_e64 v8, v10, v8, s0
	v_cmp_class_f32_e64 s0, v2, 0x1f8
	v_xor3_b32 v5, v5, v9, v8
	v_cndmask_b32_e64 v2, 0x7fc00000, v5, s0
	v_cvt_f16_f32_e32 v5, v2
	s_or_b32 exec_lo, exec_lo, s5
	s_and_saveexec_b32 s0, vcc_lo
	s_xor_b32 s0, exec_lo, s0
	s_cbranch_execnz .LBB22_37
.LBB22_32:
	s_or_b32 exec_lo, exec_lo, s0
	s_mov_b32 s0, exec_lo
	v_cmpx_gt_i32_e64 s4, v0
	s_cbranch_execz .LBB22_38
.LBB22_33:
	v_add_nc_u32_e32 v1, s3, v0
	v_mov_b32_e32 v2, 0
	v_add_nc_u32_e32 v0, 0x100, v0
	v_lshlrev_b64 v[1:2], 1, v[1:2]
	v_add_co_u32 v1, vcc_lo, s8, v1
	v_add_co_ci_u32_e64 v2, null, s9, v2, vcc_lo
	global_store_short v[1:2], v7, off
	s_or_b32 exec_lo, exec_lo, s0
	s_mov_b32 s0, exec_lo
	v_cmpx_gt_i32_e64 s4, v0
	s_cbranch_execnz .LBB22_39
.LBB22_34:
	s_or_b32 exec_lo, exec_lo, s0
	s_mov_b32 s0, exec_lo
	v_cmpx_gt_i32_e64 s4, v0
	s_cbranch_execz .LBB22_40
.LBB22_35:
	v_add_nc_u32_e32 v0, s3, v0
	v_mov_b32_e32 v1, 0
	v_lshlrev_b64 v[0:1], 1, v[0:1]
	v_add_co_u32 v0, vcc_lo, s8, v0
	v_add_co_ci_u32_e64 v1, null, s9, v1, vcc_lo
	global_store_short v[0:1], v5, off
	s_endpgm
.LBB22_36:
	s_or_b32 exec_lo, exec_lo, s5
	s_and_saveexec_b32 s0, vcc_lo
	s_xor_b32 s0, exec_lo, s0
	s_cbranch_execz .LBB22_32
.LBB22_37:
	v_mov_b32_e32 v2, 0
	v_lshlrev_b64 v[0:1], 1, v[1:2]
	v_add_co_u32 v8, vcc_lo, s8, v0
	v_add_co_ci_u32_e64 v9, null, s9, v1, vcc_lo
	v_mov_b32_e32 v0, v3
	global_store_short v[8:9], v4, off
	s_or_b32 exec_lo, exec_lo, s0
	s_mov_b32 s0, exec_lo
	v_cmpx_gt_i32_e64 s4, v0
	s_cbranch_execnz .LBB22_33
.LBB22_38:
	s_or_b32 exec_lo, exec_lo, s0
	s_mov_b32 s0, exec_lo
	v_cmpx_gt_i32_e64 s4, v0
	s_cbranch_execz .LBB22_34
.LBB22_39:
	v_add_nc_u32_e32 v1, s3, v0
	v_mov_b32_e32 v2, 0
	v_add_nc_u32_e32 v0, 0x100, v0
	v_lshlrev_b64 v[1:2], 1, v[1:2]
	v_add_co_u32 v1, vcc_lo, s8, v1
	v_add_co_ci_u32_e64 v2, null, s9, v2, vcc_lo
	global_store_short v[1:2], v6, off
	s_or_b32 exec_lo, exec_lo, s0
	s_mov_b32 s0, exec_lo
	v_cmpx_gt_i32_e64 s4, v0
	s_cbranch_execnz .LBB22_35
.LBB22_40:
	s_endpgm
	.section	.rodata,"a",@progbits
	.p2align	6, 0x0
	.amdhsa_kernel _ZN2at6native27unrolled_elementwise_kernelIZZZNS0_15sin_kernel_cudaERNS_18TensorIteratorBaseEENKUlvE0_clEvENKUlvE1_clEvEUlN3c104HalfEE_St5arrayIPcLm2EELi4E23TrivialOffsetCalculatorILi1EjESD_NS0_6memory15LoadWithoutCastENSE_16StoreWithoutCastEEEviT_T0_T2_T3_T4_T5_
		.amdhsa_group_segment_fixed_size 0
		.amdhsa_private_segment_fixed_size 0
		.amdhsa_kernarg_size 28
		.amdhsa_user_sgpr_count 6
		.amdhsa_user_sgpr_private_segment_buffer 1
		.amdhsa_user_sgpr_dispatch_ptr 0
		.amdhsa_user_sgpr_queue_ptr 0
		.amdhsa_user_sgpr_kernarg_segment_ptr 1
		.amdhsa_user_sgpr_dispatch_id 0
		.amdhsa_user_sgpr_flat_scratch_init 0
		.amdhsa_user_sgpr_private_segment_size 0
		.amdhsa_wavefront_size32 1
		.amdhsa_uses_dynamic_stack 0
		.amdhsa_system_sgpr_private_segment_wavefront_offset 0
		.amdhsa_system_sgpr_workgroup_id_x 1
		.amdhsa_system_sgpr_workgroup_id_y 0
		.amdhsa_system_sgpr_workgroup_id_z 0
		.amdhsa_system_sgpr_workgroup_info 0
		.amdhsa_system_vgpr_workitem_id 0
		.amdhsa_next_free_vgpr 20
		.amdhsa_next_free_sgpr 12
		.amdhsa_reserve_vcc 1
		.amdhsa_reserve_flat_scratch 0
		.amdhsa_float_round_mode_32 0
		.amdhsa_float_round_mode_16_64 0
		.amdhsa_float_denorm_mode_32 3
		.amdhsa_float_denorm_mode_16_64 3
		.amdhsa_dx10_clamp 1
		.amdhsa_ieee_mode 1
		.amdhsa_fp16_overflow 0
		.amdhsa_workgroup_processor_mode 1
		.amdhsa_memory_ordered 1
		.amdhsa_forward_progress 1
		.amdhsa_shared_vgpr_count 0
		.amdhsa_exception_fp_ieee_invalid_op 0
		.amdhsa_exception_fp_denorm_src 0
		.amdhsa_exception_fp_ieee_div_zero 0
		.amdhsa_exception_fp_ieee_overflow 0
		.amdhsa_exception_fp_ieee_underflow 0
		.amdhsa_exception_fp_ieee_inexact 0
		.amdhsa_exception_int_div_zero 0
	.end_amdhsa_kernel
	.section	.text._ZN2at6native27unrolled_elementwise_kernelIZZZNS0_15sin_kernel_cudaERNS_18TensorIteratorBaseEENKUlvE0_clEvENKUlvE1_clEvEUlN3c104HalfEE_St5arrayIPcLm2EELi4E23TrivialOffsetCalculatorILi1EjESD_NS0_6memory15LoadWithoutCastENSE_16StoreWithoutCastEEEviT_T0_T2_T3_T4_T5_,"axG",@progbits,_ZN2at6native27unrolled_elementwise_kernelIZZZNS0_15sin_kernel_cudaERNS_18TensorIteratorBaseEENKUlvE0_clEvENKUlvE1_clEvEUlN3c104HalfEE_St5arrayIPcLm2EELi4E23TrivialOffsetCalculatorILi1EjESD_NS0_6memory15LoadWithoutCastENSE_16StoreWithoutCastEEEviT_T0_T2_T3_T4_T5_,comdat
.Lfunc_end22:
	.size	_ZN2at6native27unrolled_elementwise_kernelIZZZNS0_15sin_kernel_cudaERNS_18TensorIteratorBaseEENKUlvE0_clEvENKUlvE1_clEvEUlN3c104HalfEE_St5arrayIPcLm2EELi4E23TrivialOffsetCalculatorILi1EjESD_NS0_6memory15LoadWithoutCastENSE_16StoreWithoutCastEEEviT_T0_T2_T3_T4_T5_, .Lfunc_end22-_ZN2at6native27unrolled_elementwise_kernelIZZZNS0_15sin_kernel_cudaERNS_18TensorIteratorBaseEENKUlvE0_clEvENKUlvE1_clEvEUlN3c104HalfEE_St5arrayIPcLm2EELi4E23TrivialOffsetCalculatorILi1EjESD_NS0_6memory15LoadWithoutCastENSE_16StoreWithoutCastEEEviT_T0_T2_T3_T4_T5_
                                        ; -- End function
	.set _ZN2at6native27unrolled_elementwise_kernelIZZZNS0_15sin_kernel_cudaERNS_18TensorIteratorBaseEENKUlvE0_clEvENKUlvE1_clEvEUlN3c104HalfEE_St5arrayIPcLm2EELi4E23TrivialOffsetCalculatorILi1EjESD_NS0_6memory15LoadWithoutCastENSE_16StoreWithoutCastEEEviT_T0_T2_T3_T4_T5_.num_vgpr, 20
	.set _ZN2at6native27unrolled_elementwise_kernelIZZZNS0_15sin_kernel_cudaERNS_18TensorIteratorBaseEENKUlvE0_clEvENKUlvE1_clEvEUlN3c104HalfEE_St5arrayIPcLm2EELi4E23TrivialOffsetCalculatorILi1EjESD_NS0_6memory15LoadWithoutCastENSE_16StoreWithoutCastEEEviT_T0_T2_T3_T4_T5_.num_agpr, 0
	.set _ZN2at6native27unrolled_elementwise_kernelIZZZNS0_15sin_kernel_cudaERNS_18TensorIteratorBaseEENKUlvE0_clEvENKUlvE1_clEvEUlN3c104HalfEE_St5arrayIPcLm2EELi4E23TrivialOffsetCalculatorILi1EjESD_NS0_6memory15LoadWithoutCastENSE_16StoreWithoutCastEEEviT_T0_T2_T3_T4_T5_.numbered_sgpr, 12
	.set _ZN2at6native27unrolled_elementwise_kernelIZZZNS0_15sin_kernel_cudaERNS_18TensorIteratorBaseEENKUlvE0_clEvENKUlvE1_clEvEUlN3c104HalfEE_St5arrayIPcLm2EELi4E23TrivialOffsetCalculatorILi1EjESD_NS0_6memory15LoadWithoutCastENSE_16StoreWithoutCastEEEviT_T0_T2_T3_T4_T5_.num_named_barrier, 0
	.set _ZN2at6native27unrolled_elementwise_kernelIZZZNS0_15sin_kernel_cudaERNS_18TensorIteratorBaseEENKUlvE0_clEvENKUlvE1_clEvEUlN3c104HalfEE_St5arrayIPcLm2EELi4E23TrivialOffsetCalculatorILi1EjESD_NS0_6memory15LoadWithoutCastENSE_16StoreWithoutCastEEEviT_T0_T2_T3_T4_T5_.private_seg_size, 0
	.set _ZN2at6native27unrolled_elementwise_kernelIZZZNS0_15sin_kernel_cudaERNS_18TensorIteratorBaseEENKUlvE0_clEvENKUlvE1_clEvEUlN3c104HalfEE_St5arrayIPcLm2EELi4E23TrivialOffsetCalculatorILi1EjESD_NS0_6memory15LoadWithoutCastENSE_16StoreWithoutCastEEEviT_T0_T2_T3_T4_T5_.uses_vcc, 1
	.set _ZN2at6native27unrolled_elementwise_kernelIZZZNS0_15sin_kernel_cudaERNS_18TensorIteratorBaseEENKUlvE0_clEvENKUlvE1_clEvEUlN3c104HalfEE_St5arrayIPcLm2EELi4E23TrivialOffsetCalculatorILi1EjESD_NS0_6memory15LoadWithoutCastENSE_16StoreWithoutCastEEEviT_T0_T2_T3_T4_T5_.uses_flat_scratch, 0
	.set _ZN2at6native27unrolled_elementwise_kernelIZZZNS0_15sin_kernel_cudaERNS_18TensorIteratorBaseEENKUlvE0_clEvENKUlvE1_clEvEUlN3c104HalfEE_St5arrayIPcLm2EELi4E23TrivialOffsetCalculatorILi1EjESD_NS0_6memory15LoadWithoutCastENSE_16StoreWithoutCastEEEviT_T0_T2_T3_T4_T5_.has_dyn_sized_stack, 0
	.set _ZN2at6native27unrolled_elementwise_kernelIZZZNS0_15sin_kernel_cudaERNS_18TensorIteratorBaseEENKUlvE0_clEvENKUlvE1_clEvEUlN3c104HalfEE_St5arrayIPcLm2EELi4E23TrivialOffsetCalculatorILi1EjESD_NS0_6memory15LoadWithoutCastENSE_16StoreWithoutCastEEEviT_T0_T2_T3_T4_T5_.has_recursion, 0
	.set _ZN2at6native27unrolled_elementwise_kernelIZZZNS0_15sin_kernel_cudaERNS_18TensorIteratorBaseEENKUlvE0_clEvENKUlvE1_clEvEUlN3c104HalfEE_St5arrayIPcLm2EELi4E23TrivialOffsetCalculatorILi1EjESD_NS0_6memory15LoadWithoutCastENSE_16StoreWithoutCastEEEviT_T0_T2_T3_T4_T5_.has_indirect_call, 0
	.section	.AMDGPU.csdata,"",@progbits
; Kernel info:
; codeLenInByte = 4172
; TotalNumSgprs: 14
; NumVgprs: 20
; ScratchSize: 0
; MemoryBound: 0
; FloatMode: 240
; IeeeMode: 1
; LDSByteSize: 0 bytes/workgroup (compile time only)
; SGPRBlocks: 0
; VGPRBlocks: 2
; NumSGPRsForWavesPerEU: 14
; NumVGPRsForWavesPerEU: 20
; Occupancy: 16
; WaveLimiterHint : 0
; COMPUTE_PGM_RSRC2:SCRATCH_EN: 0
; COMPUTE_PGM_RSRC2:USER_SGPR: 6
; COMPUTE_PGM_RSRC2:TRAP_HANDLER: 0
; COMPUTE_PGM_RSRC2:TGID_X_EN: 1
; COMPUTE_PGM_RSRC2:TGID_Y_EN: 0
; COMPUTE_PGM_RSRC2:TGID_Z_EN: 0
; COMPUTE_PGM_RSRC2:TIDIG_COMP_CNT: 0
	.section	.text._ZN2at6native32elementwise_kernel_manual_unrollILi128ELi8EZNS0_22gpu_kernel_impl_nocastIZZZNS0_15sin_kernel_cudaERNS_18TensorIteratorBaseEENKUlvE0_clEvENKUlvE1_clEvEUlN3c104HalfEE_EEvS4_RKT_EUlibE_EEviT1_,"axG",@progbits,_ZN2at6native32elementwise_kernel_manual_unrollILi128ELi8EZNS0_22gpu_kernel_impl_nocastIZZZNS0_15sin_kernel_cudaERNS_18TensorIteratorBaseEENKUlvE0_clEvENKUlvE1_clEvEUlN3c104HalfEE_EEvS4_RKT_EUlibE_EEviT1_,comdat
	.globl	_ZN2at6native32elementwise_kernel_manual_unrollILi128ELi8EZNS0_22gpu_kernel_impl_nocastIZZZNS0_15sin_kernel_cudaERNS_18TensorIteratorBaseEENKUlvE0_clEvENKUlvE1_clEvEUlN3c104HalfEE_EEvS4_RKT_EUlibE_EEviT1_ ; -- Begin function _ZN2at6native32elementwise_kernel_manual_unrollILi128ELi8EZNS0_22gpu_kernel_impl_nocastIZZZNS0_15sin_kernel_cudaERNS_18TensorIteratorBaseEENKUlvE0_clEvENKUlvE1_clEvEUlN3c104HalfEE_EEvS4_RKT_EUlibE_EEviT1_
	.p2align	8
	.type	_ZN2at6native32elementwise_kernel_manual_unrollILi128ELi8EZNS0_22gpu_kernel_impl_nocastIZZZNS0_15sin_kernel_cudaERNS_18TensorIteratorBaseEENKUlvE0_clEvENKUlvE1_clEvEUlN3c104HalfEE_EEvS4_RKT_EUlibE_EEviT1_,@function
_ZN2at6native32elementwise_kernel_manual_unrollILi128ELi8EZNS0_22gpu_kernel_impl_nocastIZZZNS0_15sin_kernel_cudaERNS_18TensorIteratorBaseEENKUlvE0_clEvENKUlvE1_clEvEUlN3c104HalfEE_EEvS4_RKT_EUlibE_EEviT1_: ; @_ZN2at6native32elementwise_kernel_manual_unrollILi128ELi8EZNS0_22gpu_kernel_impl_nocastIZZZNS0_15sin_kernel_cudaERNS_18TensorIteratorBaseEENKUlvE0_clEvENKUlvE1_clEvEUlN3c104HalfEE_EEvS4_RKT_EUlibE_EEviT1_
; %bb.0:
	s_clause 0x1
	s_load_dword s22, s[4:5], 0x8
	s_load_dword s27, s[4:5], 0x0
	v_lshl_or_b32 v9, s6, 10, v0
	s_add_u32 s2, s4, 8
	s_addc_u32 s3, s5, 0
	s_mov_b32 s0, exec_lo
	v_or_b32_e32 v20, 0x380, v9
	s_waitcnt lgkmcnt(0)
	s_add_i32 s23, s22, -1
	s_cmp_gt_u32 s23, 1
	s_cselect_b32 s24, -1, 0
	v_cmpx_le_i32_e64 s27, v20
	s_xor_b32 s25, exec_lo, s0
	s_cbranch_execz .LBB23_7
; %bb.1:
	s_clause 0x3
	s_load_dwordx4 s[12:15], s[2:3], 0x4
	s_load_dwordx2 s[16:17], s[2:3], 0x14
	s_load_dwordx4 s[8:11], s[2:3], 0xc4
	s_load_dwordx4 s[4:7], s[2:3], 0x148
	s_cmp_lg_u32 s22, 0
	s_mov_b32 s30, exec_lo
	s_cselect_b32 s29, -1, 0
	s_add_u32 s18, s2, 0xc4
	s_addc_u32 s19, s3, 0
	s_min_u32 s28, s23, 15
	s_cmp_gt_u32 s22, 1
	s_cselect_b32 s26, -1, 0
	v_cmpx_gt_i32_e64 s27, v9
	s_cbranch_execz .LBB23_14
; %bb.2:
	s_andn2_b32 vcc_lo, exec_lo, s24
	s_cbranch_vccnz .LBB23_21
; %bb.3:
	s_andn2_b32 vcc_lo, exec_lo, s29
	s_cbranch_vccnz .LBB23_161
; %bb.4:
	s_add_i32 s33, s28, 1
	s_cmp_eq_u32 s23, 2
	s_cbranch_scc1 .LBB23_163
; %bb.5:
	v_mov_b32_e32 v2, 0
	v_mov_b32_e32 v0, 0
	;; [unrolled: 1-line block ×3, first 2 shown]
	s_and_b32 s31, s33, 28
	s_mov_b32 s34, 0
	s_mov_b64 s[0:1], s[2:3]
	s_mov_b64 s[20:21], s[18:19]
.LBB23_6:                               ; =>This Inner Loop Header: Depth=1
	s_clause 0x1
	s_load_dwordx8 s[36:43], s[0:1], 0x4
	s_load_dwordx4 s[52:55], s[0:1], 0x24
	s_load_dwordx8 s[44:51], s[20:21], 0x0
	s_add_u32 s0, s0, 48
	s_addc_u32 s1, s1, 0
	s_add_i32 s34, s34, 4
	s_add_u32 s20, s20, 32
	s_addc_u32 s21, s21, 0
	s_cmp_lg_u32 s31, s34
	s_waitcnt lgkmcnt(0)
	v_mul_hi_u32 v3, s37, v1
	v_add_nc_u32_e32 v3, v1, v3
	v_lshrrev_b32_e32 v3, s38, v3
	v_mul_hi_u32 v4, s40, v3
	v_mul_lo_u32 v6, v3, s36
	v_add_nc_u32_e32 v4, v3, v4
	v_sub_nc_u32_e32 v1, v1, v6
	v_lshrrev_b32_e32 v4, s41, v4
	v_mul_lo_u32 v6, v1, s44
	v_mul_lo_u32 v8, v1, s45
	v_mul_hi_u32 v5, s43, v4
	v_add_nc_u32_e32 v5, v4, v5
	v_lshrrev_b32_e32 v5, s52, v5
	v_mul_hi_u32 v7, s54, v5
	v_mul_lo_u32 v10, v5, s42
	v_add_nc_u32_e32 v1, v5, v7
	v_mul_lo_u32 v7, v4, s39
	v_sub_nc_u32_e32 v4, v4, v10
	v_lshrrev_b32_e32 v1, s55, v1
	v_mul_lo_u32 v10, v4, s48
	v_mul_lo_u32 v4, v4, s49
	v_sub_nc_u32_e32 v3, v3, v7
	v_mul_lo_u32 v11, v1, s53
	v_mul_lo_u32 v7, v3, s46
	;; [unrolled: 1-line block ×3, first 2 shown]
	v_sub_nc_u32_e32 v5, v5, v11
	v_add3_u32 v0, v6, v0, v7
	v_mul_lo_u32 v11, v5, s50
	v_mul_lo_u32 v5, v5, s51
	v_add3_u32 v2, v8, v2, v3
	v_add3_u32 v0, v10, v0, v11
	;; [unrolled: 1-line block ×3, first 2 shown]
	s_cbranch_scc1 .LBB23_6
	s_branch .LBB23_164
.LBB23_7:
	s_andn2_saveexec_b32 s0, s25
	s_cbranch_execz .LBB23_277
.LBB23_8:
	v_cndmask_b32_e64 v13, 0, 1, s24
	s_andn2_b32 vcc_lo, exec_lo, s24
	s_cbranch_vccnz .LBB23_20
; %bb.9:
	s_cmp_lg_u32 s22, 0
	s_waitcnt lgkmcnt(0)
	s_mov_b32 s6, 0
	s_cbranch_scc0 .LBB23_23
; %bb.10:
	s_min_u32 s8, s23, 15
	s_add_i32 s8, s8, 1
	s_cmp_eq_u32 s23, 2
	s_cbranch_scc1 .LBB23_24
; %bb.11:
	v_mov_b32_e32 v7, 0
	v_mov_b32_e32 v0, 0
	;; [unrolled: 1-line block ×3, first 2 shown]
	s_and_b32 s7, s8, 28
	s_add_u32 s0, s2, 0xc4
	s_addc_u32 s1, s3, 0
	s_mov_b32 s9, 0
	s_mov_b64 s[4:5], s[2:3]
.LBB23_12:                              ; =>This Inner Loop Header: Depth=1
	s_clause 0x1
	s_load_dwordx8 s[12:19], s[4:5], 0x4
	s_load_dwordx4 s[36:39], s[4:5], 0x24
	s_load_dwordx8 s[24:31], s[0:1], 0x0
	s_add_u32 s4, s4, 48
	s_addc_u32 s5, s5, 0
	s_add_i32 s9, s9, 4
	s_add_u32 s0, s0, 32
	s_addc_u32 s1, s1, 0
	s_cmp_lg_u32 s7, s9
	s_waitcnt lgkmcnt(0)
	v_mul_hi_u32 v2, s13, v1
	v_add_nc_u32_e32 v2, v1, v2
	v_lshrrev_b32_e32 v2, s14, v2
	v_mul_hi_u32 v3, s16, v2
	v_mul_lo_u32 v5, v2, s12
	v_add_nc_u32_e32 v3, v2, v3
	v_sub_nc_u32_e32 v1, v1, v5
	v_lshrrev_b32_e32 v3, s17, v3
	v_mul_lo_u32 v5, v1, s24
	v_mul_lo_u32 v8, v1, s25
	v_mul_hi_u32 v4, s19, v3
	v_add_nc_u32_e32 v4, v3, v4
	v_lshrrev_b32_e32 v4, s36, v4
	v_mul_hi_u32 v6, s38, v4
	v_mul_lo_u32 v10, v4, s18
	v_add_nc_u32_e32 v1, v4, v6
	v_mul_lo_u32 v6, v3, s15
	v_sub_nc_u32_e32 v3, v3, v10
	v_lshrrev_b32_e32 v1, s39, v1
	v_mul_lo_u32 v10, v3, s28
	v_mul_lo_u32 v3, v3, s29
	v_sub_nc_u32_e32 v2, v2, v6
	v_mul_lo_u32 v11, v1, s37
	v_mul_lo_u32 v6, v2, s26
	;; [unrolled: 1-line block ×3, first 2 shown]
	v_sub_nc_u32_e32 v4, v4, v11
	v_add3_u32 v0, v5, v0, v6
	v_mul_lo_u32 v11, v4, s30
	v_mul_lo_u32 v4, v4, s31
	v_add3_u32 v2, v8, v7, v2
	v_add3_u32 v0, v10, v0, v11
	v_add3_u32 v7, v3, v2, v4
	s_cbranch_scc1 .LBB23_12
; %bb.13:
	s_and_b32 s8, s8, 3
	s_cmp_eq_u32 s8, 0
	s_cbranch_scc0 .LBB23_25
	s_branch .LBB23_27
.LBB23_14:
	s_or_b32 exec_lo, exec_lo, s30
	s_mov_b32 s30, exec_lo
	v_cmpx_gt_i32_e64 s27, v9
	s_cbranch_execz .LBB23_175
.LBB23_15:
	s_andn2_b32 vcc_lo, exec_lo, s24
	s_cbranch_vccnz .LBB23_22
; %bb.16:
	s_andn2_b32 vcc_lo, exec_lo, s29
	s_cbranch_vccnz .LBB23_162
; %bb.17:
	s_add_i32 s33, s28, 1
	s_cmp_eq_u32 s23, 2
	s_cbranch_scc1 .LBB23_183
; %bb.18:
	v_mov_b32_e32 v2, 0
	v_mov_b32_e32 v0, 0
	v_mov_b32_e32 v1, v9
	s_and_b32 s31, s33, 28
	s_mov_b32 s34, 0
	s_mov_b64 s[0:1], s[2:3]
	s_mov_b64 s[20:21], s[18:19]
.LBB23_19:                              ; =>This Inner Loop Header: Depth=1
	s_clause 0x1
	s_load_dwordx8 s[36:43], s[0:1], 0x4
	s_load_dwordx4 s[52:55], s[0:1], 0x24
	s_load_dwordx8 s[44:51], s[20:21], 0x0
	s_add_u32 s0, s0, 48
	s_addc_u32 s1, s1, 0
	s_add_i32 s34, s34, 4
	s_add_u32 s20, s20, 32
	s_addc_u32 s21, s21, 0
	s_cmp_eq_u32 s31, s34
	s_waitcnt lgkmcnt(0)
	v_mul_hi_u32 v3, s37, v1
	v_add_nc_u32_e32 v3, v1, v3
	v_lshrrev_b32_e32 v3, s38, v3
	v_mul_hi_u32 v4, s40, v3
	v_mul_lo_u32 v6, v3, s36
	v_add_nc_u32_e32 v4, v3, v4
	v_sub_nc_u32_e32 v1, v1, v6
	v_lshrrev_b32_e32 v4, s41, v4
	v_mul_lo_u32 v6, v1, s44
	v_mul_lo_u32 v8, v1, s45
	v_mul_hi_u32 v5, s43, v4
	v_add_nc_u32_e32 v5, v4, v5
	v_lshrrev_b32_e32 v5, s52, v5
	v_mul_hi_u32 v7, s54, v5
	v_mul_lo_u32 v10, v5, s42
	v_add_nc_u32_e32 v1, v5, v7
	v_mul_lo_u32 v7, v4, s39
	v_sub_nc_u32_e32 v4, v4, v10
	v_lshrrev_b32_e32 v1, s55, v1
	v_mul_lo_u32 v10, v4, s48
	v_mul_lo_u32 v4, v4, s49
	v_sub_nc_u32_e32 v3, v3, v7
	v_mul_lo_u32 v11, v1, s53
	v_mul_lo_u32 v7, v3, s46
	;; [unrolled: 1-line block ×3, first 2 shown]
	v_sub_nc_u32_e32 v5, v5, v11
	v_add3_u32 v0, v6, v0, v7
	v_mul_lo_u32 v11, v5, s50
	v_mul_lo_u32 v5, v5, s51
	v_add3_u32 v2, v8, v2, v3
	v_add3_u32 v0, v10, v0, v11
	;; [unrolled: 1-line block ×3, first 2 shown]
	s_cbranch_scc0 .LBB23_19
	s_branch .LBB23_184
.LBB23_20:
	s_waitcnt lgkmcnt(0)
	s_mov_b32 s6, -1
                                        ; implicit-def: $vgpr0
                                        ; implicit-def: $vgpr7
	s_branch .LBB23_27
.LBB23_21:
                                        ; implicit-def: $vgpr0
                                        ; implicit-def: $vgpr2
	s_branch .LBB23_168
.LBB23_22:
                                        ; implicit-def: $vgpr0
                                        ; implicit-def: $vgpr2
	s_branch .LBB23_188
.LBB23_23:
	v_mov_b32_e32 v0, 0
	v_mov_b32_e32 v7, 0
	s_branch .LBB23_27
.LBB23_24:
	v_mov_b32_e32 v0, 0
	v_mov_b32_e32 v7, 0
	;; [unrolled: 1-line block ×3, first 2 shown]
	s_mov_b32 s7, 0
	s_and_b32 s8, s8, 3
	s_cmp_eq_u32 s8, 0
	s_cbranch_scc1 .LBB23_27
.LBB23_25:
	s_lshl_b32 s0, s7, 3
	s_mul_i32 s4, s7, 12
	s_add_u32 s0, s2, s0
	s_addc_u32 s1, s3, 0
	s_add_u32 s0, s0, 0xc4
	s_addc_u32 s1, s1, 0
	s_add_u32 s4, s2, s4
	s_addc_u32 s5, s3, 0
	.p2align	6
.LBB23_26:                              ; =>This Inner Loop Header: Depth=1
	s_clause 0x1
	s_load_dwordx2 s[10:11], s[4:5], 0x4
	s_load_dword s7, s[4:5], 0xc
	s_load_dwordx2 s[12:13], s[0:1], 0x0
	s_add_u32 s4, s4, 12
	s_addc_u32 s5, s5, 0
	s_add_u32 s0, s0, 8
	s_addc_u32 s1, s1, 0
	s_add_i32 s8, s8, -1
	s_cmp_lg_u32 s8, 0
	s_waitcnt lgkmcnt(0)
	v_mul_hi_u32 v2, s11, v1
	v_add_nc_u32_e32 v2, v1, v2
	v_lshrrev_b32_e32 v2, s7, v2
	v_mul_lo_u32 v3, v2, s10
	v_sub_nc_u32_e32 v3, v1, v3
	v_mad_u64_u32 v[0:1], null, v3, s12, v[0:1]
	v_mad_u64_u32 v[7:8], null, v3, s13, v[7:8]
	v_mov_b32_e32 v1, v2
	s_cbranch_scc1 .LBB23_26
.LBB23_27:
	s_andn2_b32 vcc_lo, exec_lo, s6
	s_cbranch_vccnz .LBB23_30
; %bb.28:
	s_clause 0x1
	s_load_dwordx4 s[4:7], s[2:3], 0x4
	s_load_dwordx2 s[0:1], s[2:3], 0xc4
	s_cmp_lt_u32 s22, 2
	s_waitcnt lgkmcnt(0)
	v_mul_hi_u32 v0, s5, v9
	v_add_nc_u32_e32 v0, v9, v0
	v_lshrrev_b32_e32 v1, s6, v0
	v_mul_lo_u32 v0, v1, s4
	v_sub_nc_u32_e32 v2, v9, v0
	v_mul_lo_u32 v0, v2, s0
	v_mul_lo_u32 v7, v2, s1
	s_cbranch_scc1 .LBB23_30
; %bb.29:
	s_clause 0x1
	s_load_dwordx4 s[4:7], s[2:3], 0x10
	s_load_dwordx2 s[0:1], s[2:3], 0xcc
	s_waitcnt lgkmcnt(0)
	v_mul_hi_u32 v2, s5, v1
	v_add_nc_u32_e32 v2, v1, v2
	v_lshrrev_b32_e32 v2, s6, v2
	v_mul_lo_u32 v2, v2, s4
	v_sub_nc_u32_e32 v2, v1, v2
	v_mad_u64_u32 v[0:1], null, v2, s0, v[0:1]
	v_mad_u64_u32 v[7:8], null, v2, s1, v[7:8]
.LBB23_30:
	v_cmp_ne_u32_e32 vcc_lo, 1, v13
	v_add_nc_u32_e32 v3, 0x80, v9
	s_cbranch_vccnz .LBB23_36
; %bb.31:
	s_cmp_lg_u32 s22, 0
	s_mov_b32 s6, 0
	s_cbranch_scc0 .LBB23_37
; %bb.32:
	s_min_u32 s8, s23, 15
	s_add_i32 s8, s8, 1
	s_cmp_eq_u32 s23, 2
	s_cbranch_scc1 .LBB23_38
; %bb.33:
	v_mov_b32_e32 v10, 0
	v_mov_b32_e32 v1, 0
	;; [unrolled: 1-line block ×3, first 2 shown]
	s_and_b32 s7, s8, 28
	s_add_u32 s0, s2, 0xc4
	s_addc_u32 s1, s3, 0
	s_mov_b32 s9, 0
	s_mov_b64 s[4:5], s[2:3]
.LBB23_34:                              ; =>This Inner Loop Header: Depth=1
	s_clause 0x1
	s_load_dwordx8 s[12:19], s[4:5], 0x4
	s_load_dwordx4 s[36:39], s[4:5], 0x24
	s_load_dwordx8 s[24:31], s[0:1], 0x0
	s_add_u32 s4, s4, 48
	s_addc_u32 s5, s5, 0
	s_add_i32 s9, s9, 4
	s_add_u32 s0, s0, 32
	s_addc_u32 s1, s1, 0
	s_cmp_lg_u32 s7, s9
	s_waitcnt lgkmcnt(0)
	v_mul_hi_u32 v4, s13, v2
	v_add_nc_u32_e32 v4, v2, v4
	v_lshrrev_b32_e32 v4, s14, v4
	v_mul_hi_u32 v5, s16, v4
	v_mul_lo_u32 v8, v4, s12
	v_add_nc_u32_e32 v5, v4, v5
	v_sub_nc_u32_e32 v2, v2, v8
	v_lshrrev_b32_e32 v5, s17, v5
	v_mul_lo_u32 v8, v2, s24
	v_mul_lo_u32 v12, v2, s25
	v_mul_hi_u32 v6, s19, v5
	v_add_nc_u32_e32 v6, v5, v6
	v_lshrrev_b32_e32 v6, s36, v6
	v_mul_hi_u32 v11, s38, v6
	v_mul_lo_u32 v14, v6, s18
	v_add_nc_u32_e32 v2, v6, v11
	v_mul_lo_u32 v11, v5, s15
	v_sub_nc_u32_e32 v5, v5, v14
	v_lshrrev_b32_e32 v2, s39, v2
	v_mul_lo_u32 v14, v5, s28
	v_mul_lo_u32 v5, v5, s29
	v_sub_nc_u32_e32 v4, v4, v11
	v_mul_lo_u32 v15, v2, s37
	v_mul_lo_u32 v11, v4, s26
	;; [unrolled: 1-line block ×3, first 2 shown]
	v_sub_nc_u32_e32 v6, v6, v15
	v_add3_u32 v1, v8, v1, v11
	v_mul_lo_u32 v15, v6, s30
	v_mul_lo_u32 v6, v6, s31
	v_add3_u32 v4, v12, v10, v4
	v_add3_u32 v1, v14, v1, v15
	;; [unrolled: 1-line block ×3, first 2 shown]
	s_cbranch_scc1 .LBB23_34
; %bb.35:
	s_and_b32 s8, s8, 3
	s_cmp_eq_u32 s8, 0
	s_cbranch_scc0 .LBB23_39
	s_branch .LBB23_41
.LBB23_36:
	s_mov_b32 s6, -1
                                        ; implicit-def: $vgpr1
                                        ; implicit-def: $vgpr10
	s_branch .LBB23_41
.LBB23_37:
	v_mov_b32_e32 v1, 0
	v_mov_b32_e32 v10, 0
	s_branch .LBB23_41
.LBB23_38:
	v_mov_b32_e32 v1, 0
	v_mov_b32_e32 v10, 0
	;; [unrolled: 1-line block ×3, first 2 shown]
	s_mov_b32 s7, 0
	s_and_b32 s8, s8, 3
	s_cmp_eq_u32 s8, 0
	s_cbranch_scc1 .LBB23_41
.LBB23_39:
	s_lshl_b32 s0, s7, 3
	s_mul_i32 s4, s7, 12
	s_add_u32 s0, s2, s0
	s_addc_u32 s1, s3, 0
	s_add_u32 s0, s0, 0xc4
	s_addc_u32 s1, s1, 0
	;; [unrolled: 2-line block ×3, first 2 shown]
	.p2align	6
.LBB23_40:                              ; =>This Inner Loop Header: Depth=1
	s_clause 0x1
	s_load_dwordx2 s[10:11], s[4:5], 0x4
	s_load_dword s7, s[4:5], 0xc
	s_load_dwordx2 s[12:13], s[0:1], 0x0
	s_add_u32 s4, s4, 12
	s_addc_u32 s5, s5, 0
	s_add_u32 s0, s0, 8
	s_addc_u32 s1, s1, 0
	s_add_i32 s8, s8, -1
	s_cmp_lg_u32 s8, 0
	s_waitcnt lgkmcnt(0)
	v_mul_hi_u32 v4, s11, v2
	v_add_nc_u32_e32 v4, v2, v4
	v_lshrrev_b32_e32 v4, s7, v4
	v_mul_lo_u32 v5, v4, s10
	v_sub_nc_u32_e32 v5, v2, v5
	v_mad_u64_u32 v[1:2], null, v5, s12, v[1:2]
	v_mad_u64_u32 v[10:11], null, v5, s13, v[10:11]
	v_mov_b32_e32 v2, v4
	s_cbranch_scc1 .LBB23_40
.LBB23_41:
	s_andn2_b32 vcc_lo, exec_lo, s6
	s_cbranch_vccnz .LBB23_44
; %bb.42:
	s_clause 0x1
	s_load_dwordx4 s[4:7], s[2:3], 0x4
	s_load_dwordx2 s[0:1], s[2:3], 0xc4
	s_cmp_lt_u32 s22, 2
	s_waitcnt lgkmcnt(0)
	v_mul_hi_u32 v1, s5, v3
	v_add_nc_u32_e32 v1, v3, v1
	v_lshrrev_b32_e32 v2, s6, v1
	v_mul_lo_u32 v1, v2, s4
	v_sub_nc_u32_e32 v3, v3, v1
	v_mul_lo_u32 v1, v3, s0
	v_mul_lo_u32 v10, v3, s1
	s_cbranch_scc1 .LBB23_44
; %bb.43:
	s_clause 0x1
	s_load_dwordx4 s[4:7], s[2:3], 0x10
	s_load_dwordx2 s[0:1], s[2:3], 0xcc
	s_waitcnt lgkmcnt(0)
	v_mul_hi_u32 v3, s5, v2
	v_add_nc_u32_e32 v3, v2, v3
	v_lshrrev_b32_e32 v3, s6, v3
	v_mul_lo_u32 v3, v3, s4
	v_sub_nc_u32_e32 v3, v2, v3
	v_mad_u64_u32 v[1:2], null, v3, s0, v[1:2]
	v_mad_u64_u32 v[10:11], null, v3, s1, v[10:11]
.LBB23_44:
	v_cmp_ne_u32_e32 vcc_lo, 1, v13
	v_add_nc_u32_e32 v4, 0x100, v9
	s_cbranch_vccnz .LBB23_50
; %bb.45:
	s_cmp_lg_u32 s22, 0
	s_mov_b32 s6, 0
	s_cbranch_scc0 .LBB23_51
; %bb.46:
	s_min_u32 s8, s23, 15
	s_add_i32 s8, s8, 1
	s_cmp_eq_u32 s23, 2
	s_cbranch_scc1 .LBB23_52
; %bb.47:
	v_mov_b32_e32 v11, 0
	v_mov_b32_e32 v2, 0
	;; [unrolled: 1-line block ×3, first 2 shown]
	s_and_b32 s7, s8, 28
	s_add_u32 s0, s2, 0xc4
	s_addc_u32 s1, s3, 0
	s_mov_b32 s9, 0
	s_mov_b64 s[4:5], s[2:3]
.LBB23_48:                              ; =>This Inner Loop Header: Depth=1
	s_clause 0x1
	s_load_dwordx8 s[12:19], s[4:5], 0x4
	s_load_dwordx4 s[36:39], s[4:5], 0x24
	s_load_dwordx8 s[24:31], s[0:1], 0x0
	s_add_u32 s4, s4, 48
	s_addc_u32 s5, s5, 0
	s_add_i32 s9, s9, 4
	s_add_u32 s0, s0, 32
	s_addc_u32 s1, s1, 0
	s_cmp_lg_u32 s7, s9
	s_waitcnt lgkmcnt(0)
	v_mul_hi_u32 v5, s13, v3
	v_add_nc_u32_e32 v5, v3, v5
	v_lshrrev_b32_e32 v5, s14, v5
	v_mul_hi_u32 v6, s16, v5
	v_mul_lo_u32 v12, v5, s12
	v_add_nc_u32_e32 v6, v5, v6
	v_sub_nc_u32_e32 v3, v3, v12
	v_lshrrev_b32_e32 v6, s17, v6
	v_mul_lo_u32 v12, v3, s24
	v_mul_lo_u32 v15, v3, s25
	v_mul_hi_u32 v8, s19, v6
	v_add_nc_u32_e32 v8, v6, v8
	v_lshrrev_b32_e32 v8, s36, v8
	v_mul_hi_u32 v14, s38, v8
	v_mul_lo_u32 v16, v8, s18
	v_add_nc_u32_e32 v3, v8, v14
	v_mul_lo_u32 v14, v6, s15
	v_sub_nc_u32_e32 v6, v6, v16
	v_lshrrev_b32_e32 v3, s39, v3
	v_mul_lo_u32 v16, v6, s28
	v_mul_lo_u32 v6, v6, s29
	v_sub_nc_u32_e32 v5, v5, v14
	v_mul_lo_u32 v17, v3, s37
	v_mul_lo_u32 v14, v5, s26
	;; [unrolled: 1-line block ×3, first 2 shown]
	v_sub_nc_u32_e32 v8, v8, v17
	v_add3_u32 v2, v12, v2, v14
	v_mul_lo_u32 v17, v8, s30
	v_mul_lo_u32 v8, v8, s31
	v_add3_u32 v5, v15, v11, v5
	v_add3_u32 v2, v16, v2, v17
	;; [unrolled: 1-line block ×3, first 2 shown]
	s_cbranch_scc1 .LBB23_48
; %bb.49:
	s_and_b32 s8, s8, 3
	s_cmp_eq_u32 s8, 0
	s_cbranch_scc0 .LBB23_53
	s_branch .LBB23_55
.LBB23_50:
	s_mov_b32 s6, -1
                                        ; implicit-def: $vgpr2
                                        ; implicit-def: $vgpr11
	s_branch .LBB23_55
.LBB23_51:
	v_mov_b32_e32 v2, 0
	v_mov_b32_e32 v11, 0
	s_branch .LBB23_55
.LBB23_52:
	v_mov_b32_e32 v2, 0
	v_mov_b32_e32 v11, 0
	;; [unrolled: 1-line block ×3, first 2 shown]
	s_mov_b32 s7, 0
	s_and_b32 s8, s8, 3
	s_cmp_eq_u32 s8, 0
	s_cbranch_scc1 .LBB23_55
.LBB23_53:
	s_lshl_b32 s0, s7, 3
	s_mul_i32 s4, s7, 12
	s_add_u32 s0, s2, s0
	s_addc_u32 s1, s3, 0
	s_add_u32 s0, s0, 0xc4
	s_addc_u32 s1, s1, 0
	;; [unrolled: 2-line block ×3, first 2 shown]
	.p2align	6
.LBB23_54:                              ; =>This Inner Loop Header: Depth=1
	s_clause 0x1
	s_load_dwordx2 s[10:11], s[4:5], 0x4
	s_load_dword s7, s[4:5], 0xc
	s_load_dwordx2 s[12:13], s[0:1], 0x0
	s_add_u32 s4, s4, 12
	s_addc_u32 s5, s5, 0
	s_add_u32 s0, s0, 8
	s_addc_u32 s1, s1, 0
	s_add_i32 s8, s8, -1
	s_cmp_lg_u32 s8, 0
	s_waitcnt lgkmcnt(0)
	v_mul_hi_u32 v5, s11, v3
	v_add_nc_u32_e32 v5, v3, v5
	v_lshrrev_b32_e32 v5, s7, v5
	v_mul_lo_u32 v6, v5, s10
	v_sub_nc_u32_e32 v6, v3, v6
	v_mad_u64_u32 v[2:3], null, v6, s12, v[2:3]
	v_mad_u64_u32 v[11:12], null, v6, s13, v[11:12]
	v_mov_b32_e32 v3, v5
	s_cbranch_scc1 .LBB23_54
.LBB23_55:
	s_andn2_b32 vcc_lo, exec_lo, s6
	s_cbranch_vccnz .LBB23_58
; %bb.56:
	s_clause 0x1
	s_load_dwordx4 s[4:7], s[2:3], 0x4
	s_load_dwordx2 s[0:1], s[2:3], 0xc4
	s_cmp_lt_u32 s22, 2
	s_waitcnt lgkmcnt(0)
	v_mul_hi_u32 v2, s5, v4
	v_add_nc_u32_e32 v2, v4, v2
	v_lshrrev_b32_e32 v3, s6, v2
	v_mul_lo_u32 v2, v3, s4
	v_sub_nc_u32_e32 v4, v4, v2
	v_mul_lo_u32 v2, v4, s0
	v_mul_lo_u32 v11, v4, s1
	s_cbranch_scc1 .LBB23_58
; %bb.57:
	s_clause 0x1
	s_load_dwordx4 s[4:7], s[2:3], 0x10
	s_load_dwordx2 s[0:1], s[2:3], 0xcc
	s_waitcnt lgkmcnt(0)
	v_mul_hi_u32 v4, s5, v3
	v_add_nc_u32_e32 v4, v3, v4
	v_lshrrev_b32_e32 v4, s6, v4
	v_mul_lo_u32 v4, v4, s4
	v_sub_nc_u32_e32 v4, v3, v4
	v_mad_u64_u32 v[2:3], null, v4, s0, v[2:3]
	v_mad_u64_u32 v[11:12], null, v4, s1, v[11:12]
.LBB23_58:
	v_cmp_ne_u32_e32 vcc_lo, 1, v13
	v_add_nc_u32_e32 v5, 0x180, v9
	s_cbranch_vccnz .LBB23_64
; %bb.59:
	s_cmp_lg_u32 s22, 0
	s_mov_b32 s6, 0
	s_cbranch_scc0 .LBB23_65
; %bb.60:
	s_min_u32 s8, s23, 15
	s_add_i32 s8, s8, 1
	s_cmp_eq_u32 s23, 2
	s_cbranch_scc1 .LBB23_66
; %bb.61:
	v_mov_b32_e32 v14, 0
	v_mov_b32_e32 v3, 0
	;; [unrolled: 1-line block ×3, first 2 shown]
	s_and_b32 s7, s8, 28
	s_add_u32 s0, s2, 0xc4
	s_addc_u32 s1, s3, 0
	s_mov_b32 s9, 0
	s_mov_b64 s[4:5], s[2:3]
.LBB23_62:                              ; =>This Inner Loop Header: Depth=1
	s_clause 0x1
	s_load_dwordx8 s[12:19], s[4:5], 0x4
	s_load_dwordx4 s[36:39], s[4:5], 0x24
	s_load_dwordx8 s[24:31], s[0:1], 0x0
	s_add_u32 s4, s4, 48
	s_addc_u32 s5, s5, 0
	s_add_i32 s9, s9, 4
	s_add_u32 s0, s0, 32
	s_addc_u32 s1, s1, 0
	s_cmp_lg_u32 s7, s9
	s_waitcnt lgkmcnt(0)
	v_mul_hi_u32 v6, s13, v4
	v_add_nc_u32_e32 v6, v4, v6
	v_lshrrev_b32_e32 v6, s14, v6
	v_mul_hi_u32 v8, s16, v6
	v_mul_lo_u32 v15, v6, s12
	v_add_nc_u32_e32 v8, v6, v8
	v_sub_nc_u32_e32 v4, v4, v15
	v_lshrrev_b32_e32 v8, s17, v8
	v_mul_lo_u32 v15, v4, s24
	v_mul_lo_u32 v17, v4, s25
	v_mul_hi_u32 v12, s19, v8
	v_add_nc_u32_e32 v12, v8, v12
	v_lshrrev_b32_e32 v12, s36, v12
	v_mul_hi_u32 v16, s38, v12
	v_mul_lo_u32 v18, v12, s18
	v_add_nc_u32_e32 v4, v12, v16
	v_mul_lo_u32 v16, v8, s15
	v_sub_nc_u32_e32 v8, v8, v18
	v_lshrrev_b32_e32 v4, s39, v4
	v_mul_lo_u32 v18, v8, s28
	v_mul_lo_u32 v8, v8, s29
	v_sub_nc_u32_e32 v6, v6, v16
	v_mul_lo_u32 v19, v4, s37
	v_mul_lo_u32 v16, v6, s26
	;; [unrolled: 1-line block ×3, first 2 shown]
	v_sub_nc_u32_e32 v12, v12, v19
	v_add3_u32 v3, v15, v3, v16
	v_mul_lo_u32 v19, v12, s30
	v_mul_lo_u32 v12, v12, s31
	v_add3_u32 v6, v17, v14, v6
	v_add3_u32 v3, v18, v3, v19
	;; [unrolled: 1-line block ×3, first 2 shown]
	s_cbranch_scc1 .LBB23_62
; %bb.63:
	s_and_b32 s8, s8, 3
	s_cmp_eq_u32 s8, 0
	s_cbranch_scc0 .LBB23_67
	s_branch .LBB23_69
.LBB23_64:
	s_mov_b32 s6, -1
                                        ; implicit-def: $vgpr3
                                        ; implicit-def: $vgpr14
	s_branch .LBB23_69
.LBB23_65:
	v_mov_b32_e32 v3, 0
	v_mov_b32_e32 v14, 0
	s_branch .LBB23_69
.LBB23_66:
	v_mov_b32_e32 v3, 0
	v_mov_b32_e32 v14, 0
	;; [unrolled: 1-line block ×3, first 2 shown]
	s_mov_b32 s7, 0
	s_and_b32 s8, s8, 3
	s_cmp_eq_u32 s8, 0
	s_cbranch_scc1 .LBB23_69
.LBB23_67:
	s_lshl_b32 s0, s7, 3
	s_mul_i32 s4, s7, 12
	s_add_u32 s0, s2, s0
	s_addc_u32 s1, s3, 0
	s_add_u32 s0, s0, 0xc4
	s_addc_u32 s1, s1, 0
	;; [unrolled: 2-line block ×3, first 2 shown]
	.p2align	6
.LBB23_68:                              ; =>This Inner Loop Header: Depth=1
	s_clause 0x1
	s_load_dwordx2 s[10:11], s[4:5], 0x4
	s_load_dword s7, s[4:5], 0xc
	s_load_dwordx2 s[12:13], s[0:1], 0x0
	s_add_u32 s4, s4, 12
	s_addc_u32 s5, s5, 0
	s_add_u32 s0, s0, 8
	s_addc_u32 s1, s1, 0
	s_add_i32 s8, s8, -1
	s_cmp_lg_u32 s8, 0
	s_waitcnt lgkmcnt(0)
	v_mul_hi_u32 v6, s11, v4
	v_add_nc_u32_e32 v6, v4, v6
	v_lshrrev_b32_e32 v6, s7, v6
	v_mul_lo_u32 v8, v6, s10
	v_sub_nc_u32_e32 v8, v4, v8
	v_mad_u64_u32 v[3:4], null, v8, s12, v[3:4]
	v_mad_u64_u32 v[14:15], null, v8, s13, v[14:15]
	v_mov_b32_e32 v4, v6
	s_cbranch_scc1 .LBB23_68
.LBB23_69:
	s_andn2_b32 vcc_lo, exec_lo, s6
	s_cbranch_vccnz .LBB23_72
; %bb.70:
	s_clause 0x1
	s_load_dwordx4 s[4:7], s[2:3], 0x4
	s_load_dwordx2 s[0:1], s[2:3], 0xc4
	s_cmp_lt_u32 s22, 2
	s_waitcnt lgkmcnt(0)
	v_mul_hi_u32 v3, s5, v5
	v_add_nc_u32_e32 v3, v5, v3
	v_lshrrev_b32_e32 v4, s6, v3
	v_mul_lo_u32 v3, v4, s4
	v_sub_nc_u32_e32 v5, v5, v3
	v_mul_lo_u32 v3, v5, s0
	v_mul_lo_u32 v14, v5, s1
	s_cbranch_scc1 .LBB23_72
; %bb.71:
	s_clause 0x1
	s_load_dwordx4 s[4:7], s[2:3], 0x10
	s_load_dwordx2 s[0:1], s[2:3], 0xcc
	s_waitcnt lgkmcnt(0)
	v_mul_hi_u32 v5, s5, v4
	v_add_nc_u32_e32 v5, v4, v5
	v_lshrrev_b32_e32 v5, s6, v5
	v_mul_lo_u32 v5, v5, s4
	v_sub_nc_u32_e32 v5, v4, v5
	v_mad_u64_u32 v[3:4], null, v5, s0, v[3:4]
	v_mad_u64_u32 v[14:15], null, v5, s1, v[14:15]
.LBB23_72:
	v_cmp_ne_u32_e32 vcc_lo, 1, v13
	v_add_nc_u32_e32 v6, 0x200, v9
	s_cbranch_vccnz .LBB23_78
; %bb.73:
	s_cmp_lg_u32 s22, 0
	s_mov_b32 s6, 0
	s_cbranch_scc0 .LBB23_79
; %bb.74:
	s_min_u32 s8, s23, 15
	s_add_i32 s8, s8, 1
	s_cmp_eq_u32 s23, 2
	s_cbranch_scc1 .LBB23_80
; %bb.75:
	v_mov_b32_e32 v15, 0
	v_mov_b32_e32 v4, 0
	;; [unrolled: 1-line block ×3, first 2 shown]
	s_and_b32 s7, s8, 28
	s_add_u32 s0, s2, 0xc4
	s_addc_u32 s1, s3, 0
	s_mov_b32 s9, 0
	s_mov_b64 s[4:5], s[2:3]
.LBB23_76:                              ; =>This Inner Loop Header: Depth=1
	s_clause 0x1
	s_load_dwordx8 s[12:19], s[4:5], 0x4
	s_load_dwordx4 s[36:39], s[4:5], 0x24
	s_load_dwordx8 s[24:31], s[0:1], 0x0
	s_add_u32 s4, s4, 48
	s_addc_u32 s5, s5, 0
	s_add_i32 s9, s9, 4
	s_add_u32 s0, s0, 32
	s_addc_u32 s1, s1, 0
	s_cmp_lg_u32 s7, s9
	s_waitcnt lgkmcnt(0)
	v_mul_hi_u32 v8, s13, v5
	v_add_nc_u32_e32 v8, v5, v8
	v_lshrrev_b32_e32 v8, s14, v8
	v_mul_hi_u32 v12, s16, v8
	v_mul_lo_u32 v17, v8, s12
	v_add_nc_u32_e32 v12, v8, v12
	v_sub_nc_u32_e32 v5, v5, v17
	v_lshrrev_b32_e32 v12, s17, v12
	v_mul_lo_u32 v17, v5, s24
	v_mul_lo_u32 v19, v5, s25
	v_mul_hi_u32 v16, s19, v12
	v_add_nc_u32_e32 v16, v12, v16
	v_lshrrev_b32_e32 v16, s36, v16
	v_mul_hi_u32 v18, s38, v16
	v_mul_lo_u32 v21, v16, s18
	v_add_nc_u32_e32 v5, v16, v18
	v_mul_lo_u32 v18, v12, s15
	v_sub_nc_u32_e32 v12, v12, v21
	v_lshrrev_b32_e32 v5, s39, v5
	v_mul_lo_u32 v21, v12, s28
	v_mul_lo_u32 v12, v12, s29
	v_sub_nc_u32_e32 v8, v8, v18
	v_mul_lo_u32 v22, v5, s37
	v_mul_lo_u32 v18, v8, s26
	;; [unrolled: 1-line block ×3, first 2 shown]
	v_sub_nc_u32_e32 v16, v16, v22
	v_add3_u32 v4, v17, v4, v18
	v_mul_lo_u32 v22, v16, s30
	v_mul_lo_u32 v16, v16, s31
	v_add3_u32 v8, v19, v15, v8
	v_add3_u32 v4, v21, v4, v22
	;; [unrolled: 1-line block ×3, first 2 shown]
	s_cbranch_scc1 .LBB23_76
; %bb.77:
	s_and_b32 s8, s8, 3
	s_cmp_eq_u32 s8, 0
	s_cbranch_scc0 .LBB23_81
	s_branch .LBB23_83
.LBB23_78:
	s_mov_b32 s6, -1
                                        ; implicit-def: $vgpr4
                                        ; implicit-def: $vgpr15
	s_branch .LBB23_83
.LBB23_79:
	v_mov_b32_e32 v4, 0
	v_mov_b32_e32 v15, 0
	s_branch .LBB23_83
.LBB23_80:
	v_mov_b32_e32 v4, 0
	v_mov_b32_e32 v15, 0
	v_mov_b32_e32 v5, v6
	s_mov_b32 s7, 0
	s_and_b32 s8, s8, 3
	s_cmp_eq_u32 s8, 0
	s_cbranch_scc1 .LBB23_83
.LBB23_81:
	s_lshl_b32 s0, s7, 3
	s_mul_i32 s4, s7, 12
	s_add_u32 s0, s2, s0
	s_addc_u32 s1, s3, 0
	s_add_u32 s0, s0, 0xc4
	s_addc_u32 s1, s1, 0
	;; [unrolled: 2-line block ×3, first 2 shown]
	.p2align	6
.LBB23_82:                              ; =>This Inner Loop Header: Depth=1
	s_clause 0x1
	s_load_dwordx2 s[10:11], s[4:5], 0x4
	s_load_dword s7, s[4:5], 0xc
	s_load_dwordx2 s[12:13], s[0:1], 0x0
	s_add_u32 s4, s4, 12
	s_addc_u32 s5, s5, 0
	s_add_u32 s0, s0, 8
	s_addc_u32 s1, s1, 0
	s_add_i32 s8, s8, -1
	s_cmp_lg_u32 s8, 0
	s_waitcnt lgkmcnt(0)
	v_mul_hi_u32 v8, s11, v5
	v_add_nc_u32_e32 v8, v5, v8
	v_lshrrev_b32_e32 v8, s7, v8
	v_mul_lo_u32 v12, v8, s10
	v_sub_nc_u32_e32 v12, v5, v12
	v_mad_u64_u32 v[4:5], null, v12, s12, v[4:5]
	v_mad_u64_u32 v[15:16], null, v12, s13, v[15:16]
	v_mov_b32_e32 v5, v8
	s_cbranch_scc1 .LBB23_82
.LBB23_83:
	s_andn2_b32 vcc_lo, exec_lo, s6
	s_cbranch_vccnz .LBB23_86
; %bb.84:
	s_clause 0x1
	s_load_dwordx4 s[4:7], s[2:3], 0x4
	s_load_dwordx2 s[0:1], s[2:3], 0xc4
	s_cmp_lt_u32 s22, 2
	s_waitcnt lgkmcnt(0)
	v_mul_hi_u32 v4, s5, v6
	v_add_nc_u32_e32 v4, v6, v4
	v_lshrrev_b32_e32 v5, s6, v4
	v_mul_lo_u32 v4, v5, s4
	v_sub_nc_u32_e32 v6, v6, v4
	v_mul_lo_u32 v4, v6, s0
	v_mul_lo_u32 v15, v6, s1
	s_cbranch_scc1 .LBB23_86
; %bb.85:
	s_clause 0x1
	s_load_dwordx4 s[4:7], s[2:3], 0x10
	s_load_dwordx2 s[0:1], s[2:3], 0xcc
	s_waitcnt lgkmcnt(0)
	v_mul_hi_u32 v6, s5, v5
	v_add_nc_u32_e32 v6, v5, v6
	v_lshrrev_b32_e32 v6, s6, v6
	v_mul_lo_u32 v6, v6, s4
	v_sub_nc_u32_e32 v6, v5, v6
	v_mad_u64_u32 v[4:5], null, v6, s0, v[4:5]
	v_mad_u64_u32 v[15:16], null, v6, s1, v[15:16]
.LBB23_86:
	v_cmp_ne_u32_e32 vcc_lo, 1, v13
	v_add_nc_u32_e32 v8, 0x280, v9
	s_cbranch_vccnz .LBB23_92
; %bb.87:
	s_cmp_lg_u32 s22, 0
	s_mov_b32 s6, 0
	s_cbranch_scc0 .LBB23_93
; %bb.88:
	s_min_u32 s8, s23, 15
	s_add_i32 s8, s8, 1
	s_cmp_eq_u32 s23, 2
	s_cbranch_scc1 .LBB23_94
; %bb.89:
	v_mov_b32_e32 v16, 0
	v_mov_b32_e32 v5, 0
	;; [unrolled: 1-line block ×3, first 2 shown]
	s_and_b32 s7, s8, 28
	s_add_u32 s0, s2, 0xc4
	s_addc_u32 s1, s3, 0
	s_mov_b32 s9, 0
	s_mov_b64 s[4:5], s[2:3]
.LBB23_90:                              ; =>This Inner Loop Header: Depth=1
	s_clause 0x1
	s_load_dwordx8 s[12:19], s[4:5], 0x4
	s_load_dwordx4 s[36:39], s[4:5], 0x24
	s_load_dwordx8 s[24:31], s[0:1], 0x0
	s_add_u32 s4, s4, 48
	s_addc_u32 s5, s5, 0
	s_add_i32 s9, s9, 4
	s_add_u32 s0, s0, 32
	s_addc_u32 s1, s1, 0
	s_cmp_lg_u32 s7, s9
	s_waitcnt lgkmcnt(0)
	v_mul_hi_u32 v12, s13, v6
	v_add_nc_u32_e32 v12, v6, v12
	v_lshrrev_b32_e32 v12, s14, v12
	v_mul_hi_u32 v17, s16, v12
	v_mul_lo_u32 v19, v12, s12
	v_add_nc_u32_e32 v17, v12, v17
	v_sub_nc_u32_e32 v6, v6, v19
	v_lshrrev_b32_e32 v17, s17, v17
	v_mul_lo_u32 v19, v6, s24
	v_mul_lo_u32 v22, v6, s25
	v_mul_hi_u32 v18, s19, v17
	v_add_nc_u32_e32 v18, v17, v18
	v_lshrrev_b32_e32 v18, s36, v18
	v_mul_hi_u32 v21, s38, v18
	v_mul_lo_u32 v23, v18, s18
	v_add_nc_u32_e32 v6, v18, v21
	v_mul_lo_u32 v21, v17, s15
	v_sub_nc_u32_e32 v17, v17, v23
	v_lshrrev_b32_e32 v6, s39, v6
	v_mul_lo_u32 v23, v17, s28
	v_mul_lo_u32 v17, v17, s29
	v_sub_nc_u32_e32 v12, v12, v21
	v_mul_lo_u32 v24, v6, s37
	v_mul_lo_u32 v21, v12, s26
	;; [unrolled: 1-line block ×3, first 2 shown]
	v_sub_nc_u32_e32 v18, v18, v24
	v_add3_u32 v5, v19, v5, v21
	v_mul_lo_u32 v24, v18, s30
	v_mul_lo_u32 v18, v18, s31
	v_add3_u32 v12, v22, v16, v12
	v_add3_u32 v5, v23, v5, v24
	;; [unrolled: 1-line block ×3, first 2 shown]
	s_cbranch_scc1 .LBB23_90
; %bb.91:
	s_and_b32 s8, s8, 3
	s_cmp_eq_u32 s8, 0
	s_cbranch_scc0 .LBB23_95
	s_branch .LBB23_97
.LBB23_92:
	s_mov_b32 s6, -1
                                        ; implicit-def: $vgpr5
                                        ; implicit-def: $vgpr16
	s_branch .LBB23_97
.LBB23_93:
	v_mov_b32_e32 v5, 0
	v_mov_b32_e32 v16, 0
	s_branch .LBB23_97
.LBB23_94:
	v_mov_b32_e32 v5, 0
	v_mov_b32_e32 v16, 0
	v_mov_b32_e32 v6, v8
	s_mov_b32 s7, 0
	s_and_b32 s8, s8, 3
	s_cmp_eq_u32 s8, 0
	s_cbranch_scc1 .LBB23_97
.LBB23_95:
	s_lshl_b32 s0, s7, 3
	s_mul_i32 s4, s7, 12
	s_add_u32 s0, s2, s0
	s_addc_u32 s1, s3, 0
	s_add_u32 s0, s0, 0xc4
	s_addc_u32 s1, s1, 0
	;; [unrolled: 2-line block ×3, first 2 shown]
	.p2align	6
.LBB23_96:                              ; =>This Inner Loop Header: Depth=1
	s_clause 0x1
	s_load_dwordx2 s[10:11], s[4:5], 0x4
	s_load_dword s7, s[4:5], 0xc
	s_load_dwordx2 s[12:13], s[0:1], 0x0
	s_add_u32 s4, s4, 12
	s_addc_u32 s5, s5, 0
	s_add_u32 s0, s0, 8
	s_addc_u32 s1, s1, 0
	s_add_i32 s8, s8, -1
	s_cmp_lg_u32 s8, 0
	s_waitcnt lgkmcnt(0)
	v_mul_hi_u32 v12, s11, v6
	v_add_nc_u32_e32 v12, v6, v12
	v_lshrrev_b32_e32 v12, s7, v12
	v_mul_lo_u32 v17, v12, s10
	v_sub_nc_u32_e32 v17, v6, v17
	v_mad_u64_u32 v[5:6], null, v17, s12, v[5:6]
	v_mad_u64_u32 v[16:17], null, v17, s13, v[16:17]
	v_mov_b32_e32 v6, v12
	s_cbranch_scc1 .LBB23_96
.LBB23_97:
	s_andn2_b32 vcc_lo, exec_lo, s6
	s_cbranch_vccnz .LBB23_100
; %bb.98:
	s_clause 0x1
	s_load_dwordx4 s[4:7], s[2:3], 0x4
	s_load_dwordx2 s[0:1], s[2:3], 0xc4
	s_cmp_lt_u32 s22, 2
	s_waitcnt lgkmcnt(0)
	v_mul_hi_u32 v5, s5, v8
	v_add_nc_u32_e32 v5, v8, v5
	v_lshrrev_b32_e32 v6, s6, v5
	v_mul_lo_u32 v5, v6, s4
	v_sub_nc_u32_e32 v8, v8, v5
	v_mul_lo_u32 v5, v8, s0
	v_mul_lo_u32 v16, v8, s1
	s_cbranch_scc1 .LBB23_100
; %bb.99:
	s_clause 0x1
	s_load_dwordx4 s[4:7], s[2:3], 0x10
	s_load_dwordx2 s[0:1], s[2:3], 0xcc
	s_waitcnt lgkmcnt(0)
	v_mul_hi_u32 v8, s5, v6
	v_add_nc_u32_e32 v8, v6, v8
	v_lshrrev_b32_e32 v8, s6, v8
	v_mul_lo_u32 v8, v8, s4
	v_sub_nc_u32_e32 v8, v6, v8
	v_mad_u64_u32 v[5:6], null, v8, s0, v[5:6]
	v_mad_u64_u32 v[16:17], null, v8, s1, v[16:17]
.LBB23_100:
	v_cmp_ne_u32_e32 vcc_lo, 1, v13
	v_add_nc_u32_e32 v6, 0x300, v9
	s_cbranch_vccnz .LBB23_106
; %bb.101:
	s_cmp_lg_u32 s22, 0
	s_mov_b32 s6, 0
	s_cbranch_scc0 .LBB23_107
; %bb.102:
	s_min_u32 s8, s23, 15
	s_add_i32 s8, s8, 1
	s_cmp_eq_u32 s23, 2
	s_cbranch_scc1 .LBB23_108
; %bb.103:
	v_mov_b32_e32 v17, 0
	v_mov_b32_e32 v8, 0
	;; [unrolled: 1-line block ×3, first 2 shown]
	s_and_b32 s7, s8, 28
	s_add_u32 s0, s2, 0xc4
	s_addc_u32 s1, s3, 0
	s_mov_b32 s9, 0
	s_mov_b64 s[4:5], s[2:3]
.LBB23_104:                             ; =>This Inner Loop Header: Depth=1
	s_clause 0x1
	s_load_dwordx8 s[12:19], s[4:5], 0x4
	s_load_dwordx4 s[36:39], s[4:5], 0x24
	s_load_dwordx8 s[24:31], s[0:1], 0x0
	s_add_u32 s4, s4, 48
	s_addc_u32 s5, s5, 0
	s_add_i32 s9, s9, 4
	s_add_u32 s0, s0, 32
	s_addc_u32 s1, s1, 0
	s_cmp_lg_u32 s7, s9
	s_waitcnt lgkmcnt(0)
	v_mul_hi_u32 v12, s13, v9
	v_add_nc_u32_e32 v12, v9, v12
	v_lshrrev_b32_e32 v12, s14, v12
	v_mul_hi_u32 v18, s16, v12
	v_mul_lo_u32 v21, v12, s12
	v_add_nc_u32_e32 v18, v12, v18
	v_sub_nc_u32_e32 v9, v9, v21
	v_lshrrev_b32_e32 v18, s17, v18
	v_mul_lo_u32 v21, v9, s24
	v_mul_lo_u32 v23, v9, s25
	v_mul_hi_u32 v19, s19, v18
	v_add_nc_u32_e32 v19, v18, v19
	v_lshrrev_b32_e32 v19, s36, v19
	v_mul_hi_u32 v22, s38, v19
	v_mul_lo_u32 v24, v19, s18
	v_add_nc_u32_e32 v9, v19, v22
	v_mul_lo_u32 v22, v18, s15
	v_sub_nc_u32_e32 v18, v18, v24
	v_lshrrev_b32_e32 v9, s39, v9
	v_mul_lo_u32 v24, v18, s28
	v_mul_lo_u32 v18, v18, s29
	v_sub_nc_u32_e32 v12, v12, v22
	v_mul_lo_u32 v25, v9, s37
	v_mul_lo_u32 v22, v12, s26
	;; [unrolled: 1-line block ×3, first 2 shown]
	v_sub_nc_u32_e32 v19, v19, v25
	v_add3_u32 v8, v21, v8, v22
	v_mul_lo_u32 v25, v19, s30
	v_mul_lo_u32 v19, v19, s31
	v_add3_u32 v12, v23, v17, v12
	v_add3_u32 v8, v24, v8, v25
	;; [unrolled: 1-line block ×3, first 2 shown]
	s_cbranch_scc1 .LBB23_104
; %bb.105:
	s_and_b32 s8, s8, 3
	s_cmp_eq_u32 s8, 0
	s_cbranch_scc0 .LBB23_109
	s_branch .LBB23_111
.LBB23_106:
	s_mov_b32 s6, -1
                                        ; implicit-def: $vgpr8
                                        ; implicit-def: $vgpr17
	s_branch .LBB23_111
.LBB23_107:
	v_mov_b32_e32 v8, 0
	v_mov_b32_e32 v17, 0
	s_branch .LBB23_111
.LBB23_108:
	v_mov_b32_e32 v8, 0
	v_mov_b32_e32 v17, 0
	;; [unrolled: 1-line block ×3, first 2 shown]
	s_mov_b32 s7, 0
	s_and_b32 s8, s8, 3
	s_cmp_eq_u32 s8, 0
	s_cbranch_scc1 .LBB23_111
.LBB23_109:
	s_lshl_b32 s0, s7, 3
	s_mul_i32 s4, s7, 12
	s_add_u32 s0, s2, s0
	s_addc_u32 s1, s3, 0
	s_add_u32 s0, s0, 0xc4
	s_addc_u32 s1, s1, 0
	;; [unrolled: 2-line block ×3, first 2 shown]
	.p2align	6
.LBB23_110:                             ; =>This Inner Loop Header: Depth=1
	s_clause 0x1
	s_load_dwordx2 s[10:11], s[4:5], 0x4
	s_load_dword s7, s[4:5], 0xc
	s_load_dwordx2 s[12:13], s[0:1], 0x0
	s_add_u32 s4, s4, 12
	s_addc_u32 s5, s5, 0
	s_add_u32 s0, s0, 8
	s_addc_u32 s1, s1, 0
	s_add_i32 s8, s8, -1
	s_cmp_lg_u32 s8, 0
	s_waitcnt lgkmcnt(0)
	v_mul_hi_u32 v12, s11, v9
	v_add_nc_u32_e32 v12, v9, v12
	v_lshrrev_b32_e32 v12, s7, v12
	v_mul_lo_u32 v18, v12, s10
	v_sub_nc_u32_e32 v18, v9, v18
	v_mad_u64_u32 v[8:9], null, v18, s12, v[8:9]
	v_mad_u64_u32 v[17:18], null, v18, s13, v[17:18]
	v_mov_b32_e32 v9, v12
	s_cbranch_scc1 .LBB23_110
.LBB23_111:
	s_andn2_b32 vcc_lo, exec_lo, s6
	s_cbranch_vccnz .LBB23_114
; %bb.112:
	s_clause 0x1
	s_load_dwordx4 s[4:7], s[2:3], 0x4
	s_load_dwordx2 s[0:1], s[2:3], 0xc4
	s_cmp_lt_u32 s22, 2
	s_waitcnt lgkmcnt(0)
	v_mul_hi_u32 v8, s5, v6
	v_add_nc_u32_e32 v8, v6, v8
	v_lshrrev_b32_e32 v9, s6, v8
	v_mul_lo_u32 v8, v9, s4
	v_sub_nc_u32_e32 v6, v6, v8
	v_mul_lo_u32 v8, v6, s0
	v_mul_lo_u32 v17, v6, s1
	s_cbranch_scc1 .LBB23_114
; %bb.113:
	s_clause 0x1
	s_load_dwordx4 s[4:7], s[2:3], 0x10
	s_load_dwordx2 s[0:1], s[2:3], 0xcc
	s_waitcnt lgkmcnt(0)
	v_mul_hi_u32 v6, s5, v9
	v_add_nc_u32_e32 v6, v9, v6
	v_lshrrev_b32_e32 v6, s6, v6
	v_mul_lo_u32 v6, v6, s4
	v_sub_nc_u32_e32 v6, v9, v6
	v_mad_u64_u32 v[8:9], null, v6, s0, v[8:9]
	v_mad_u64_u32 v[17:18], null, v6, s1, v[17:18]
.LBB23_114:
	v_cmp_ne_u32_e32 vcc_lo, 1, v13
	s_cbranch_vccnz .LBB23_120
; %bb.115:
	s_cmp_lg_u32 s22, 0
	s_mov_b32 s6, 0
	s_cbranch_scc0 .LBB23_121
; %bb.116:
	s_min_u32 s8, s23, 15
	s_add_i32 s8, s8, 1
	s_cmp_eq_u32 s23, 2
	s_cbranch_scc1 .LBB23_122
; %bb.117:
	v_mov_b32_e32 v18, 0
	v_mov_b32_e32 v12, 0
	;; [unrolled: 1-line block ×3, first 2 shown]
	s_and_b32 s7, s8, 28
	s_add_u32 s0, s2, 0xc4
	s_addc_u32 s1, s3, 0
	s_mov_b32 s9, 0
	s_mov_b64 s[4:5], s[2:3]
.LBB23_118:                             ; =>This Inner Loop Header: Depth=1
	s_clause 0x1
	s_load_dwordx8 s[12:19], s[4:5], 0x4
	s_load_dwordx4 s[36:39], s[4:5], 0x24
	s_load_dwordx8 s[24:31], s[0:1], 0x0
	s_add_u32 s4, s4, 48
	s_addc_u32 s5, s5, 0
	s_add_i32 s9, s9, 4
	s_add_u32 s0, s0, 32
	s_addc_u32 s1, s1, 0
	s_cmp_lg_u32 s7, s9
	s_waitcnt lgkmcnt(0)
	v_mul_hi_u32 v9, s13, v6
	v_add_nc_u32_e32 v9, v6, v9
	v_lshrrev_b32_e32 v9, s14, v9
	v_mul_hi_u32 v13, s16, v9
	v_mul_lo_u32 v21, v9, s12
	v_add_nc_u32_e32 v13, v9, v13
	v_sub_nc_u32_e32 v6, v6, v21
	v_lshrrev_b32_e32 v13, s17, v13
	v_mul_lo_u32 v21, v6, s24
	v_mul_lo_u32 v23, v6, s25
	v_mul_hi_u32 v19, s19, v13
	v_add_nc_u32_e32 v19, v13, v19
	v_lshrrev_b32_e32 v19, s36, v19
	v_mul_hi_u32 v22, s38, v19
	v_mul_lo_u32 v24, v19, s18
	v_add_nc_u32_e32 v6, v19, v22
	v_mul_lo_u32 v22, v13, s15
	v_sub_nc_u32_e32 v13, v13, v24
	v_lshrrev_b32_e32 v6, s39, v6
	v_mul_lo_u32 v24, v13, s28
	v_mul_lo_u32 v13, v13, s29
	v_sub_nc_u32_e32 v9, v9, v22
	v_mul_lo_u32 v25, v6, s37
	v_mul_lo_u32 v22, v9, s26
	;; [unrolled: 1-line block ×3, first 2 shown]
	v_sub_nc_u32_e32 v19, v19, v25
	v_add3_u32 v12, v21, v12, v22
	v_mul_lo_u32 v25, v19, s30
	v_mul_lo_u32 v19, v19, s31
	v_add3_u32 v9, v23, v18, v9
	v_add3_u32 v12, v24, v12, v25
	;; [unrolled: 1-line block ×3, first 2 shown]
	s_cbranch_scc1 .LBB23_118
; %bb.119:
	s_and_b32 s8, s8, 3
	s_cmp_eq_u32 s8, 0
	s_cbranch_scc0 .LBB23_123
	s_branch .LBB23_125
.LBB23_120:
	s_mov_b32 s6, -1
                                        ; implicit-def: $vgpr12
                                        ; implicit-def: $vgpr18
	s_branch .LBB23_125
.LBB23_121:
	v_mov_b32_e32 v12, 0
	v_mov_b32_e32 v18, 0
	s_branch .LBB23_125
.LBB23_122:
	v_mov_b32_e32 v12, 0
	v_mov_b32_e32 v18, 0
	;; [unrolled: 1-line block ×3, first 2 shown]
	s_mov_b32 s7, 0
	s_and_b32 s8, s8, 3
	s_cmp_eq_u32 s8, 0
	s_cbranch_scc1 .LBB23_125
.LBB23_123:
	s_lshl_b32 s0, s7, 3
	s_mul_i32 s4, s7, 12
	s_add_u32 s0, s2, s0
	s_addc_u32 s1, s3, 0
	s_add_u32 s0, s0, 0xc4
	s_addc_u32 s1, s1, 0
	;; [unrolled: 2-line block ×3, first 2 shown]
	.p2align	6
.LBB23_124:                             ; =>This Inner Loop Header: Depth=1
	s_clause 0x1
	s_load_dwordx2 s[10:11], s[4:5], 0x4
	s_load_dword s7, s[4:5], 0xc
	s_load_dwordx2 s[12:13], s[0:1], 0x0
	s_add_u32 s4, s4, 12
	s_addc_u32 s5, s5, 0
	s_add_u32 s0, s0, 8
	s_addc_u32 s1, s1, 0
	s_add_i32 s8, s8, -1
	s_cmp_lg_u32 s8, 0
	s_waitcnt lgkmcnt(0)
	v_mul_hi_u32 v9, s11, v6
	v_add_nc_u32_e32 v9, v6, v9
	v_lshrrev_b32_e32 v9, s7, v9
	v_mul_lo_u32 v13, v9, s10
	v_sub_nc_u32_e32 v6, v6, v13
	v_mad_u64_u32 v[12:13], null, v6, s12, v[12:13]
	v_mad_u64_u32 v[18:19], null, v6, s13, v[18:19]
	v_mov_b32_e32 v6, v9
	s_cbranch_scc1 .LBB23_124
.LBB23_125:
	s_andn2_b32 vcc_lo, exec_lo, s6
	s_cbranch_vccnz .LBB23_128
; %bb.126:
	s_clause 0x1
	s_load_dwordx4 s[4:7], s[2:3], 0x4
	s_load_dwordx2 s[0:1], s[2:3], 0xc4
	s_cmp_lt_u32 s22, 2
	s_waitcnt lgkmcnt(0)
	v_mul_hi_u32 v6, s5, v20
	v_add_nc_u32_e32 v6, v20, v6
	v_lshrrev_b32_e32 v6, s6, v6
	v_mul_lo_u32 v9, v6, s4
	v_sub_nc_u32_e32 v9, v20, v9
	v_mul_lo_u32 v12, v9, s0
	v_mul_lo_u32 v18, v9, s1
	s_cbranch_scc1 .LBB23_128
; %bb.127:
	s_clause 0x1
	s_load_dwordx4 s[4:7], s[2:3], 0x10
	s_load_dwordx2 s[0:1], s[2:3], 0xcc
	s_waitcnt lgkmcnt(0)
	v_mul_hi_u32 v9, s5, v6
	v_add_nc_u32_e32 v9, v6, v9
	v_lshrrev_b32_e32 v9, s6, v9
	v_mul_lo_u32 v9, v9, s4
	v_sub_nc_u32_e32 v6, v6, v9
	v_mad_u64_u32 v[12:13], null, v6, s0, v[12:13]
	v_mad_u64_u32 v[18:19], null, v6, s1, v[18:19]
.LBB23_128:
	s_load_dwordx4 s[4:7], s[2:3], 0x148
                                        ; implicit-def: $vgpr13
                                        ; implicit-def: $vgpr9
	s_mov_b32 s1, exec_lo
	s_waitcnt lgkmcnt(0)
	global_load_ushort v6, v7, s[6:7]
	s_waitcnt vmcnt(0)
	v_cvt_f32_f16_e32 v6, v6
	v_and_b32_e32 v7, 0x7fffffff, v6
	v_cmpx_ngt_f32_e64 0x48000000, |v6|
	s_xor_b32 s2, exec_lo, s1
	s_cbranch_execz .LBB23_130
; %bb.129:
	s_mov_b32 s0, 0x7fffff
	v_mov_b32_e32 v21, 0
	v_and_or_b32 v9, v7, s0, 0x800000
	v_lshrrev_b32_e32 v13, 23, v7
	v_mad_u64_u32 v[19:20], null, 0xfe5163ab, v9, 0
	v_add_nc_u32_e32 v13, 0xffffff88, v13
	v_cmp_lt_u32_e32 vcc_lo, 63, v13
	v_mad_u64_u32 v[22:23], null, 0x3c439041, v9, v[20:21]
	v_cndmask_b32_e64 v27, 0, 0xffffffc0, vcc_lo
	v_mov_b32_e32 v20, v23
	v_add_nc_u32_e32 v13, v27, v13
	v_mad_u64_u32 v[23:24], null, 0xdb629599, v9, v[20:21]
	v_cmp_lt_u32_e64 s0, 31, v13
	v_cndmask_b32_e64 v28, 0, 0xffffffe0, s0
	v_mov_b32_e32 v20, v24
	v_cndmask_b32_e32 v19, v23, v19, vcc_lo
	v_add_nc_u32_e32 v13, v28, v13
	v_mad_u64_u32 v[24:25], null, 0xf534ddc0, v9, v[20:21]
	v_cmp_lt_u32_e64 s1, 31, v13
	v_mov_b32_e32 v20, v25
	v_mad_u64_u32 v[25:26], null, 0xfc2757d1, v9, v[20:21]
	v_mov_b32_e32 v20, v26
	v_mad_u64_u32 v[26:27], null, 0x4e441529, v9, v[20:21]
	v_mov_b32_e32 v20, v27
	v_cndmask_b32_e32 v27, v26, v24, vcc_lo
	v_mad_u64_u32 v[20:21], null, 0xa2f9836e, v9, v[20:21]
	v_cndmask_b32_e64 v9, 0, 0xffffffe0, s1
	v_add_nc_u32_e32 v9, v9, v13
	v_cndmask_b32_e32 v20, v20, v25, vcc_lo
	v_cndmask_b32_e32 v21, v21, v26, vcc_lo
	;; [unrolled: 1-line block ×4, first 2 shown]
	v_sub_nc_u32_e32 v24, 32, v9
	v_cndmask_b32_e64 v22, v20, v27, s0
	v_cndmask_b32_e64 v20, v21, v20, s0
	;; [unrolled: 1-line block ×4, first 2 shown]
	v_cmp_eq_u32_e32 vcc_lo, 0, v9
	v_cndmask_b32_e64 v13, v13, v19, s0
	v_cndmask_b32_e64 v20, v20, v22, s1
	;; [unrolled: 1-line block ×5, first 2 shown]
	v_alignbit_b32 v26, v20, v22, v24
	v_alignbit_b32 v23, v22, v21, v24
	v_alignbit_b32 v24, v21, v13, v24
	v_cndmask_b32_e32 v9, v26, v20, vcc_lo
	v_cndmask_b32_e32 v19, v23, v22, vcc_lo
	;; [unrolled: 1-line block ×3, first 2 shown]
	v_bfe_u32 v20, v9, 29, 1
	v_alignbit_b32 v22, v9, v19, 30
	v_alignbit_b32 v19, v19, v21, 30
	;; [unrolled: 1-line block ×3, first 2 shown]
	v_sub_nc_u32_e32 v23, 0, v20
	v_xor_b32_e32 v22, v22, v23
	v_xor_b32_e32 v19, v19, v23
	;; [unrolled: 1-line block ×3, first 2 shown]
	v_lshrrev_b32_e32 v23, 29, v9
	v_ffbh_u32_e32 v24, v22
	v_min_u32_e32 v24, 32, v24
	v_sub_nc_u32_e32 v21, 31, v24
	v_lshlrev_b32_e32 v25, 23, v24
	v_alignbit_b32 v22, v22, v19, v21
	v_alignbit_b32 v13, v19, v13, v21
	v_lshlrev_b32_e32 v19, 31, v23
	v_alignbit_b32 v21, v22, v13, 9
	v_or_b32_e32 v23, 0.5, v19
	v_lshrrev_b32_e32 v22, 9, v22
	v_or_b32_e32 v19, 0x33000000, v19
	v_ffbh_u32_e32 v26, v21
	v_sub_nc_u32_e32 v23, v23, v25
	v_min_u32_e32 v25, 32, v26
	v_or_b32_e32 v22, v22, v23
	v_not_b32_e32 v23, v25
	v_mul_f32_e32 v26, 0x3fc90fda, v22
	v_add_lshl_u32 v24, v25, v24, 23
	v_alignbit_b32 v13, v21, v13, v23
	v_fma_f32 v21, 0x3fc90fda, v22, -v26
	v_sub_nc_u32_e32 v19, v19, v24
	v_lshrrev_b32_e32 v13, 9, v13
	v_fmamk_f32 v21, v22, 0x33a22168, v21
	v_or_b32_e32 v13, v19, v13
	v_fmac_f32_e32 v21, 0x3fc90fda, v13
	v_lshrrev_b32_e32 v13, 30, v9
	v_add_f32_e32 v9, v26, v21
	v_add_nc_u32_e32 v13, v20, v13
.LBB23_130:
	s_andn2_saveexec_b32 s0, s2
; %bb.131:
	v_mul_f32_e64 v9, 0x3f22f983, |v6|
	v_rndne_f32_e32 v13, v9
	v_fma_f32 v9, 0xbfc90fda, v13, |v6|
	v_fmamk_f32 v9, v13, 0xb3a22168, v9
	v_fmamk_f32 v9, v13, 0xa7c234c4, v9
	v_cvt_i32_f32_e32 v13, v13
; %bb.132:
	s_or_b32 exec_lo, exec_lo, s0
	global_load_ushort v10, v10, s[6:7]
                                        ; implicit-def: $vgpr21
                                        ; implicit-def: $vgpr20
	s_mov_b32 s1, exec_lo
	s_waitcnt vmcnt(0)
	v_cvt_f32_f16_e32 v10, v10
	v_and_b32_e32 v19, 0x7fffffff, v10
	v_cmpx_ngt_f32_e64 0x48000000, |v10|
	s_xor_b32 s2, exec_lo, s1
	s_cbranch_execz .LBB23_134
; %bb.133:
	s_mov_b32 s0, 0x7fffff
	v_mov_b32_e32 v22, 0
	v_and_or_b32 v29, v19, s0, 0x800000
	v_lshrrev_b32_e32 v27, 23, v19
	v_mad_u64_u32 v[20:21], null, 0xfe5163ab, v29, 0
	v_add_nc_u32_e32 v28, 0xffffff88, v27
	v_cmp_lt_u32_e32 vcc_lo, 63, v28
	v_mad_u64_u32 v[23:24], null, 0x3c439041, v29, v[21:22]
	v_cndmask_b32_e64 v30, 0, 0xffffffc0, vcc_lo
	v_mov_b32_e32 v21, v24
	v_add_nc_u32_e32 v30, v30, v28
	v_mad_u64_u32 v[24:25], null, 0xdb629599, v29, v[21:22]
	v_cmp_lt_u32_e64 s0, 31, v30
	v_cndmask_b32_e64 v31, 0, 0xffffffe0, s0
	v_mov_b32_e32 v21, v25
	v_cndmask_b32_e32 v20, v24, v20, vcc_lo
	v_mad_u64_u32 v[25:26], null, 0xf534ddc0, v29, v[21:22]
	v_mov_b32_e32 v21, v26
	v_cndmask_b32_e32 v23, v25, v23, vcc_lo
	v_mad_u64_u32 v[26:27], null, 0xfc2757d1, v29, v[21:22]
	v_cndmask_b32_e64 v20, v23, v20, s0
	v_mov_b32_e32 v21, v27
	v_mad_u64_u32 v[27:28], null, 0x4e441529, v29, v[21:22]
	v_mov_b32_e32 v21, v28
	v_add_nc_u32_e32 v28, v31, v30
	v_cndmask_b32_e32 v30, v27, v25, vcc_lo
	v_mad_u64_u32 v[21:22], null, 0xa2f9836e, v29, v[21:22]
	v_cmp_lt_u32_e64 s1, 31, v28
	v_cndmask_b32_e64 v29, 0, 0xffffffe0, s1
	v_cndmask_b32_e32 v21, v21, v26, vcc_lo
	v_cndmask_b32_e32 v22, v22, v27, vcc_lo
	;; [unrolled: 1-line block ×3, first 2 shown]
	v_add_nc_u32_e32 v27, v29, v28
	v_cndmask_b32_e64 v25, v21, v30, s0
	v_cndmask_b32_e64 v21, v22, v21, s0
	;; [unrolled: 1-line block ×4, first 2 shown]
	v_sub_nc_u32_e32 v28, 32, v27
	v_cmp_eq_u32_e32 vcc_lo, 0, v27
	v_cndmask_b32_e64 v21, v21, v25, s1
	v_cndmask_b32_e64 v25, v25, v22, s1
	;; [unrolled: 1-line block ×4, first 2 shown]
	v_alignbit_b32 v29, v21, v25, v28
	v_alignbit_b32 v24, v25, v22, v28
	;; [unrolled: 1-line block ×3, first 2 shown]
	v_cndmask_b32_e32 v21, v29, v21, vcc_lo
	v_cndmask_b32_e32 v23, v24, v25, vcc_lo
	;; [unrolled: 1-line block ×3, first 2 shown]
	v_bfe_u32 v24, v21, 29, 1
	v_alignbit_b32 v25, v21, v23, 30
	v_alignbit_b32 v23, v23, v22, 30
	;; [unrolled: 1-line block ×3, first 2 shown]
	v_sub_nc_u32_e32 v26, 0, v24
	v_xor_b32_e32 v25, v25, v26
	v_xor_b32_e32 v22, v23, v26
	;; [unrolled: 1-line block ×3, first 2 shown]
	v_lshrrev_b32_e32 v26, 29, v21
	v_lshrrev_b32_e32 v21, 30, v21
	v_ffbh_u32_e32 v27, v25
	v_add_nc_u32_e32 v21, v24, v21
	v_min_u32_e32 v27, 32, v27
	v_sub_nc_u32_e32 v23, 31, v27
	v_lshlrev_b32_e32 v28, 23, v27
	v_alignbit_b32 v25, v25, v22, v23
	v_alignbit_b32 v20, v22, v20, v23
	v_lshlrev_b32_e32 v22, 31, v26
	v_alignbit_b32 v23, v25, v20, 9
	v_or_b32_e32 v26, 0.5, v22
	v_lshrrev_b32_e32 v25, 9, v25
	v_or_b32_e32 v22, 0x33000000, v22
	v_ffbh_u32_e32 v29, v23
	v_sub_nc_u32_e32 v26, v26, v28
	v_min_u32_e32 v28, 32, v29
	v_or_b32_e32 v25, v25, v26
	v_not_b32_e32 v26, v28
	v_mul_f32_e32 v29, 0x3fc90fda, v25
	v_add_lshl_u32 v27, v28, v27, 23
	v_alignbit_b32 v20, v23, v20, v26
	v_fma_f32 v23, 0x3fc90fda, v25, -v29
	v_sub_nc_u32_e32 v22, v22, v27
	v_lshrrev_b32_e32 v20, 9, v20
	v_fmamk_f32 v23, v25, 0x33a22168, v23
	v_or_b32_e32 v20, v22, v20
	v_fmac_f32_e32 v23, 0x3fc90fda, v20
	v_add_f32_e32 v20, v29, v23
.LBB23_134:
	s_andn2_saveexec_b32 s0, s2
; %bb.135:
	v_mul_f32_e64 v20, 0x3f22f983, |v10|
	v_rndne_f32_e32 v21, v20
	v_fma_f32 v20, 0xbfc90fda, v21, |v10|
	v_fmamk_f32 v20, v21, 0xb3a22168, v20
	v_fmamk_f32 v20, v21, 0xa7c234c4, v20
	v_cvt_i32_f32_e32 v21, v21
; %bb.136:
	s_or_b32 exec_lo, exec_lo, s0
	global_load_ushort v11, v11, s[6:7]
                                        ; implicit-def: $vgpr24
                                        ; implicit-def: $vgpr23
	s_mov_b32 s1, exec_lo
	s_waitcnt vmcnt(0)
	v_cvt_f32_f16_e32 v11, v11
	v_and_b32_e32 v22, 0x7fffffff, v11
	v_cmpx_ngt_f32_e64 0x48000000, |v11|
	s_xor_b32 s2, exec_lo, s1
	s_cbranch_execz .LBB23_138
; %bb.137:
	s_mov_b32 s0, 0x7fffff
	v_mov_b32_e32 v25, 0
	v_and_or_b32 v32, v22, s0, 0x800000
	v_lshrrev_b32_e32 v30, 23, v22
	v_mad_u64_u32 v[23:24], null, 0xfe5163ab, v32, 0
	v_add_nc_u32_e32 v31, 0xffffff88, v30
	v_cmp_lt_u32_e32 vcc_lo, 63, v31
	v_mad_u64_u32 v[26:27], null, 0x3c439041, v32, v[24:25]
	v_cndmask_b32_e64 v33, 0, 0xffffffc0, vcc_lo
	v_mov_b32_e32 v24, v27
	v_add_nc_u32_e32 v33, v33, v31
	v_mad_u64_u32 v[27:28], null, 0xdb629599, v32, v[24:25]
	v_cmp_lt_u32_e64 s0, 31, v33
	v_cndmask_b32_e64 v34, 0, 0xffffffe0, s0
	v_mov_b32_e32 v24, v28
	v_cndmask_b32_e32 v23, v27, v23, vcc_lo
	v_mad_u64_u32 v[28:29], null, 0xf534ddc0, v32, v[24:25]
	v_mov_b32_e32 v24, v29
	v_cndmask_b32_e32 v26, v28, v26, vcc_lo
	v_mad_u64_u32 v[29:30], null, 0xfc2757d1, v32, v[24:25]
	v_cndmask_b32_e64 v23, v26, v23, s0
	v_mov_b32_e32 v24, v30
	v_mad_u64_u32 v[30:31], null, 0x4e441529, v32, v[24:25]
	v_mov_b32_e32 v24, v31
	v_add_nc_u32_e32 v31, v34, v33
	v_cndmask_b32_e32 v33, v30, v28, vcc_lo
	v_mad_u64_u32 v[24:25], null, 0xa2f9836e, v32, v[24:25]
	v_cmp_lt_u32_e64 s1, 31, v31
	v_cndmask_b32_e64 v32, 0, 0xffffffe0, s1
	v_cndmask_b32_e32 v24, v24, v29, vcc_lo
	v_cndmask_b32_e32 v25, v25, v30, vcc_lo
	;; [unrolled: 1-line block ×3, first 2 shown]
	v_add_nc_u32_e32 v30, v32, v31
	v_cndmask_b32_e64 v28, v24, v33, s0
	v_cndmask_b32_e64 v24, v25, v24, s0
	;; [unrolled: 1-line block ×4, first 2 shown]
	v_sub_nc_u32_e32 v31, 32, v30
	v_cmp_eq_u32_e32 vcc_lo, 0, v30
	v_cndmask_b32_e64 v24, v24, v28, s1
	v_cndmask_b32_e64 v28, v28, v25, s1
	;; [unrolled: 1-line block ×4, first 2 shown]
	v_alignbit_b32 v32, v24, v28, v31
	v_alignbit_b32 v27, v28, v25, v31
	;; [unrolled: 1-line block ×3, first 2 shown]
	v_cndmask_b32_e32 v24, v32, v24, vcc_lo
	v_cndmask_b32_e32 v26, v27, v28, vcc_lo
	;; [unrolled: 1-line block ×3, first 2 shown]
	v_bfe_u32 v27, v24, 29, 1
	v_alignbit_b32 v28, v24, v26, 30
	v_alignbit_b32 v26, v26, v25, 30
	;; [unrolled: 1-line block ×3, first 2 shown]
	v_sub_nc_u32_e32 v29, 0, v27
	v_xor_b32_e32 v28, v28, v29
	v_xor_b32_e32 v25, v26, v29
	;; [unrolled: 1-line block ×3, first 2 shown]
	v_lshrrev_b32_e32 v29, 29, v24
	v_lshrrev_b32_e32 v24, 30, v24
	v_ffbh_u32_e32 v30, v28
	v_add_nc_u32_e32 v24, v27, v24
	v_min_u32_e32 v30, 32, v30
	v_sub_nc_u32_e32 v26, 31, v30
	v_lshlrev_b32_e32 v31, 23, v30
	v_alignbit_b32 v28, v28, v25, v26
	v_alignbit_b32 v23, v25, v23, v26
	v_lshlrev_b32_e32 v25, 31, v29
	v_alignbit_b32 v26, v28, v23, 9
	v_or_b32_e32 v29, 0.5, v25
	v_lshrrev_b32_e32 v28, 9, v28
	v_or_b32_e32 v25, 0x33000000, v25
	v_ffbh_u32_e32 v32, v26
	v_sub_nc_u32_e32 v29, v29, v31
	v_min_u32_e32 v31, 32, v32
	v_or_b32_e32 v28, v28, v29
	v_not_b32_e32 v29, v31
	v_mul_f32_e32 v32, 0x3fc90fda, v28
	v_add_lshl_u32 v30, v31, v30, 23
	v_alignbit_b32 v23, v26, v23, v29
	v_fma_f32 v26, 0x3fc90fda, v28, -v32
	v_sub_nc_u32_e32 v25, v25, v30
	v_lshrrev_b32_e32 v23, 9, v23
	v_fmamk_f32 v26, v28, 0x33a22168, v26
	v_or_b32_e32 v23, v25, v23
	v_fmac_f32_e32 v26, 0x3fc90fda, v23
	v_add_f32_e32 v23, v32, v26
.LBB23_138:
	s_andn2_saveexec_b32 s0, s2
; %bb.139:
	v_mul_f32_e64 v23, 0x3f22f983, |v11|
	v_rndne_f32_e32 v24, v23
	v_fma_f32 v23, 0xbfc90fda, v24, |v11|
	v_fmamk_f32 v23, v24, 0xb3a22168, v23
	v_fmamk_f32 v23, v24, 0xa7c234c4, v23
	v_cvt_i32_f32_e32 v24, v24
; %bb.140:
	s_or_b32 exec_lo, exec_lo, s0
	global_load_ushort v14, v14, s[6:7]
                                        ; implicit-def: $vgpr27
                                        ; implicit-def: $vgpr26
	s_mov_b32 s1, exec_lo
	s_waitcnt vmcnt(0)
	v_cvt_f32_f16_e32 v14, v14
	v_and_b32_e32 v25, 0x7fffffff, v14
	v_cmpx_ngt_f32_e64 0x48000000, |v14|
	s_xor_b32 s2, exec_lo, s1
	s_cbranch_execz .LBB23_142
; %bb.141:
	s_mov_b32 s0, 0x7fffff
	v_mov_b32_e32 v28, 0
	v_and_or_b32 v35, v25, s0, 0x800000
	v_lshrrev_b32_e32 v33, 23, v25
	v_mad_u64_u32 v[26:27], null, 0xfe5163ab, v35, 0
	v_add_nc_u32_e32 v34, 0xffffff88, v33
	v_cmp_lt_u32_e32 vcc_lo, 63, v34
	v_mad_u64_u32 v[29:30], null, 0x3c439041, v35, v[27:28]
	v_cndmask_b32_e64 v36, 0, 0xffffffc0, vcc_lo
	v_mov_b32_e32 v27, v30
	v_add_nc_u32_e32 v36, v36, v34
	v_mad_u64_u32 v[30:31], null, 0xdb629599, v35, v[27:28]
	v_cmp_lt_u32_e64 s0, 31, v36
	v_cndmask_b32_e64 v37, 0, 0xffffffe0, s0
	v_mov_b32_e32 v27, v31
	v_cndmask_b32_e32 v26, v30, v26, vcc_lo
	v_mad_u64_u32 v[31:32], null, 0xf534ddc0, v35, v[27:28]
	v_mov_b32_e32 v27, v32
	v_cndmask_b32_e32 v29, v31, v29, vcc_lo
	v_mad_u64_u32 v[32:33], null, 0xfc2757d1, v35, v[27:28]
	v_cndmask_b32_e64 v26, v29, v26, s0
	v_mov_b32_e32 v27, v33
	v_mad_u64_u32 v[33:34], null, 0x4e441529, v35, v[27:28]
	v_mov_b32_e32 v27, v34
	v_add_nc_u32_e32 v34, v37, v36
	v_cndmask_b32_e32 v36, v33, v31, vcc_lo
	v_mad_u64_u32 v[27:28], null, 0xa2f9836e, v35, v[27:28]
	v_cmp_lt_u32_e64 s1, 31, v34
	v_cndmask_b32_e64 v35, 0, 0xffffffe0, s1
	v_cndmask_b32_e32 v27, v27, v32, vcc_lo
	v_cndmask_b32_e32 v28, v28, v33, vcc_lo
	;; [unrolled: 1-line block ×3, first 2 shown]
	v_add_nc_u32_e32 v33, v35, v34
	v_cndmask_b32_e64 v31, v27, v36, s0
	v_cndmask_b32_e64 v27, v28, v27, s0
	;; [unrolled: 1-line block ×4, first 2 shown]
	v_sub_nc_u32_e32 v34, 32, v33
	v_cmp_eq_u32_e32 vcc_lo, 0, v33
	v_cndmask_b32_e64 v27, v27, v31, s1
	v_cndmask_b32_e64 v31, v31, v28, s1
	;; [unrolled: 1-line block ×4, first 2 shown]
	v_alignbit_b32 v35, v27, v31, v34
	v_alignbit_b32 v30, v31, v28, v34
	v_alignbit_b32 v33, v28, v26, v34
	v_cndmask_b32_e32 v27, v35, v27, vcc_lo
	v_cndmask_b32_e32 v29, v30, v31, vcc_lo
	;; [unrolled: 1-line block ×3, first 2 shown]
	v_bfe_u32 v30, v27, 29, 1
	v_alignbit_b32 v31, v27, v29, 30
	v_alignbit_b32 v29, v29, v28, 30
	;; [unrolled: 1-line block ×3, first 2 shown]
	v_sub_nc_u32_e32 v32, 0, v30
	v_xor_b32_e32 v31, v31, v32
	v_xor_b32_e32 v28, v29, v32
	;; [unrolled: 1-line block ×3, first 2 shown]
	v_lshrrev_b32_e32 v32, 29, v27
	v_lshrrev_b32_e32 v27, 30, v27
	v_ffbh_u32_e32 v33, v31
	v_add_nc_u32_e32 v27, v30, v27
	v_min_u32_e32 v33, 32, v33
	v_sub_nc_u32_e32 v29, 31, v33
	v_lshlrev_b32_e32 v34, 23, v33
	v_alignbit_b32 v31, v31, v28, v29
	v_alignbit_b32 v26, v28, v26, v29
	v_lshlrev_b32_e32 v28, 31, v32
	v_alignbit_b32 v29, v31, v26, 9
	v_or_b32_e32 v32, 0.5, v28
	v_lshrrev_b32_e32 v31, 9, v31
	v_or_b32_e32 v28, 0x33000000, v28
	v_ffbh_u32_e32 v35, v29
	v_sub_nc_u32_e32 v32, v32, v34
	v_min_u32_e32 v34, 32, v35
	v_or_b32_e32 v31, v31, v32
	v_not_b32_e32 v32, v34
	v_mul_f32_e32 v35, 0x3fc90fda, v31
	v_add_lshl_u32 v33, v34, v33, 23
	v_alignbit_b32 v26, v29, v26, v32
	v_fma_f32 v29, 0x3fc90fda, v31, -v35
	v_sub_nc_u32_e32 v28, v28, v33
	v_lshrrev_b32_e32 v26, 9, v26
	v_fmamk_f32 v29, v31, 0x33a22168, v29
	v_or_b32_e32 v26, v28, v26
	v_fmac_f32_e32 v29, 0x3fc90fda, v26
	v_add_f32_e32 v26, v35, v29
.LBB23_142:
	s_andn2_saveexec_b32 s0, s2
; %bb.143:
	v_mul_f32_e64 v26, 0x3f22f983, |v14|
	v_rndne_f32_e32 v27, v26
	v_fma_f32 v26, 0xbfc90fda, v27, |v14|
	v_fmamk_f32 v26, v27, 0xb3a22168, v26
	v_fmamk_f32 v26, v27, 0xa7c234c4, v26
	v_cvt_i32_f32_e32 v27, v27
; %bb.144:
	s_or_b32 exec_lo, exec_lo, s0
	global_load_ushort v15, v15, s[6:7]
                                        ; implicit-def: $vgpr30
                                        ; implicit-def: $vgpr29
	s_mov_b32 s1, exec_lo
	s_waitcnt vmcnt(0)
	v_cvt_f32_f16_e32 v15, v15
	v_and_b32_e32 v28, 0x7fffffff, v15
	v_cmpx_ngt_f32_e64 0x48000000, |v15|
	s_xor_b32 s2, exec_lo, s1
	s_cbranch_execz .LBB23_146
; %bb.145:
	s_mov_b32 s0, 0x7fffff
	v_mov_b32_e32 v31, 0
	v_and_or_b32 v38, v28, s0, 0x800000
	v_lshrrev_b32_e32 v36, 23, v28
	v_mad_u64_u32 v[29:30], null, 0xfe5163ab, v38, 0
	v_add_nc_u32_e32 v37, 0xffffff88, v36
	v_cmp_lt_u32_e32 vcc_lo, 63, v37
	v_mad_u64_u32 v[32:33], null, 0x3c439041, v38, v[30:31]
	v_cndmask_b32_e64 v39, 0, 0xffffffc0, vcc_lo
	v_mov_b32_e32 v30, v33
	v_add_nc_u32_e32 v39, v39, v37
	v_mad_u64_u32 v[33:34], null, 0xdb629599, v38, v[30:31]
	v_cmp_lt_u32_e64 s0, 31, v39
	v_cndmask_b32_e64 v40, 0, 0xffffffe0, s0
	v_mov_b32_e32 v30, v34
	v_cndmask_b32_e32 v29, v33, v29, vcc_lo
	v_mad_u64_u32 v[34:35], null, 0xf534ddc0, v38, v[30:31]
	v_mov_b32_e32 v30, v35
	v_cndmask_b32_e32 v32, v34, v32, vcc_lo
	v_mad_u64_u32 v[35:36], null, 0xfc2757d1, v38, v[30:31]
	v_cndmask_b32_e64 v29, v32, v29, s0
	v_mov_b32_e32 v30, v36
	v_mad_u64_u32 v[36:37], null, 0x4e441529, v38, v[30:31]
	v_mov_b32_e32 v30, v37
	v_add_nc_u32_e32 v37, v40, v39
	v_cndmask_b32_e32 v39, v36, v34, vcc_lo
	v_mad_u64_u32 v[30:31], null, 0xa2f9836e, v38, v[30:31]
	v_cmp_lt_u32_e64 s1, 31, v37
	v_cndmask_b32_e64 v38, 0, 0xffffffe0, s1
	v_cndmask_b32_e32 v30, v30, v35, vcc_lo
	v_cndmask_b32_e32 v31, v31, v36, vcc_lo
	;; [unrolled: 1-line block ×3, first 2 shown]
	v_add_nc_u32_e32 v36, v38, v37
	v_cndmask_b32_e64 v34, v30, v39, s0
	v_cndmask_b32_e64 v30, v31, v30, s0
	;; [unrolled: 1-line block ×4, first 2 shown]
	v_sub_nc_u32_e32 v37, 32, v36
	v_cmp_eq_u32_e32 vcc_lo, 0, v36
	v_cndmask_b32_e64 v30, v30, v34, s1
	v_cndmask_b32_e64 v34, v34, v31, s1
	;; [unrolled: 1-line block ×4, first 2 shown]
	v_alignbit_b32 v38, v30, v34, v37
	v_alignbit_b32 v33, v34, v31, v37
	;; [unrolled: 1-line block ×3, first 2 shown]
	v_cndmask_b32_e32 v30, v38, v30, vcc_lo
	v_cndmask_b32_e32 v32, v33, v34, vcc_lo
	;; [unrolled: 1-line block ×3, first 2 shown]
	v_bfe_u32 v33, v30, 29, 1
	v_alignbit_b32 v34, v30, v32, 30
	v_alignbit_b32 v32, v32, v31, 30
	;; [unrolled: 1-line block ×3, first 2 shown]
	v_sub_nc_u32_e32 v35, 0, v33
	v_xor_b32_e32 v34, v34, v35
	v_xor_b32_e32 v31, v32, v35
	;; [unrolled: 1-line block ×3, first 2 shown]
	v_lshrrev_b32_e32 v35, 29, v30
	v_lshrrev_b32_e32 v30, 30, v30
	v_ffbh_u32_e32 v36, v34
	v_add_nc_u32_e32 v30, v33, v30
	v_min_u32_e32 v36, 32, v36
	v_sub_nc_u32_e32 v32, 31, v36
	v_lshlrev_b32_e32 v37, 23, v36
	v_alignbit_b32 v34, v34, v31, v32
	v_alignbit_b32 v29, v31, v29, v32
	v_lshlrev_b32_e32 v31, 31, v35
	v_alignbit_b32 v32, v34, v29, 9
	v_or_b32_e32 v35, 0.5, v31
	v_lshrrev_b32_e32 v34, 9, v34
	v_or_b32_e32 v31, 0x33000000, v31
	v_ffbh_u32_e32 v38, v32
	v_sub_nc_u32_e32 v35, v35, v37
	v_min_u32_e32 v37, 32, v38
	v_or_b32_e32 v34, v34, v35
	v_not_b32_e32 v35, v37
	v_mul_f32_e32 v38, 0x3fc90fda, v34
	v_add_lshl_u32 v36, v37, v36, 23
	v_alignbit_b32 v29, v32, v29, v35
	v_fma_f32 v32, 0x3fc90fda, v34, -v38
	v_sub_nc_u32_e32 v31, v31, v36
	v_lshrrev_b32_e32 v29, 9, v29
	v_fmamk_f32 v32, v34, 0x33a22168, v32
	v_or_b32_e32 v29, v31, v29
	v_fmac_f32_e32 v32, 0x3fc90fda, v29
	v_add_f32_e32 v29, v38, v32
.LBB23_146:
	s_andn2_saveexec_b32 s0, s2
; %bb.147:
	v_mul_f32_e64 v29, 0x3f22f983, |v15|
	v_rndne_f32_e32 v30, v29
	v_fma_f32 v29, 0xbfc90fda, v30, |v15|
	v_fmamk_f32 v29, v30, 0xb3a22168, v29
	v_fmamk_f32 v29, v30, 0xa7c234c4, v29
	v_cvt_i32_f32_e32 v30, v30
; %bb.148:
	s_or_b32 exec_lo, exec_lo, s0
	global_load_ushort v16, v16, s[6:7]
                                        ; implicit-def: $vgpr33
                                        ; implicit-def: $vgpr32
	s_mov_b32 s1, exec_lo
	s_waitcnt vmcnt(0)
	v_cvt_f32_f16_e32 v16, v16
	v_and_b32_e32 v31, 0x7fffffff, v16
	v_cmpx_ngt_f32_e64 0x48000000, |v16|
	s_xor_b32 s2, exec_lo, s1
	s_cbranch_execz .LBB23_150
; %bb.149:
	s_mov_b32 s0, 0x7fffff
	v_mov_b32_e32 v34, 0
	v_and_or_b32 v41, v31, s0, 0x800000
	v_lshrrev_b32_e32 v39, 23, v31
	v_mad_u64_u32 v[32:33], null, 0xfe5163ab, v41, 0
	v_add_nc_u32_e32 v40, 0xffffff88, v39
	v_cmp_lt_u32_e32 vcc_lo, 63, v40
	v_mad_u64_u32 v[35:36], null, 0x3c439041, v41, v[33:34]
	v_cndmask_b32_e64 v42, 0, 0xffffffc0, vcc_lo
	v_mov_b32_e32 v33, v36
	v_add_nc_u32_e32 v42, v42, v40
	v_mad_u64_u32 v[36:37], null, 0xdb629599, v41, v[33:34]
	v_cmp_lt_u32_e64 s0, 31, v42
	v_cndmask_b32_e64 v43, 0, 0xffffffe0, s0
	v_mov_b32_e32 v33, v37
	v_cndmask_b32_e32 v32, v36, v32, vcc_lo
	v_mad_u64_u32 v[37:38], null, 0xf534ddc0, v41, v[33:34]
	v_mov_b32_e32 v33, v38
	v_cndmask_b32_e32 v35, v37, v35, vcc_lo
	v_mad_u64_u32 v[38:39], null, 0xfc2757d1, v41, v[33:34]
	v_cndmask_b32_e64 v32, v35, v32, s0
	v_mov_b32_e32 v33, v39
	v_mad_u64_u32 v[39:40], null, 0x4e441529, v41, v[33:34]
	v_mov_b32_e32 v33, v40
	v_add_nc_u32_e32 v40, v43, v42
	v_cndmask_b32_e32 v42, v39, v37, vcc_lo
	v_mad_u64_u32 v[33:34], null, 0xa2f9836e, v41, v[33:34]
	v_cmp_lt_u32_e64 s1, 31, v40
	v_cndmask_b32_e64 v41, 0, 0xffffffe0, s1
	v_cndmask_b32_e32 v33, v33, v38, vcc_lo
	v_cndmask_b32_e32 v34, v34, v39, vcc_lo
	;; [unrolled: 1-line block ×3, first 2 shown]
	v_add_nc_u32_e32 v39, v41, v40
	v_cndmask_b32_e64 v37, v33, v42, s0
	v_cndmask_b32_e64 v33, v34, v33, s0
	;; [unrolled: 1-line block ×4, first 2 shown]
	v_sub_nc_u32_e32 v40, 32, v39
	v_cmp_eq_u32_e32 vcc_lo, 0, v39
	v_cndmask_b32_e64 v33, v33, v37, s1
	v_cndmask_b32_e64 v37, v37, v34, s1
	;; [unrolled: 1-line block ×4, first 2 shown]
	v_alignbit_b32 v41, v33, v37, v40
	v_alignbit_b32 v36, v37, v34, v40
	;; [unrolled: 1-line block ×3, first 2 shown]
	v_cndmask_b32_e32 v33, v41, v33, vcc_lo
	v_cndmask_b32_e32 v35, v36, v37, vcc_lo
	;; [unrolled: 1-line block ×3, first 2 shown]
	v_bfe_u32 v36, v33, 29, 1
	v_alignbit_b32 v37, v33, v35, 30
	v_alignbit_b32 v35, v35, v34, 30
	v_alignbit_b32 v32, v34, v32, 30
	v_sub_nc_u32_e32 v38, 0, v36
	v_xor_b32_e32 v37, v37, v38
	v_xor_b32_e32 v34, v35, v38
	;; [unrolled: 1-line block ×3, first 2 shown]
	v_lshrrev_b32_e32 v38, 29, v33
	v_lshrrev_b32_e32 v33, 30, v33
	v_ffbh_u32_e32 v39, v37
	v_add_nc_u32_e32 v33, v36, v33
	v_min_u32_e32 v39, 32, v39
	v_sub_nc_u32_e32 v35, 31, v39
	v_lshlrev_b32_e32 v40, 23, v39
	v_alignbit_b32 v37, v37, v34, v35
	v_alignbit_b32 v32, v34, v32, v35
	v_lshlrev_b32_e32 v34, 31, v38
	v_alignbit_b32 v35, v37, v32, 9
	v_or_b32_e32 v38, 0.5, v34
	v_lshrrev_b32_e32 v37, 9, v37
	v_or_b32_e32 v34, 0x33000000, v34
	v_ffbh_u32_e32 v41, v35
	v_sub_nc_u32_e32 v38, v38, v40
	v_min_u32_e32 v40, 32, v41
	v_or_b32_e32 v37, v37, v38
	v_not_b32_e32 v38, v40
	v_mul_f32_e32 v41, 0x3fc90fda, v37
	v_add_lshl_u32 v39, v40, v39, 23
	v_alignbit_b32 v32, v35, v32, v38
	v_fma_f32 v35, 0x3fc90fda, v37, -v41
	v_sub_nc_u32_e32 v34, v34, v39
	v_lshrrev_b32_e32 v32, 9, v32
	v_fmamk_f32 v35, v37, 0x33a22168, v35
	v_or_b32_e32 v32, v34, v32
	v_fmac_f32_e32 v35, 0x3fc90fda, v32
	v_add_f32_e32 v32, v41, v35
.LBB23_150:
	s_andn2_saveexec_b32 s0, s2
; %bb.151:
	v_mul_f32_e64 v32, 0x3f22f983, |v16|
	v_rndne_f32_e32 v33, v32
	v_fma_f32 v32, 0xbfc90fda, v33, |v16|
	v_fmamk_f32 v32, v33, 0xb3a22168, v32
	v_fmamk_f32 v32, v33, 0xa7c234c4, v32
	v_cvt_i32_f32_e32 v33, v33
; %bb.152:
	s_or_b32 exec_lo, exec_lo, s0
	global_load_ushort v17, v17, s[6:7]
                                        ; implicit-def: $vgpr39
                                        ; implicit-def: $vgpr38
	s_mov_b32 s1, exec_lo
	s_waitcnt vmcnt(0)
	v_cvt_f32_f16_e32 v34, v17
	v_and_b32_e32 v35, 0x7fffffff, v34
	v_cmpx_ngt_f32_e64 0x48000000, |v34|
	s_xor_b32 s2, exec_lo, s1
	s_cbranch_execz .LBB23_154
; %bb.153:
	s_mov_b32 s0, 0x7fffff
	v_mov_b32_e32 v38, 0
	v_and_or_b32 v17, v35, s0, 0x800000
	v_lshrrev_b32_e32 v43, 23, v35
	v_mad_u64_u32 v[36:37], null, 0xfe5163ab, v17, 0
	v_add_nc_u32_e32 v44, 0xffffff88, v43
	v_cmp_lt_u32_e32 vcc_lo, 63, v44
	v_mad_u64_u32 v[39:40], null, 0x3c439041, v17, v[37:38]
	v_cndmask_b32_e64 v45, 0, 0xffffffc0, vcc_lo
	v_mov_b32_e32 v37, v40
	v_add_nc_u32_e32 v45, v45, v44
	v_mad_u64_u32 v[40:41], null, 0xdb629599, v17, v[37:38]
	v_cmp_lt_u32_e64 s0, 31, v45
	v_cndmask_b32_e64 v46, 0, 0xffffffe0, s0
	v_mov_b32_e32 v37, v41
	v_cndmask_b32_e32 v36, v40, v36, vcc_lo
	v_mad_u64_u32 v[41:42], null, 0xf534ddc0, v17, v[37:38]
	v_mov_b32_e32 v37, v42
	v_cndmask_b32_e32 v39, v41, v39, vcc_lo
	v_mad_u64_u32 v[42:43], null, 0xfc2757d1, v17, v[37:38]
	v_cndmask_b32_e64 v36, v39, v36, s0
	v_mov_b32_e32 v37, v43
	v_mad_u64_u32 v[43:44], null, 0x4e441529, v17, v[37:38]
	v_mov_b32_e32 v37, v44
	v_add_nc_u32_e32 v44, v46, v45
	v_cndmask_b32_e32 v45, v43, v41, vcc_lo
	v_mad_u64_u32 v[37:38], null, 0xa2f9836e, v17, v[37:38]
	v_cmp_lt_u32_e64 s1, 31, v44
	v_cndmask_b32_e64 v17, 0, 0xffffffe0, s1
	v_cndmask_b32_e32 v37, v37, v42, vcc_lo
	v_cndmask_b32_e32 v38, v38, v43, vcc_lo
	;; [unrolled: 1-line block ×3, first 2 shown]
	v_add_nc_u32_e32 v17, v17, v44
	v_cndmask_b32_e64 v41, v37, v45, s0
	v_cndmask_b32_e64 v37, v38, v37, s0
	;; [unrolled: 1-line block ×4, first 2 shown]
	v_sub_nc_u32_e32 v43, 32, v17
	v_cmp_eq_u32_e32 vcc_lo, 0, v17
	v_cndmask_b32_e64 v37, v37, v41, s1
	v_cndmask_b32_e64 v41, v41, v38, s1
	;; [unrolled: 1-line block ×4, first 2 shown]
	v_alignbit_b32 v44, v37, v41, v43
	v_alignbit_b32 v40, v41, v38, v43
	v_alignbit_b32 v42, v38, v36, v43
	v_cndmask_b32_e32 v17, v44, v37, vcc_lo
	v_cndmask_b32_e32 v37, v40, v41, vcc_lo
	;; [unrolled: 1-line block ×3, first 2 shown]
	v_bfe_u32 v39, v17, 29, 1
	v_alignbit_b32 v40, v17, v37, 30
	v_alignbit_b32 v37, v37, v38, 30
	;; [unrolled: 1-line block ×3, first 2 shown]
	v_sub_nc_u32_e32 v41, 0, v39
	v_xor_b32_e32 v40, v40, v41
	v_xor_b32_e32 v37, v37, v41
	;; [unrolled: 1-line block ×3, first 2 shown]
	v_lshrrev_b32_e32 v41, 29, v17
	v_lshrrev_b32_e32 v17, 30, v17
	v_ffbh_u32_e32 v42, v40
	v_add_nc_u32_e32 v39, v39, v17
	v_min_u32_e32 v42, 32, v42
	v_sub_nc_u32_e32 v38, 31, v42
	v_lshlrev_b32_e32 v43, 23, v42
	v_alignbit_b32 v40, v40, v37, v38
	v_alignbit_b32 v36, v37, v36, v38
	v_lshlrev_b32_e32 v37, 31, v41
	v_alignbit_b32 v38, v40, v36, 9
	v_or_b32_e32 v41, 0.5, v37
	v_lshrrev_b32_e32 v40, 9, v40
	v_or_b32_e32 v37, 0x33000000, v37
	v_ffbh_u32_e32 v44, v38
	v_sub_nc_u32_e32 v41, v41, v43
	v_min_u32_e32 v43, 32, v44
	v_or_b32_e32 v40, v40, v41
	v_not_b32_e32 v41, v43
	v_mul_f32_e32 v44, 0x3fc90fda, v40
	v_add_lshl_u32 v42, v43, v42, 23
	v_alignbit_b32 v36, v38, v36, v41
	v_fma_f32 v38, 0x3fc90fda, v40, -v44
	v_sub_nc_u32_e32 v37, v37, v42
	v_lshrrev_b32_e32 v36, 9, v36
	v_fmamk_f32 v38, v40, 0x33a22168, v38
	v_or_b32_e32 v36, v37, v36
	v_fmac_f32_e32 v38, 0x3fc90fda, v36
	v_add_f32_e32 v38, v44, v38
.LBB23_154:
	s_andn2_saveexec_b32 s0, s2
; %bb.155:
	v_mul_f32_e64 v17, 0x3f22f983, |v34|
	v_rndne_f32_e32 v17, v17
	v_fma_f32 v36, 0xbfc90fda, v17, |v34|
	v_cvt_i32_f32_e32 v39, v17
	v_fmamk_f32 v36, v17, 0xb3a22168, v36
	v_fmamk_f32 v38, v17, 0xa7c234c4, v36
; %bb.156:
	s_or_b32 exec_lo, exec_lo, s0
	global_load_ushort v17, v18, s[6:7]
                                        ; implicit-def: $vgpr37
                                        ; implicit-def: $vgpr36
	s_mov_b32 s1, exec_lo
	s_waitcnt vmcnt(0)
	v_cvt_f32_f16_e32 v17, v17
	v_and_b32_e32 v18, 0x7fffffff, v17
	v_cmpx_ngt_f32_e64 0x48000000, |v17|
	s_xor_b32 s2, exec_lo, s1
	s_cbranch_execz .LBB23_158
; %bb.157:
	s_mov_b32 s0, 0x7fffff
	v_mov_b32_e32 v41, 0
	v_and_or_b32 v48, v18, s0, 0x800000
	v_mad_u64_u32 v[36:37], null, 0xfe5163ab, v48, 0
	v_mov_b32_e32 v40, v37
	v_lshrrev_b32_e32 v37, 23, v18
	v_mad_u64_u32 v[42:43], null, 0x3c439041, v48, v[40:41]
	v_add_nc_u32_e32 v37, 0xffffff88, v37
	v_cmp_lt_u32_e32 vcc_lo, 63, v37
	v_mov_b32_e32 v40, v43
	v_cndmask_b32_e64 v47, 0, 0xffffffc0, vcc_lo
	v_mad_u64_u32 v[43:44], null, 0xdb629599, v48, v[40:41]
	v_add_nc_u32_e32 v37, v47, v37
	v_mov_b32_e32 v40, v44
	v_cmp_lt_u32_e64 s0, 31, v37
	v_cndmask_b32_e32 v36, v43, v36, vcc_lo
	v_mad_u64_u32 v[44:45], null, 0xf534ddc0, v48, v[40:41]
	v_cndmask_b32_e64 v49, 0, 0xffffffe0, s0
	v_add_nc_u32_e32 v37, v49, v37
	v_mov_b32_e32 v40, v45
	v_cndmask_b32_e32 v42, v44, v42, vcc_lo
	v_cmp_lt_u32_e64 s1, 31, v37
	v_mad_u64_u32 v[45:46], null, 0xfc2757d1, v48, v[40:41]
	v_cndmask_b32_e64 v36, v42, v36, s0
	v_mov_b32_e32 v40, v46
	v_mad_u64_u32 v[46:47], null, 0x4e441529, v48, v[40:41]
	v_mov_b32_e32 v40, v47
	v_cndmask_b32_e64 v47, 0, 0xffffffe0, s1
	v_mad_u64_u32 v[40:41], null, 0xa2f9836e, v48, v[40:41]
	v_cndmask_b32_e32 v48, v46, v44, vcc_lo
	v_add_nc_u32_e32 v37, v47, v37
	v_cndmask_b32_e32 v40, v40, v45, vcc_lo
	v_cndmask_b32_e32 v41, v41, v46, vcc_lo
	;; [unrolled: 1-line block ×3, first 2 shown]
	v_sub_nc_u32_e32 v46, 32, v37
	v_cmp_eq_u32_e32 vcc_lo, 0, v37
	v_cndmask_b32_e64 v44, v40, v48, s0
	v_cndmask_b32_e64 v40, v41, v40, s0
	;; [unrolled: 1-line block ×8, first 2 shown]
	v_alignbit_b32 v47, v40, v44, v46
	v_alignbit_b32 v43, v44, v41, v46
	;; [unrolled: 1-line block ×3, first 2 shown]
	v_cndmask_b32_e32 v37, v47, v40, vcc_lo
	v_cndmask_b32_e32 v40, v43, v44, vcc_lo
	;; [unrolled: 1-line block ×3, first 2 shown]
	v_bfe_u32 v42, v37, 29, 1
	v_alignbit_b32 v43, v37, v40, 30
	v_alignbit_b32 v40, v40, v41, 30
	;; [unrolled: 1-line block ×3, first 2 shown]
	v_sub_nc_u32_e32 v44, 0, v42
	v_xor_b32_e32 v43, v43, v44
	v_xor_b32_e32 v40, v40, v44
	v_xor_b32_e32 v36, v36, v44
	v_lshrrev_b32_e32 v44, 29, v37
	v_lshrrev_b32_e32 v37, 30, v37
	v_ffbh_u32_e32 v45, v43
	v_add_nc_u32_e32 v37, v42, v37
	v_min_u32_e32 v45, 32, v45
	v_sub_nc_u32_e32 v41, 31, v45
	v_lshlrev_b32_e32 v46, 23, v45
	v_alignbit_b32 v43, v43, v40, v41
	v_alignbit_b32 v36, v40, v36, v41
	v_lshlrev_b32_e32 v40, 31, v44
	v_alignbit_b32 v41, v43, v36, 9
	v_or_b32_e32 v44, 0.5, v40
	v_lshrrev_b32_e32 v43, 9, v43
	v_or_b32_e32 v40, 0x33000000, v40
	v_ffbh_u32_e32 v47, v41
	v_sub_nc_u32_e32 v44, v44, v46
	v_min_u32_e32 v46, 32, v47
	v_or_b32_e32 v43, v43, v44
	v_not_b32_e32 v44, v46
	v_mul_f32_e32 v47, 0x3fc90fda, v43
	v_add_lshl_u32 v45, v46, v45, 23
	v_alignbit_b32 v36, v41, v36, v44
	v_fma_f32 v41, 0x3fc90fda, v43, -v47
	v_sub_nc_u32_e32 v40, v40, v45
	v_lshrrev_b32_e32 v36, 9, v36
	v_fmamk_f32 v41, v43, 0x33a22168, v41
	v_or_b32_e32 v36, v40, v36
	v_fmac_f32_e32 v41, 0x3fc90fda, v36
	v_add_f32_e32 v36, v47, v41
.LBB23_158:
	s_andn2_saveexec_b32 s0, s2
; %bb.159:
	v_mul_f32_e64 v36, 0x3f22f983, |v17|
	v_rndne_f32_e32 v37, v36
	v_fma_f32 v36, 0xbfc90fda, v37, |v17|
	v_fmamk_f32 v36, v37, 0xb3a22168, v36
	v_fmamk_f32 v36, v37, 0xa7c234c4, v36
	v_cvt_i32_f32_e32 v37, v37
; %bb.160:
	s_or_b32 exec_lo, exec_lo, s0
	v_mul_f32_e32 v40, v38, v38
	s_mov_b32 s0, 0xb94c1982
	s_mov_b32 s1, 0x37d75334
	v_and_b32_e32 v43, 1, v39
	v_mul_f32_e32 v44, v32, v32
	v_fmaak_f32 v41, s0, v40, 0x3c0881c4
	v_fmaak_f32 v42, s1, v40, 0xbab64f3b
	v_lshlrev_b32_e32 v39, 30, v39
	v_cmp_eq_u32_e32 vcc_lo, 0, v43
	v_fmaak_f32 v46, s0, v44, 0x3c0881c4
	v_fmaak_f32 v41, v40, v41, 0xbe2aaa9d
	;; [unrolled: 1-line block ×4, first 2 shown]
	v_xor_b32_e32 v35, v35, v34
	v_mul_f32_e32 v48, v29, v29
	v_mul_f32_e32 v41, v40, v41
	v_fmaak_f32 v42, v40, v42, 0xbf000004
	v_and_b32_e32 v39, 0x80000000, v39
	v_and_b32_e32 v45, 1, v33
	v_lshlrev_b32_e32 v33, 30, v33
	v_fmac_f32_e32 v38, v38, v41
	v_fma_f32 v40, v40, v42, 1.0
	v_fmaak_f32 v41, v44, v46, 0xbe2aaa9d
	v_fmaak_f32 v42, v44, v47, 0x3d2aabf7
	;; [unrolled: 1-line block ×3, first 2 shown]
	v_and_b32_e32 v33, 0x80000000, v33
	v_cndmask_b32_e32 v38, v40, v38, vcc_lo
	v_mul_f32_e32 v40, v44, v41
	v_fmaak_f32 v41, v44, v42, 0xbf000004
	v_fmaak_f32 v42, s0, v48, 0x3c0881c4
	v_cmp_class_f32_e64 vcc_lo, v34, 0x1f8
	v_xor3_b32 v35, v35, v39, v38
	v_fmac_f32_e32 v32, v32, v40
	v_fma_f32 v38, v44, v41, 1.0
	v_fmaak_f32 v39, v48, v42, 0xbe2aaa9d
	v_xor_b32_e32 v31, v31, v16
	v_cndmask_b32_e32 v34, 0x7fc00000, v35, vcc_lo
	v_cmp_eq_u32_e32 vcc_lo, 0, v45
	v_fmaak_f32 v35, v48, v43, 0x3d2aabf7
	v_xor_b32_e32 v28, v28, v15
	v_xor_b32_e32 v25, v25, v14
	v_xor_b32_e32 v19, v19, v10
	v_cndmask_b32_e32 v32, v38, v32, vcc_lo
	v_mul_f32_e32 v38, v48, v39
	v_mul_f32_e32 v39, v26, v26
	v_xor_b32_e32 v7, v7, v6
	v_xor_b32_e32 v22, v22, v11
	v_xor3_b32 v31, v31, v33, v32
	v_fmaak_f32 v32, v48, v35, 0xbf000004
	v_fmac_f32_e32 v29, v29, v38
	v_and_b32_e32 v38, 1, v30
	v_fmaak_f32 v33, s0, v39, 0x3c0881c4
	v_fmaak_f32 v35, s1, v39, 0xbab64f3b
	v_fma_f32 v32, v48, v32, 1.0
	v_lshlrev_b32_e32 v30, 30, v30
	v_cmp_eq_u32_e32 vcc_lo, 0, v38
	v_fmaak_f32 v33, v39, v33, 0xbe2aaa9d
	v_fmaak_f32 v35, v39, v35, 0x3d2aabf7
	v_xor_b32_e32 v18, v18, v17
	v_and_b32_e32 v30, 0x80000000, v30
	v_cndmask_b32_e32 v29, v32, v29, vcc_lo
	v_cmp_class_f32_e64 vcc_lo, v16, 0x1f8
	v_mul_f32_e32 v32, v39, v33
	v_fmaak_f32 v33, v39, v35, 0xbf000004
	v_cvt_f16_f32_e32 v34, v34
	v_xor3_b32 v28, v28, v30, v29
	v_cndmask_b32_e32 v16, 0x7fc00000, v31, vcc_lo
	v_and_b32_e32 v31, 1, v27
	v_cmp_class_f32_e64 vcc_lo, v15, 0x1f8
	v_fmac_f32_e32 v26, v26, v32
	v_fma_f32 v29, v39, v33, 1.0
	v_mul_f32_e32 v30, v23, v23
	v_lshlrev_b32_e32 v27, 30, v27
	v_cndmask_b32_e32 v15, 0x7fc00000, v28, vcc_lo
	v_cmp_eq_u32_e32 vcc_lo, 0, v31
	v_cvt_f16_f32_e32 v16, v16
	v_fmaak_f32 v28, s0, v30, 0x3c0881c4
	v_and_b32_e32 v27, 0x80000000, v27
	v_cvt_f16_f32_e32 v15, v15
	v_cndmask_b32_e32 v26, v29, v26, vcc_lo
	v_fmaak_f32 v29, s1, v30, 0xbab64f3b
	v_fmaak_f32 v28, v30, v28, 0xbe2aaa9d
	v_cmp_class_f32_e64 vcc_lo, v14, 0x1f8
	v_xor3_b32 v25, v25, v27, v26
	v_fmaak_f32 v26, v30, v29, 0x3d2aabf7
	v_mul_f32_e32 v27, v30, v28
	v_mul_f32_e32 v28, v20, v20
	v_and_b32_e32 v29, 1, v24
	v_cndmask_b32_e32 v14, 0x7fc00000, v25, vcc_lo
	v_fmaak_f32 v25, v30, v26, 0xbf000004
	v_fmac_f32_e32 v23, v23, v27
	v_fmaak_f32 v26, s0, v28, 0x3c0881c4
	v_fmaak_f32 v27, s1, v28, 0xbab64f3b
	v_cmp_eq_u32_e32 vcc_lo, 0, v29
	v_fma_f32 v25, v30, v25, 1.0
	v_mul_f32_e32 v30, v36, v36
	v_fmaak_f32 v26, v28, v26, 0xbe2aaa9d
	v_fmaak_f32 v27, v28, v27, 0x3d2aabf7
	v_lshlrev_b32_e32 v24, 30, v24
	v_cndmask_b32_e32 v23, v25, v23, vcc_lo
	v_mul_f32_e32 v25, v9, v9
	v_mul_f32_e32 v26, v28, v26
	v_fmaak_f32 v27, v28, v27, 0xbf000004
	v_and_b32_e32 v24, 0x80000000, v24
	v_fmaak_f32 v29, s0, v25, 0x3c0881c4
	v_fmac_f32_e32 v20, v20, v26
	v_fma_f32 v26, v28, v27, 1.0
	v_and_b32_e32 v27, 1, v21
	v_lshlrev_b32_e32 v21, 30, v21
	v_fmaak_f32 v28, v25, v29, 0xbe2aaa9d
	v_fmaak_f32 v29, s1, v25, 0xbab64f3b
	v_xor3_b32 v22, v22, v24, v23
	v_cmp_eq_u32_e32 vcc_lo, 0, v27
	v_and_b32_e32 v21, 0x80000000, v21
	v_mul_f32_e32 v27, v25, v28
	v_fmaak_f32 v28, s0, v30, 0x3c0881c4
	v_cndmask_b32_e32 v20, v26, v20, vcc_lo
	v_fmaak_f32 v26, v25, v29, 0x3d2aabf7
	v_fmaak_f32 v29, s1, v30, 0xbab64f3b
	v_fmac_f32_e32 v9, v9, v27
	v_fmaak_f32 v27, v30, v28, 0xbe2aaa9d
	v_xor3_b32 v19, v19, v21, v20
	v_fmaak_f32 v26, v25, v26, 0xbf000004
	v_fmaak_f32 v28, v30, v29, 0x3d2aabf7
	v_and_b32_e32 v29, 1, v13
	v_mul_f32_e32 v20, v30, v27
	v_lshlrev_b32_e32 v13, 30, v13
	v_fma_f32 v25, v25, v26, 1.0
	v_fmaak_f32 v21, v30, v28, 0xbf000004
	v_cmp_eq_u32_e32 vcc_lo, 0, v29
	v_fmac_f32_e32 v36, v36, v20
	v_and_b32_e32 v20, 1, v37
	v_and_b32_e32 v13, 0x80000000, v13
	v_fma_f32 v21, v30, v21, 1.0
	v_cndmask_b32_e32 v9, v25, v9, vcc_lo
	v_lshlrev_b32_e32 v25, 30, v37
	v_cmp_eq_u32_e32 vcc_lo, 0, v20
	v_xor3_b32 v7, v7, v13, v9
	v_cndmask_b32_e32 v20, v21, v36, vcc_lo
	v_cmp_class_f32_e64 vcc_lo, v10, 0x1f8
	v_and_b32_e32 v21, 0x80000000, v25
	v_cndmask_b32_e32 v9, 0x7fc00000, v19, vcc_lo
	v_cmp_class_f32_e64 vcc_lo, v6, 0x1f8
	v_xor3_b32 v10, v18, v21, v20
	v_cvt_f16_f32_e32 v9, v9
	v_cndmask_b32_e32 v6, 0x7fc00000, v7, vcc_lo
	v_cmp_class_f32_e64 vcc_lo, v11, 0x1f8
	v_cvt_f16_f32_e32 v11, v14
	v_cvt_f16_f32_e32 v6, v6
	v_cndmask_b32_e32 v7, 0x7fc00000, v22, vcc_lo
	v_cmp_class_f32_e64 vcc_lo, v17, 0x1f8
	v_cvt_f16_f32_e32 v7, v7
	v_cndmask_b32_e32 v10, 0x7fc00000, v10, vcc_lo
	v_cvt_f16_f32_e32 v10, v10
	global_store_short v0, v6, s[4:5]
	global_store_short v1, v9, s[4:5]
	;; [unrolled: 1-line block ×8, first 2 shown]
	s_endpgm
.LBB23_161:
	v_mov_b32_e32 v0, 0
	v_mov_b32_e32 v2, 0
	s_branch .LBB23_167
.LBB23_162:
	v_mov_b32_e32 v0, 0
	v_mov_b32_e32 v2, 0
	s_branch .LBB23_187
.LBB23_163:
	v_mov_b32_e32 v0, 0
	v_mov_b32_e32 v2, 0
	;; [unrolled: 1-line block ×3, first 2 shown]
	s_mov_b32 s31, 0
.LBB23_164:
	s_and_b32 s33, s33, 3
	s_cmp_eq_u32 s33, 0
	s_cbranch_scc1 .LBB23_167
; %bb.165:
	s_lshl_b32 s0, s31, 3
	s_mul_i32 s20, s31, 12
	s_add_u32 s0, s2, s0
	s_addc_u32 s1, s3, 0
	s_add_u32 s0, s0, 0xc4
	s_addc_u32 s1, s1, 0
	;; [unrolled: 2-line block ×3, first 2 shown]
	.p2align	6
.LBB23_166:                             ; =>This Inner Loop Header: Depth=1
	s_clause 0x1
	s_load_dwordx2 s[34:35], s[20:21], 0x4
	s_load_dword s31, s[20:21], 0xc
	s_load_dwordx2 s[36:37], s[0:1], 0x0
	s_add_u32 s20, s20, 12
	s_addc_u32 s21, s21, 0
	s_add_u32 s0, s0, 8
	s_addc_u32 s1, s1, 0
	s_add_i32 s33, s33, -1
	s_cmp_lg_u32 s33, 0
	s_waitcnt lgkmcnt(0)
	v_mul_hi_u32 v3, s35, v1
	v_add_nc_u32_e32 v3, v1, v3
	v_lshrrev_b32_e32 v4, s31, v3
	v_mul_lo_u32 v3, v4, s34
	v_sub_nc_u32_e32 v3, v1, v3
	v_mad_u64_u32 v[0:1], null, v3, s36, v[0:1]
	v_mad_u64_u32 v[2:3], null, v3, s37, v[2:3]
	v_mov_b32_e32 v1, v4
	s_cbranch_scc1 .LBB23_166
.LBB23_167:
	s_cbranch_execnz .LBB23_170
.LBB23_168:
	s_waitcnt lgkmcnt(0)
	v_mul_hi_u32 v0, s13, v9
	s_andn2_b32 vcc_lo, exec_lo, s26
	v_add_nc_u32_e32 v0, v9, v0
	v_lshrrev_b32_e32 v1, s14, v0
	v_mul_lo_u32 v0, v1, s12
	v_sub_nc_u32_e32 v2, v9, v0
	v_mul_lo_u32 v0, v2, s8
	v_mul_lo_u32 v2, v2, s9
	s_cbranch_vccnz .LBB23_170
; %bb.169:
	v_mul_hi_u32 v3, s16, v1
	v_add_nc_u32_e32 v3, v1, v3
	v_lshrrev_b32_e32 v3, s17, v3
	v_mul_lo_u32 v3, v3, s15
	v_sub_nc_u32_e32 v3, v1, v3
	v_mad_u64_u32 v[0:1], null, v3, s10, v[0:1]
	v_mad_u64_u32 v[2:3], null, v3, s11, v[2:3]
.LBB23_170:
	s_waitcnt lgkmcnt(0)
	global_load_ushort v1, v2, s[6:7]
                                        ; implicit-def: $vgpr4
                                        ; implicit-def: $vgpr3
	s_mov_b32 s1, exec_lo
	s_waitcnt vmcnt(0)
	v_cvt_f32_f16_e32 v1, v1
	v_and_b32_e32 v2, 0x7fffffff, v1
	v_cmpx_ngt_f32_e64 0x48000000, |v1|
	s_xor_b32 s20, exec_lo, s1
	s_cbranch_execz .LBB23_172
; %bb.171:
	s_mov_b32 s0, 0x7fffff
	v_mov_b32_e32 v5, 0
	v_and_or_b32 v14, v2, s0, 0x800000
	v_mad_u64_u32 v[3:4], null, 0xfe5163ab, v14, 0
	v_mad_u64_u32 v[6:7], null, 0x3c439041, v14, v[4:5]
	v_mov_b32_e32 v4, v7
	v_mad_u64_u32 v[7:8], null, 0xdb629599, v14, v[4:5]
	v_mov_b32_e32 v4, v8
	v_lshrrev_b32_e32 v8, 23, v2
	v_mad_u64_u32 v[10:11], null, 0xf534ddc0, v14, v[4:5]
	v_add_nc_u32_e32 v8, 0xffffff88, v8
	v_cmp_lt_u32_e32 vcc_lo, 63, v8
	v_mov_b32_e32 v4, v11
	v_cndmask_b32_e64 v13, 0, 0xffffffc0, vcc_lo
	v_mad_u64_u32 v[11:12], null, 0xfc2757d1, v14, v[4:5]
	v_cndmask_b32_e32 v6, v10, v6, vcc_lo
	v_cndmask_b32_e32 v3, v7, v3, vcc_lo
	v_add_nc_u32_e32 v8, v13, v8
	v_mov_b32_e32 v4, v12
	v_cmp_lt_u32_e64 s0, 31, v8
	v_mad_u64_u32 v[12:13], null, 0x4e441529, v14, v[4:5]
	v_cndmask_b32_e64 v15, 0, 0xffffffe0, s0
	v_cndmask_b32_e64 v3, v6, v3, s0
	v_add_nc_u32_e32 v8, v15, v8
	v_mov_b32_e32 v4, v13
	v_cmp_lt_u32_e64 s1, 31, v8
	v_mad_u64_u32 v[4:5], null, 0xa2f9836e, v14, v[4:5]
	v_cndmask_b32_e32 v14, v12, v10, vcc_lo
	v_cndmask_b32_e64 v13, 0, 0xffffffe0, s1
	v_cndmask_b32_e32 v4, v4, v11, vcc_lo
	v_cndmask_b32_e32 v5, v5, v12, vcc_lo
	;; [unrolled: 1-line block ×3, first 2 shown]
	v_add_nc_u32_e32 v8, v13, v8
	v_cndmask_b32_e64 v10, v4, v14, s0
	v_cndmask_b32_e64 v4, v5, v4, s0
	v_cndmask_b32_e64 v5, v14, v11, s0
	v_sub_nc_u32_e32 v12, 32, v8
	v_cndmask_b32_e64 v11, v11, v6, s0
	v_cmp_eq_u32_e32 vcc_lo, 0, v8
	v_cndmask_b32_e64 v4, v4, v10, s1
	v_cndmask_b32_e64 v10, v10, v5, s1
	;; [unrolled: 1-line block ×4, first 2 shown]
	v_alignbit_b32 v13, v4, v10, v12
	v_alignbit_b32 v7, v10, v5, v12
	;; [unrolled: 1-line block ×3, first 2 shown]
	v_cndmask_b32_e32 v4, v13, v4, vcc_lo
	v_cndmask_b32_e32 v6, v7, v10, vcc_lo
	;; [unrolled: 1-line block ×3, first 2 shown]
	v_bfe_u32 v7, v4, 29, 1
	v_alignbit_b32 v8, v4, v6, 30
	v_alignbit_b32 v6, v6, v5, 30
	;; [unrolled: 1-line block ×3, first 2 shown]
	v_sub_nc_u32_e32 v10, 0, v7
	v_xor_b32_e32 v8, v8, v10
	v_xor_b32_e32 v5, v6, v10
	;; [unrolled: 1-line block ×3, first 2 shown]
	v_lshrrev_b32_e32 v10, 29, v4
	v_lshrrev_b32_e32 v4, 30, v4
	v_ffbh_u32_e32 v11, v8
	v_add_nc_u32_e32 v4, v7, v4
	v_min_u32_e32 v11, 32, v11
	v_sub_nc_u32_e32 v6, 31, v11
	v_lshlrev_b32_e32 v12, 23, v11
	v_alignbit_b32 v8, v8, v5, v6
	v_alignbit_b32 v3, v5, v3, v6
	v_lshlrev_b32_e32 v5, 31, v10
	v_alignbit_b32 v6, v8, v3, 9
	v_or_b32_e32 v10, 0.5, v5
	v_lshrrev_b32_e32 v8, 9, v8
	v_or_b32_e32 v5, 0x33000000, v5
	v_ffbh_u32_e32 v13, v6
	v_sub_nc_u32_e32 v10, v10, v12
	v_min_u32_e32 v12, 32, v13
	v_or_b32_e32 v8, v8, v10
	v_not_b32_e32 v10, v12
	v_mul_f32_e32 v13, 0x3fc90fda, v8
	v_add_lshl_u32 v11, v12, v11, 23
	v_alignbit_b32 v3, v6, v3, v10
	v_fma_f32 v6, 0x3fc90fda, v8, -v13
	v_sub_nc_u32_e32 v5, v5, v11
	v_lshrrev_b32_e32 v3, 9, v3
	v_fmamk_f32 v6, v8, 0x33a22168, v6
	v_or_b32_e32 v3, v5, v3
	v_fmac_f32_e32 v6, 0x3fc90fda, v3
	v_add_f32_e32 v3, v13, v6
.LBB23_172:
	s_andn2_saveexec_b32 s0, s20
; %bb.173:
	v_mul_f32_e64 v3, 0x3f22f983, |v1|
	v_rndne_f32_e32 v4, v3
	v_fma_f32 v3, 0xbfc90fda, v4, |v1|
	v_fmamk_f32 v3, v4, 0xb3a22168, v3
	v_fmamk_f32 v3, v4, 0xa7c234c4, v3
	v_cvt_i32_f32_e32 v4, v4
; %bb.174:
	s_or_b32 exec_lo, exec_lo, s0
	v_mul_f32_e32 v5, v3, v3
	s_mov_b32 s0, 0xb94c1982
	s_mov_b32 s1, 0x37d75334
	v_and_b32_e32 v8, 1, v4
	v_lshlrev_b32_e32 v4, 30, v4
	v_fmaak_f32 v6, s0, v5, 0x3c0881c4
	v_fmaak_f32 v7, s1, v5, 0xbab64f3b
	v_xor_b32_e32 v2, v2, v1
	v_cmp_eq_u32_e32 vcc_lo, 0, v8
	v_and_b32_e32 v4, 0x80000000, v4
	v_fmaak_f32 v6, v5, v6, 0xbe2aaa9d
	v_fmaak_f32 v7, v5, v7, 0x3d2aabf7
	v_add_nc_u32_e32 v9, 0x80, v9
	v_mul_f32_e32 v6, v5, v6
	v_fmaak_f32 v7, v5, v7, 0xbf000004
	v_fmac_f32_e32 v3, v3, v6
	v_fma_f32 v5, v5, v7, 1.0
	v_cndmask_b32_e32 v3, v5, v3, vcc_lo
	v_cmp_class_f32_e64 vcc_lo, v1, 0x1f8
	v_xor3_b32 v2, v2, v4, v3
	v_cndmask_b32_e32 v1, 0x7fc00000, v2, vcc_lo
	v_cvt_f16_f32_e32 v1, v1
	global_store_short v0, v1, s[4:5]
	s_or_b32 exec_lo, exec_lo, s30
	s_mov_b32 s30, exec_lo
	v_cmpx_gt_i32_e64 s27, v9
	s_cbranch_execnz .LBB23_15
.LBB23_175:
	s_or_b32 exec_lo, exec_lo, s30
	s_mov_b32 s30, exec_lo
	v_cmpx_gt_i32_e64 s27, v9
	s_cbranch_execz .LBB23_195
.LBB23_176:
	s_andn2_b32 vcc_lo, exec_lo, s24
	s_cbranch_vccnz .LBB23_181
; %bb.177:
	s_andn2_b32 vcc_lo, exec_lo, s29
	s_cbranch_vccnz .LBB23_182
; %bb.178:
	s_add_i32 s33, s28, 1
	s_cmp_eq_u32 s23, 2
	s_cbranch_scc1 .LBB23_203
; %bb.179:
	v_mov_b32_e32 v2, 0
	v_mov_b32_e32 v0, 0
	;; [unrolled: 1-line block ×3, first 2 shown]
	s_and_b32 s31, s33, 28
	s_mov_b32 s34, 0
	s_mov_b64 s[0:1], s[2:3]
	s_mov_b64 s[20:21], s[18:19]
.LBB23_180:                             ; =>This Inner Loop Header: Depth=1
	s_clause 0x1
	s_load_dwordx8 s[36:43], s[0:1], 0x4
	s_load_dwordx4 s[52:55], s[0:1], 0x24
	s_load_dwordx8 s[44:51], s[20:21], 0x0
	s_add_u32 s0, s0, 48
	s_addc_u32 s1, s1, 0
	s_add_i32 s34, s34, 4
	s_add_u32 s20, s20, 32
	s_addc_u32 s21, s21, 0
	s_cmp_eq_u32 s31, s34
	s_waitcnt lgkmcnt(0)
	v_mul_hi_u32 v3, s37, v1
	v_add_nc_u32_e32 v3, v1, v3
	v_lshrrev_b32_e32 v3, s38, v3
	v_mul_hi_u32 v4, s40, v3
	v_mul_lo_u32 v6, v3, s36
	v_add_nc_u32_e32 v4, v3, v4
	v_sub_nc_u32_e32 v1, v1, v6
	v_lshrrev_b32_e32 v4, s41, v4
	v_mul_lo_u32 v6, v1, s44
	v_mul_lo_u32 v8, v1, s45
	v_mul_hi_u32 v5, s43, v4
	v_add_nc_u32_e32 v5, v4, v5
	v_lshrrev_b32_e32 v5, s52, v5
	v_mul_hi_u32 v7, s54, v5
	v_mul_lo_u32 v10, v5, s42
	v_add_nc_u32_e32 v1, v5, v7
	v_mul_lo_u32 v7, v4, s39
	v_sub_nc_u32_e32 v4, v4, v10
	v_lshrrev_b32_e32 v1, s55, v1
	v_mul_lo_u32 v10, v4, s48
	v_mul_lo_u32 v4, v4, s49
	v_sub_nc_u32_e32 v3, v3, v7
	v_mul_lo_u32 v11, v1, s53
	v_mul_lo_u32 v7, v3, s46
	;; [unrolled: 1-line block ×3, first 2 shown]
	v_sub_nc_u32_e32 v5, v5, v11
	v_add3_u32 v0, v6, v0, v7
	v_mul_lo_u32 v11, v5, s50
	v_mul_lo_u32 v5, v5, s51
	v_add3_u32 v2, v8, v2, v3
	v_add3_u32 v0, v10, v0, v11
	;; [unrolled: 1-line block ×3, first 2 shown]
	s_cbranch_scc0 .LBB23_180
	s_branch .LBB23_204
.LBB23_181:
                                        ; implicit-def: $vgpr0
                                        ; implicit-def: $vgpr2
	s_branch .LBB23_208
.LBB23_182:
	v_mov_b32_e32 v0, 0
	v_mov_b32_e32 v2, 0
	s_branch .LBB23_207
.LBB23_183:
	v_mov_b32_e32 v0, 0
	v_mov_b32_e32 v2, 0
	v_mov_b32_e32 v1, v9
	s_mov_b32 s31, 0
.LBB23_184:
	s_and_b32 s33, s33, 3
	s_cmp_eq_u32 s33, 0
	s_cbranch_scc1 .LBB23_187
; %bb.185:
	s_lshl_b32 s0, s31, 3
	s_mul_i32 s20, s31, 12
	s_add_u32 s0, s2, s0
	s_addc_u32 s1, s3, 0
	s_add_u32 s0, s0, 0xc4
	s_addc_u32 s1, s1, 0
	;; [unrolled: 2-line block ×3, first 2 shown]
	.p2align	6
.LBB23_186:                             ; =>This Inner Loop Header: Depth=1
	s_clause 0x1
	s_load_dwordx2 s[34:35], s[20:21], 0x4
	s_load_dword s31, s[20:21], 0xc
	s_load_dwordx2 s[36:37], s[0:1], 0x0
	s_add_u32 s20, s20, 12
	s_addc_u32 s21, s21, 0
	s_add_u32 s0, s0, 8
	s_addc_u32 s1, s1, 0
	s_add_i32 s33, s33, -1
	s_cmp_lg_u32 s33, 0
	s_waitcnt lgkmcnt(0)
	v_mul_hi_u32 v3, s35, v1
	v_add_nc_u32_e32 v3, v1, v3
	v_lshrrev_b32_e32 v4, s31, v3
	v_mul_lo_u32 v3, v4, s34
	v_sub_nc_u32_e32 v3, v1, v3
	v_mad_u64_u32 v[0:1], null, v3, s36, v[0:1]
	v_mad_u64_u32 v[2:3], null, v3, s37, v[2:3]
	v_mov_b32_e32 v1, v4
	s_cbranch_scc1 .LBB23_186
.LBB23_187:
	s_cbranch_execnz .LBB23_190
.LBB23_188:
	s_waitcnt lgkmcnt(0)
	v_mul_hi_u32 v0, s13, v9
	s_andn2_b32 vcc_lo, exec_lo, s26
	v_add_nc_u32_e32 v0, v9, v0
	v_lshrrev_b32_e32 v1, s14, v0
	v_mul_lo_u32 v0, v1, s12
	v_sub_nc_u32_e32 v2, v9, v0
	v_mul_lo_u32 v0, v2, s8
	v_mul_lo_u32 v2, v2, s9
	s_cbranch_vccnz .LBB23_190
; %bb.189:
	v_mul_hi_u32 v3, s16, v1
	v_add_nc_u32_e32 v3, v1, v3
	v_lshrrev_b32_e32 v3, s17, v3
	v_mul_lo_u32 v3, v3, s15
	v_sub_nc_u32_e32 v3, v1, v3
	v_mad_u64_u32 v[0:1], null, v3, s10, v[0:1]
	v_mad_u64_u32 v[2:3], null, v3, s11, v[2:3]
.LBB23_190:
	s_waitcnt lgkmcnt(0)
	global_load_ushort v1, v2, s[6:7]
                                        ; implicit-def: $vgpr4
                                        ; implicit-def: $vgpr3
	s_mov_b32 s1, exec_lo
	s_waitcnt vmcnt(0)
	v_cvt_f32_f16_e32 v1, v1
	v_and_b32_e32 v2, 0x7fffffff, v1
	v_cmpx_ngt_f32_e64 0x48000000, |v1|
	s_xor_b32 s20, exec_lo, s1
	s_cbranch_execz .LBB23_192
; %bb.191:
	s_mov_b32 s0, 0x7fffff
	v_mov_b32_e32 v5, 0
	v_and_or_b32 v14, v2, s0, 0x800000
	v_mad_u64_u32 v[3:4], null, 0xfe5163ab, v14, 0
	v_mad_u64_u32 v[6:7], null, 0x3c439041, v14, v[4:5]
	v_mov_b32_e32 v4, v7
	v_mad_u64_u32 v[7:8], null, 0xdb629599, v14, v[4:5]
	v_mov_b32_e32 v4, v8
	v_lshrrev_b32_e32 v8, 23, v2
	v_mad_u64_u32 v[10:11], null, 0xf534ddc0, v14, v[4:5]
	v_add_nc_u32_e32 v8, 0xffffff88, v8
	v_cmp_lt_u32_e32 vcc_lo, 63, v8
	v_mov_b32_e32 v4, v11
	v_cndmask_b32_e64 v13, 0, 0xffffffc0, vcc_lo
	v_mad_u64_u32 v[11:12], null, 0xfc2757d1, v14, v[4:5]
	v_cndmask_b32_e32 v6, v10, v6, vcc_lo
	v_cndmask_b32_e32 v3, v7, v3, vcc_lo
	v_add_nc_u32_e32 v8, v13, v8
	v_mov_b32_e32 v4, v12
	v_cmp_lt_u32_e64 s0, 31, v8
	v_mad_u64_u32 v[12:13], null, 0x4e441529, v14, v[4:5]
	v_cndmask_b32_e64 v15, 0, 0xffffffe0, s0
	v_cndmask_b32_e64 v3, v6, v3, s0
	v_add_nc_u32_e32 v8, v15, v8
	v_mov_b32_e32 v4, v13
	v_cmp_lt_u32_e64 s1, 31, v8
	v_mad_u64_u32 v[4:5], null, 0xa2f9836e, v14, v[4:5]
	v_cndmask_b32_e32 v14, v12, v10, vcc_lo
	v_cndmask_b32_e64 v13, 0, 0xffffffe0, s1
	v_cndmask_b32_e32 v4, v4, v11, vcc_lo
	v_cndmask_b32_e32 v5, v5, v12, vcc_lo
	;; [unrolled: 1-line block ×3, first 2 shown]
	v_add_nc_u32_e32 v8, v13, v8
	v_cndmask_b32_e64 v10, v4, v14, s0
	v_cndmask_b32_e64 v4, v5, v4, s0
	;; [unrolled: 1-line block ×3, first 2 shown]
	v_sub_nc_u32_e32 v12, 32, v8
	v_cndmask_b32_e64 v11, v11, v6, s0
	v_cmp_eq_u32_e32 vcc_lo, 0, v8
	v_cndmask_b32_e64 v4, v4, v10, s1
	v_cndmask_b32_e64 v10, v10, v5, s1
	;; [unrolled: 1-line block ×4, first 2 shown]
	v_alignbit_b32 v13, v4, v10, v12
	v_alignbit_b32 v7, v10, v5, v12
	;; [unrolled: 1-line block ×3, first 2 shown]
	v_cndmask_b32_e32 v4, v13, v4, vcc_lo
	v_cndmask_b32_e32 v6, v7, v10, vcc_lo
	;; [unrolled: 1-line block ×3, first 2 shown]
	v_bfe_u32 v7, v4, 29, 1
	v_alignbit_b32 v8, v4, v6, 30
	v_alignbit_b32 v6, v6, v5, 30
	;; [unrolled: 1-line block ×3, first 2 shown]
	v_sub_nc_u32_e32 v10, 0, v7
	v_xor_b32_e32 v8, v8, v10
	v_xor_b32_e32 v5, v6, v10
	;; [unrolled: 1-line block ×3, first 2 shown]
	v_lshrrev_b32_e32 v10, 29, v4
	v_lshrrev_b32_e32 v4, 30, v4
	v_ffbh_u32_e32 v11, v8
	v_add_nc_u32_e32 v4, v7, v4
	v_min_u32_e32 v11, 32, v11
	v_sub_nc_u32_e32 v6, 31, v11
	v_lshlrev_b32_e32 v12, 23, v11
	v_alignbit_b32 v8, v8, v5, v6
	v_alignbit_b32 v3, v5, v3, v6
	v_lshlrev_b32_e32 v5, 31, v10
	v_alignbit_b32 v6, v8, v3, 9
	v_or_b32_e32 v10, 0.5, v5
	v_lshrrev_b32_e32 v8, 9, v8
	v_or_b32_e32 v5, 0x33000000, v5
	v_ffbh_u32_e32 v13, v6
	v_sub_nc_u32_e32 v10, v10, v12
	v_min_u32_e32 v12, 32, v13
	v_or_b32_e32 v8, v8, v10
	v_not_b32_e32 v10, v12
	v_mul_f32_e32 v13, 0x3fc90fda, v8
	v_add_lshl_u32 v11, v12, v11, 23
	v_alignbit_b32 v3, v6, v3, v10
	v_fma_f32 v6, 0x3fc90fda, v8, -v13
	v_sub_nc_u32_e32 v5, v5, v11
	v_lshrrev_b32_e32 v3, 9, v3
	v_fmamk_f32 v6, v8, 0x33a22168, v6
	v_or_b32_e32 v3, v5, v3
	v_fmac_f32_e32 v6, 0x3fc90fda, v3
	v_add_f32_e32 v3, v13, v6
.LBB23_192:
	s_andn2_saveexec_b32 s0, s20
; %bb.193:
	v_mul_f32_e64 v3, 0x3f22f983, |v1|
	v_rndne_f32_e32 v4, v3
	v_fma_f32 v3, 0xbfc90fda, v4, |v1|
	v_fmamk_f32 v3, v4, 0xb3a22168, v3
	v_fmamk_f32 v3, v4, 0xa7c234c4, v3
	v_cvt_i32_f32_e32 v4, v4
; %bb.194:
	s_or_b32 exec_lo, exec_lo, s0
	v_mul_f32_e32 v5, v3, v3
	s_mov_b32 s0, 0xb94c1982
	s_mov_b32 s1, 0x37d75334
	v_and_b32_e32 v8, 1, v4
	v_lshlrev_b32_e32 v4, 30, v4
	v_fmaak_f32 v6, s0, v5, 0x3c0881c4
	v_fmaak_f32 v7, s1, v5, 0xbab64f3b
	v_xor_b32_e32 v2, v2, v1
	v_cmp_eq_u32_e32 vcc_lo, 0, v8
	v_and_b32_e32 v4, 0x80000000, v4
	v_fmaak_f32 v6, v5, v6, 0xbe2aaa9d
	v_fmaak_f32 v7, v5, v7, 0x3d2aabf7
	v_add_nc_u32_e32 v9, 0x80, v9
	v_mul_f32_e32 v6, v5, v6
	v_fmaak_f32 v7, v5, v7, 0xbf000004
	v_fmac_f32_e32 v3, v3, v6
	v_fma_f32 v5, v5, v7, 1.0
	v_cndmask_b32_e32 v3, v5, v3, vcc_lo
	v_cmp_class_f32_e64 vcc_lo, v1, 0x1f8
	v_xor3_b32 v2, v2, v4, v3
	v_cndmask_b32_e32 v1, 0x7fc00000, v2, vcc_lo
	v_cvt_f16_f32_e32 v1, v1
	global_store_short v0, v1, s[4:5]
	s_or_b32 exec_lo, exec_lo, s30
	s_mov_b32 s30, exec_lo
	v_cmpx_gt_i32_e64 s27, v9
	s_cbranch_execnz .LBB23_176
.LBB23_195:
	s_or_b32 exec_lo, exec_lo, s30
	s_mov_b32 s30, exec_lo
	v_cmpx_gt_i32_e64 s27, v9
	s_cbranch_execz .LBB23_215
.LBB23_196:
	s_andn2_b32 vcc_lo, exec_lo, s24
	s_cbranch_vccnz .LBB23_201
; %bb.197:
	s_andn2_b32 vcc_lo, exec_lo, s29
	s_cbranch_vccnz .LBB23_202
; %bb.198:
	s_add_i32 s33, s28, 1
	s_cmp_eq_u32 s23, 2
	s_cbranch_scc1 .LBB23_223
; %bb.199:
	v_mov_b32_e32 v2, 0
	v_mov_b32_e32 v0, 0
	v_mov_b32_e32 v1, v9
	s_and_b32 s31, s33, 28
	s_mov_b32 s34, 0
	s_mov_b64 s[0:1], s[2:3]
	s_mov_b64 s[20:21], s[18:19]
.LBB23_200:                             ; =>This Inner Loop Header: Depth=1
	s_clause 0x1
	s_load_dwordx8 s[36:43], s[0:1], 0x4
	s_load_dwordx4 s[52:55], s[0:1], 0x24
	s_load_dwordx8 s[44:51], s[20:21], 0x0
	s_add_u32 s0, s0, 48
	s_addc_u32 s1, s1, 0
	s_add_i32 s34, s34, 4
	s_add_u32 s20, s20, 32
	s_addc_u32 s21, s21, 0
	s_cmp_eq_u32 s31, s34
	s_waitcnt lgkmcnt(0)
	v_mul_hi_u32 v3, s37, v1
	v_add_nc_u32_e32 v3, v1, v3
	v_lshrrev_b32_e32 v3, s38, v3
	v_mul_hi_u32 v4, s40, v3
	v_mul_lo_u32 v6, v3, s36
	v_add_nc_u32_e32 v4, v3, v4
	v_sub_nc_u32_e32 v1, v1, v6
	v_lshrrev_b32_e32 v4, s41, v4
	v_mul_lo_u32 v6, v1, s44
	v_mul_lo_u32 v8, v1, s45
	v_mul_hi_u32 v5, s43, v4
	v_add_nc_u32_e32 v5, v4, v5
	v_lshrrev_b32_e32 v5, s52, v5
	v_mul_hi_u32 v7, s54, v5
	v_mul_lo_u32 v10, v5, s42
	v_add_nc_u32_e32 v1, v5, v7
	v_mul_lo_u32 v7, v4, s39
	v_sub_nc_u32_e32 v4, v4, v10
	v_lshrrev_b32_e32 v1, s55, v1
	v_mul_lo_u32 v10, v4, s48
	v_mul_lo_u32 v4, v4, s49
	v_sub_nc_u32_e32 v3, v3, v7
	v_mul_lo_u32 v11, v1, s53
	v_mul_lo_u32 v7, v3, s46
	;; [unrolled: 1-line block ×3, first 2 shown]
	v_sub_nc_u32_e32 v5, v5, v11
	v_add3_u32 v0, v6, v0, v7
	v_mul_lo_u32 v11, v5, s50
	v_mul_lo_u32 v5, v5, s51
	v_add3_u32 v2, v8, v2, v3
	v_add3_u32 v0, v10, v0, v11
	;; [unrolled: 1-line block ×3, first 2 shown]
	s_cbranch_scc0 .LBB23_200
	s_branch .LBB23_224
.LBB23_201:
                                        ; implicit-def: $vgpr0
                                        ; implicit-def: $vgpr2
	s_branch .LBB23_228
.LBB23_202:
	v_mov_b32_e32 v0, 0
	v_mov_b32_e32 v2, 0
	s_branch .LBB23_227
.LBB23_203:
	v_mov_b32_e32 v0, 0
	v_mov_b32_e32 v2, 0
	;; [unrolled: 1-line block ×3, first 2 shown]
	s_mov_b32 s31, 0
.LBB23_204:
	s_and_b32 s33, s33, 3
	s_cmp_eq_u32 s33, 0
	s_cbranch_scc1 .LBB23_207
; %bb.205:
	s_lshl_b32 s0, s31, 3
	s_mul_i32 s20, s31, 12
	s_add_u32 s0, s2, s0
	s_addc_u32 s1, s3, 0
	s_add_u32 s0, s0, 0xc4
	s_addc_u32 s1, s1, 0
	;; [unrolled: 2-line block ×3, first 2 shown]
	.p2align	6
.LBB23_206:                             ; =>This Inner Loop Header: Depth=1
	s_clause 0x1
	s_load_dwordx2 s[34:35], s[20:21], 0x4
	s_load_dword s31, s[20:21], 0xc
	s_load_dwordx2 s[36:37], s[0:1], 0x0
	s_add_u32 s20, s20, 12
	s_addc_u32 s21, s21, 0
	s_add_u32 s0, s0, 8
	s_addc_u32 s1, s1, 0
	s_add_i32 s33, s33, -1
	s_cmp_lg_u32 s33, 0
	s_waitcnt lgkmcnt(0)
	v_mul_hi_u32 v3, s35, v1
	v_add_nc_u32_e32 v3, v1, v3
	v_lshrrev_b32_e32 v4, s31, v3
	v_mul_lo_u32 v3, v4, s34
	v_sub_nc_u32_e32 v3, v1, v3
	v_mad_u64_u32 v[0:1], null, v3, s36, v[0:1]
	v_mad_u64_u32 v[2:3], null, v3, s37, v[2:3]
	v_mov_b32_e32 v1, v4
	s_cbranch_scc1 .LBB23_206
.LBB23_207:
	s_cbranch_execnz .LBB23_210
.LBB23_208:
	s_waitcnt lgkmcnt(0)
	v_mul_hi_u32 v0, s13, v9
	s_andn2_b32 vcc_lo, exec_lo, s26
	v_add_nc_u32_e32 v0, v9, v0
	v_lshrrev_b32_e32 v1, s14, v0
	v_mul_lo_u32 v0, v1, s12
	v_sub_nc_u32_e32 v2, v9, v0
	v_mul_lo_u32 v0, v2, s8
	v_mul_lo_u32 v2, v2, s9
	s_cbranch_vccnz .LBB23_210
; %bb.209:
	v_mul_hi_u32 v3, s16, v1
	v_add_nc_u32_e32 v3, v1, v3
	v_lshrrev_b32_e32 v3, s17, v3
	v_mul_lo_u32 v3, v3, s15
	v_sub_nc_u32_e32 v3, v1, v3
	v_mad_u64_u32 v[0:1], null, v3, s10, v[0:1]
	v_mad_u64_u32 v[2:3], null, v3, s11, v[2:3]
.LBB23_210:
	s_waitcnt lgkmcnt(0)
	global_load_ushort v1, v2, s[6:7]
                                        ; implicit-def: $vgpr4
                                        ; implicit-def: $vgpr3
	s_mov_b32 s1, exec_lo
	s_waitcnt vmcnt(0)
	v_cvt_f32_f16_e32 v1, v1
	v_and_b32_e32 v2, 0x7fffffff, v1
	v_cmpx_ngt_f32_e64 0x48000000, |v1|
	s_xor_b32 s20, exec_lo, s1
	s_cbranch_execz .LBB23_212
; %bb.211:
	s_mov_b32 s0, 0x7fffff
	v_mov_b32_e32 v5, 0
	v_and_or_b32 v14, v2, s0, 0x800000
	v_mad_u64_u32 v[3:4], null, 0xfe5163ab, v14, 0
	v_mad_u64_u32 v[6:7], null, 0x3c439041, v14, v[4:5]
	v_mov_b32_e32 v4, v7
	v_mad_u64_u32 v[7:8], null, 0xdb629599, v14, v[4:5]
	v_mov_b32_e32 v4, v8
	v_lshrrev_b32_e32 v8, 23, v2
	v_mad_u64_u32 v[10:11], null, 0xf534ddc0, v14, v[4:5]
	v_add_nc_u32_e32 v8, 0xffffff88, v8
	v_cmp_lt_u32_e32 vcc_lo, 63, v8
	v_mov_b32_e32 v4, v11
	v_cndmask_b32_e64 v13, 0, 0xffffffc0, vcc_lo
	v_mad_u64_u32 v[11:12], null, 0xfc2757d1, v14, v[4:5]
	v_cndmask_b32_e32 v6, v10, v6, vcc_lo
	v_cndmask_b32_e32 v3, v7, v3, vcc_lo
	v_add_nc_u32_e32 v8, v13, v8
	v_mov_b32_e32 v4, v12
	v_cmp_lt_u32_e64 s0, 31, v8
	v_mad_u64_u32 v[12:13], null, 0x4e441529, v14, v[4:5]
	v_cndmask_b32_e64 v15, 0, 0xffffffe0, s0
	v_cndmask_b32_e64 v3, v6, v3, s0
	v_add_nc_u32_e32 v8, v15, v8
	v_mov_b32_e32 v4, v13
	v_cmp_lt_u32_e64 s1, 31, v8
	v_mad_u64_u32 v[4:5], null, 0xa2f9836e, v14, v[4:5]
	v_cndmask_b32_e32 v14, v12, v10, vcc_lo
	v_cndmask_b32_e64 v13, 0, 0xffffffe0, s1
	v_cndmask_b32_e32 v4, v4, v11, vcc_lo
	v_cndmask_b32_e32 v5, v5, v12, vcc_lo
	;; [unrolled: 1-line block ×3, first 2 shown]
	v_add_nc_u32_e32 v8, v13, v8
	v_cndmask_b32_e64 v10, v4, v14, s0
	v_cndmask_b32_e64 v4, v5, v4, s0
	v_cndmask_b32_e64 v5, v14, v11, s0
	v_sub_nc_u32_e32 v12, 32, v8
	v_cndmask_b32_e64 v11, v11, v6, s0
	v_cmp_eq_u32_e32 vcc_lo, 0, v8
	v_cndmask_b32_e64 v4, v4, v10, s1
	v_cndmask_b32_e64 v10, v10, v5, s1
	;; [unrolled: 1-line block ×4, first 2 shown]
	v_alignbit_b32 v13, v4, v10, v12
	v_alignbit_b32 v7, v10, v5, v12
	v_alignbit_b32 v11, v5, v3, v12
	v_cndmask_b32_e32 v4, v13, v4, vcc_lo
	v_cndmask_b32_e32 v6, v7, v10, vcc_lo
	;; [unrolled: 1-line block ×3, first 2 shown]
	v_bfe_u32 v7, v4, 29, 1
	v_alignbit_b32 v8, v4, v6, 30
	v_alignbit_b32 v6, v6, v5, 30
	v_alignbit_b32 v3, v5, v3, 30
	v_sub_nc_u32_e32 v10, 0, v7
	v_xor_b32_e32 v8, v8, v10
	v_xor_b32_e32 v5, v6, v10
	;; [unrolled: 1-line block ×3, first 2 shown]
	v_lshrrev_b32_e32 v10, 29, v4
	v_lshrrev_b32_e32 v4, 30, v4
	v_ffbh_u32_e32 v11, v8
	v_add_nc_u32_e32 v4, v7, v4
	v_min_u32_e32 v11, 32, v11
	v_sub_nc_u32_e32 v6, 31, v11
	v_lshlrev_b32_e32 v12, 23, v11
	v_alignbit_b32 v8, v8, v5, v6
	v_alignbit_b32 v3, v5, v3, v6
	v_lshlrev_b32_e32 v5, 31, v10
	v_alignbit_b32 v6, v8, v3, 9
	v_or_b32_e32 v10, 0.5, v5
	v_lshrrev_b32_e32 v8, 9, v8
	v_or_b32_e32 v5, 0x33000000, v5
	v_ffbh_u32_e32 v13, v6
	v_sub_nc_u32_e32 v10, v10, v12
	v_min_u32_e32 v12, 32, v13
	v_or_b32_e32 v8, v8, v10
	v_not_b32_e32 v10, v12
	v_mul_f32_e32 v13, 0x3fc90fda, v8
	v_add_lshl_u32 v11, v12, v11, 23
	v_alignbit_b32 v3, v6, v3, v10
	v_fma_f32 v6, 0x3fc90fda, v8, -v13
	v_sub_nc_u32_e32 v5, v5, v11
	v_lshrrev_b32_e32 v3, 9, v3
	v_fmamk_f32 v6, v8, 0x33a22168, v6
	v_or_b32_e32 v3, v5, v3
	v_fmac_f32_e32 v6, 0x3fc90fda, v3
	v_add_f32_e32 v3, v13, v6
.LBB23_212:
	s_andn2_saveexec_b32 s0, s20
; %bb.213:
	v_mul_f32_e64 v3, 0x3f22f983, |v1|
	v_rndne_f32_e32 v4, v3
	v_fma_f32 v3, 0xbfc90fda, v4, |v1|
	v_fmamk_f32 v3, v4, 0xb3a22168, v3
	v_fmamk_f32 v3, v4, 0xa7c234c4, v3
	v_cvt_i32_f32_e32 v4, v4
; %bb.214:
	s_or_b32 exec_lo, exec_lo, s0
	v_mul_f32_e32 v5, v3, v3
	s_mov_b32 s0, 0xb94c1982
	s_mov_b32 s1, 0x37d75334
	v_and_b32_e32 v8, 1, v4
	v_lshlrev_b32_e32 v4, 30, v4
	v_fmaak_f32 v6, s0, v5, 0x3c0881c4
	v_fmaak_f32 v7, s1, v5, 0xbab64f3b
	v_xor_b32_e32 v2, v2, v1
	v_cmp_eq_u32_e32 vcc_lo, 0, v8
	v_and_b32_e32 v4, 0x80000000, v4
	v_fmaak_f32 v6, v5, v6, 0xbe2aaa9d
	v_fmaak_f32 v7, v5, v7, 0x3d2aabf7
	v_add_nc_u32_e32 v9, 0x80, v9
	v_mul_f32_e32 v6, v5, v6
	v_fmaak_f32 v7, v5, v7, 0xbf000004
	v_fmac_f32_e32 v3, v3, v6
	v_fma_f32 v5, v5, v7, 1.0
	v_cndmask_b32_e32 v3, v5, v3, vcc_lo
	v_cmp_class_f32_e64 vcc_lo, v1, 0x1f8
	v_xor3_b32 v2, v2, v4, v3
	v_cndmask_b32_e32 v1, 0x7fc00000, v2, vcc_lo
	v_cvt_f16_f32_e32 v1, v1
	global_store_short v0, v1, s[4:5]
	s_or_b32 exec_lo, exec_lo, s30
	s_mov_b32 s30, exec_lo
	v_cmpx_gt_i32_e64 s27, v9
	s_cbranch_execnz .LBB23_196
.LBB23_215:
	s_or_b32 exec_lo, exec_lo, s30
	s_mov_b32 s30, exec_lo
	v_cmpx_gt_i32_e64 s27, v9
	s_cbranch_execz .LBB23_235
.LBB23_216:
	s_andn2_b32 vcc_lo, exec_lo, s24
	s_cbranch_vccnz .LBB23_221
; %bb.217:
	s_andn2_b32 vcc_lo, exec_lo, s29
	s_cbranch_vccnz .LBB23_222
; %bb.218:
	s_add_i32 s33, s28, 1
	s_cmp_eq_u32 s23, 2
	s_cbranch_scc1 .LBB23_243
; %bb.219:
	v_mov_b32_e32 v2, 0
	v_mov_b32_e32 v0, 0
	;; [unrolled: 1-line block ×3, first 2 shown]
	s_and_b32 s31, s33, 28
	s_mov_b32 s34, 0
	s_mov_b64 s[0:1], s[2:3]
	s_mov_b64 s[20:21], s[18:19]
.LBB23_220:                             ; =>This Inner Loop Header: Depth=1
	s_clause 0x1
	s_load_dwordx8 s[36:43], s[0:1], 0x4
	s_load_dwordx4 s[52:55], s[0:1], 0x24
	s_load_dwordx8 s[44:51], s[20:21], 0x0
	s_add_u32 s0, s0, 48
	s_addc_u32 s1, s1, 0
	s_add_i32 s34, s34, 4
	s_add_u32 s20, s20, 32
	s_addc_u32 s21, s21, 0
	s_cmp_eq_u32 s31, s34
	s_waitcnt lgkmcnt(0)
	v_mul_hi_u32 v3, s37, v1
	v_add_nc_u32_e32 v3, v1, v3
	v_lshrrev_b32_e32 v3, s38, v3
	v_mul_hi_u32 v4, s40, v3
	v_mul_lo_u32 v6, v3, s36
	v_add_nc_u32_e32 v4, v3, v4
	v_sub_nc_u32_e32 v1, v1, v6
	v_lshrrev_b32_e32 v4, s41, v4
	v_mul_lo_u32 v6, v1, s44
	v_mul_lo_u32 v8, v1, s45
	v_mul_hi_u32 v5, s43, v4
	v_add_nc_u32_e32 v5, v4, v5
	v_lshrrev_b32_e32 v5, s52, v5
	v_mul_hi_u32 v7, s54, v5
	v_mul_lo_u32 v10, v5, s42
	v_add_nc_u32_e32 v1, v5, v7
	v_mul_lo_u32 v7, v4, s39
	v_sub_nc_u32_e32 v4, v4, v10
	v_lshrrev_b32_e32 v1, s55, v1
	v_mul_lo_u32 v10, v4, s48
	v_mul_lo_u32 v4, v4, s49
	v_sub_nc_u32_e32 v3, v3, v7
	v_mul_lo_u32 v11, v1, s53
	v_mul_lo_u32 v7, v3, s46
	;; [unrolled: 1-line block ×3, first 2 shown]
	v_sub_nc_u32_e32 v5, v5, v11
	v_add3_u32 v0, v6, v0, v7
	v_mul_lo_u32 v11, v5, s50
	v_mul_lo_u32 v5, v5, s51
	v_add3_u32 v2, v8, v2, v3
	v_add3_u32 v0, v10, v0, v11
	;; [unrolled: 1-line block ×3, first 2 shown]
	s_cbranch_scc0 .LBB23_220
	s_branch .LBB23_244
.LBB23_221:
                                        ; implicit-def: $vgpr0
                                        ; implicit-def: $vgpr2
	s_branch .LBB23_248
.LBB23_222:
	v_mov_b32_e32 v0, 0
	v_mov_b32_e32 v2, 0
	s_branch .LBB23_247
.LBB23_223:
	v_mov_b32_e32 v0, 0
	v_mov_b32_e32 v2, 0
	v_mov_b32_e32 v1, v9
	s_mov_b32 s31, 0
.LBB23_224:
	s_and_b32 s33, s33, 3
	s_cmp_eq_u32 s33, 0
	s_cbranch_scc1 .LBB23_227
; %bb.225:
	s_lshl_b32 s0, s31, 3
	s_mul_i32 s20, s31, 12
	s_add_u32 s0, s2, s0
	s_addc_u32 s1, s3, 0
	s_add_u32 s0, s0, 0xc4
	s_addc_u32 s1, s1, 0
	s_add_u32 s20, s2, s20
	s_addc_u32 s21, s3, 0
	.p2align	6
.LBB23_226:                             ; =>This Inner Loop Header: Depth=1
	s_clause 0x1
	s_load_dwordx2 s[34:35], s[20:21], 0x4
	s_load_dword s31, s[20:21], 0xc
	s_load_dwordx2 s[36:37], s[0:1], 0x0
	s_add_u32 s20, s20, 12
	s_addc_u32 s21, s21, 0
	s_add_u32 s0, s0, 8
	s_addc_u32 s1, s1, 0
	s_add_i32 s33, s33, -1
	s_cmp_lg_u32 s33, 0
	s_waitcnt lgkmcnt(0)
	v_mul_hi_u32 v3, s35, v1
	v_add_nc_u32_e32 v3, v1, v3
	v_lshrrev_b32_e32 v4, s31, v3
	v_mul_lo_u32 v3, v4, s34
	v_sub_nc_u32_e32 v3, v1, v3
	v_mad_u64_u32 v[0:1], null, v3, s36, v[0:1]
	v_mad_u64_u32 v[2:3], null, v3, s37, v[2:3]
	v_mov_b32_e32 v1, v4
	s_cbranch_scc1 .LBB23_226
.LBB23_227:
	s_cbranch_execnz .LBB23_230
.LBB23_228:
	s_waitcnt lgkmcnt(0)
	v_mul_hi_u32 v0, s13, v9
	s_andn2_b32 vcc_lo, exec_lo, s26
	v_add_nc_u32_e32 v0, v9, v0
	v_lshrrev_b32_e32 v1, s14, v0
	v_mul_lo_u32 v0, v1, s12
	v_sub_nc_u32_e32 v2, v9, v0
	v_mul_lo_u32 v0, v2, s8
	v_mul_lo_u32 v2, v2, s9
	s_cbranch_vccnz .LBB23_230
; %bb.229:
	v_mul_hi_u32 v3, s16, v1
	v_add_nc_u32_e32 v3, v1, v3
	v_lshrrev_b32_e32 v3, s17, v3
	v_mul_lo_u32 v3, v3, s15
	v_sub_nc_u32_e32 v3, v1, v3
	v_mad_u64_u32 v[0:1], null, v3, s10, v[0:1]
	v_mad_u64_u32 v[2:3], null, v3, s11, v[2:3]
.LBB23_230:
	s_waitcnt lgkmcnt(0)
	global_load_ushort v1, v2, s[6:7]
                                        ; implicit-def: $vgpr4
                                        ; implicit-def: $vgpr3
	s_mov_b32 s1, exec_lo
	s_waitcnt vmcnt(0)
	v_cvt_f32_f16_e32 v1, v1
	v_and_b32_e32 v2, 0x7fffffff, v1
	v_cmpx_ngt_f32_e64 0x48000000, |v1|
	s_xor_b32 s20, exec_lo, s1
	s_cbranch_execz .LBB23_232
; %bb.231:
	s_mov_b32 s0, 0x7fffff
	v_mov_b32_e32 v5, 0
	v_and_or_b32 v14, v2, s0, 0x800000
	v_mad_u64_u32 v[3:4], null, 0xfe5163ab, v14, 0
	v_mad_u64_u32 v[6:7], null, 0x3c439041, v14, v[4:5]
	v_mov_b32_e32 v4, v7
	v_mad_u64_u32 v[7:8], null, 0xdb629599, v14, v[4:5]
	v_mov_b32_e32 v4, v8
	v_lshrrev_b32_e32 v8, 23, v2
	v_mad_u64_u32 v[10:11], null, 0xf534ddc0, v14, v[4:5]
	v_add_nc_u32_e32 v8, 0xffffff88, v8
	v_cmp_lt_u32_e32 vcc_lo, 63, v8
	v_mov_b32_e32 v4, v11
	v_cndmask_b32_e64 v13, 0, 0xffffffc0, vcc_lo
	v_mad_u64_u32 v[11:12], null, 0xfc2757d1, v14, v[4:5]
	v_cndmask_b32_e32 v6, v10, v6, vcc_lo
	v_cndmask_b32_e32 v3, v7, v3, vcc_lo
	v_add_nc_u32_e32 v8, v13, v8
	v_mov_b32_e32 v4, v12
	v_cmp_lt_u32_e64 s0, 31, v8
	v_mad_u64_u32 v[12:13], null, 0x4e441529, v14, v[4:5]
	v_cndmask_b32_e64 v15, 0, 0xffffffe0, s0
	v_cndmask_b32_e64 v3, v6, v3, s0
	v_add_nc_u32_e32 v8, v15, v8
	v_mov_b32_e32 v4, v13
	v_cmp_lt_u32_e64 s1, 31, v8
	v_mad_u64_u32 v[4:5], null, 0xa2f9836e, v14, v[4:5]
	v_cndmask_b32_e32 v14, v12, v10, vcc_lo
	v_cndmask_b32_e64 v13, 0, 0xffffffe0, s1
	v_cndmask_b32_e32 v4, v4, v11, vcc_lo
	v_cndmask_b32_e32 v5, v5, v12, vcc_lo
	;; [unrolled: 1-line block ×3, first 2 shown]
	v_add_nc_u32_e32 v8, v13, v8
	v_cndmask_b32_e64 v10, v4, v14, s0
	v_cndmask_b32_e64 v4, v5, v4, s0
	;; [unrolled: 1-line block ×3, first 2 shown]
	v_sub_nc_u32_e32 v12, 32, v8
	v_cndmask_b32_e64 v11, v11, v6, s0
	v_cmp_eq_u32_e32 vcc_lo, 0, v8
	v_cndmask_b32_e64 v4, v4, v10, s1
	v_cndmask_b32_e64 v10, v10, v5, s1
	;; [unrolled: 1-line block ×4, first 2 shown]
	v_alignbit_b32 v13, v4, v10, v12
	v_alignbit_b32 v7, v10, v5, v12
	;; [unrolled: 1-line block ×3, first 2 shown]
	v_cndmask_b32_e32 v4, v13, v4, vcc_lo
	v_cndmask_b32_e32 v6, v7, v10, vcc_lo
	;; [unrolled: 1-line block ×3, first 2 shown]
	v_bfe_u32 v7, v4, 29, 1
	v_alignbit_b32 v8, v4, v6, 30
	v_alignbit_b32 v6, v6, v5, 30
	;; [unrolled: 1-line block ×3, first 2 shown]
	v_sub_nc_u32_e32 v10, 0, v7
	v_xor_b32_e32 v8, v8, v10
	v_xor_b32_e32 v5, v6, v10
	;; [unrolled: 1-line block ×3, first 2 shown]
	v_lshrrev_b32_e32 v10, 29, v4
	v_lshrrev_b32_e32 v4, 30, v4
	v_ffbh_u32_e32 v11, v8
	v_add_nc_u32_e32 v4, v7, v4
	v_min_u32_e32 v11, 32, v11
	v_sub_nc_u32_e32 v6, 31, v11
	v_lshlrev_b32_e32 v12, 23, v11
	v_alignbit_b32 v8, v8, v5, v6
	v_alignbit_b32 v3, v5, v3, v6
	v_lshlrev_b32_e32 v5, 31, v10
	v_alignbit_b32 v6, v8, v3, 9
	v_or_b32_e32 v10, 0.5, v5
	v_lshrrev_b32_e32 v8, 9, v8
	v_or_b32_e32 v5, 0x33000000, v5
	v_ffbh_u32_e32 v13, v6
	v_sub_nc_u32_e32 v10, v10, v12
	v_min_u32_e32 v12, 32, v13
	v_or_b32_e32 v8, v8, v10
	v_not_b32_e32 v10, v12
	v_mul_f32_e32 v13, 0x3fc90fda, v8
	v_add_lshl_u32 v11, v12, v11, 23
	v_alignbit_b32 v3, v6, v3, v10
	v_fma_f32 v6, 0x3fc90fda, v8, -v13
	v_sub_nc_u32_e32 v5, v5, v11
	v_lshrrev_b32_e32 v3, 9, v3
	v_fmamk_f32 v6, v8, 0x33a22168, v6
	v_or_b32_e32 v3, v5, v3
	v_fmac_f32_e32 v6, 0x3fc90fda, v3
	v_add_f32_e32 v3, v13, v6
.LBB23_232:
	s_andn2_saveexec_b32 s0, s20
; %bb.233:
	v_mul_f32_e64 v3, 0x3f22f983, |v1|
	v_rndne_f32_e32 v4, v3
	v_fma_f32 v3, 0xbfc90fda, v4, |v1|
	v_fmamk_f32 v3, v4, 0xb3a22168, v3
	v_fmamk_f32 v3, v4, 0xa7c234c4, v3
	v_cvt_i32_f32_e32 v4, v4
; %bb.234:
	s_or_b32 exec_lo, exec_lo, s0
	v_mul_f32_e32 v5, v3, v3
	s_mov_b32 s0, 0xb94c1982
	s_mov_b32 s1, 0x37d75334
	v_and_b32_e32 v8, 1, v4
	v_lshlrev_b32_e32 v4, 30, v4
	v_fmaak_f32 v6, s0, v5, 0x3c0881c4
	v_fmaak_f32 v7, s1, v5, 0xbab64f3b
	v_xor_b32_e32 v2, v2, v1
	v_cmp_eq_u32_e32 vcc_lo, 0, v8
	v_and_b32_e32 v4, 0x80000000, v4
	v_fmaak_f32 v6, v5, v6, 0xbe2aaa9d
	v_fmaak_f32 v7, v5, v7, 0x3d2aabf7
	v_add_nc_u32_e32 v9, 0x80, v9
	v_mul_f32_e32 v6, v5, v6
	v_fmaak_f32 v7, v5, v7, 0xbf000004
	v_fmac_f32_e32 v3, v3, v6
	v_fma_f32 v5, v5, v7, 1.0
	v_cndmask_b32_e32 v3, v5, v3, vcc_lo
	v_cmp_class_f32_e64 vcc_lo, v1, 0x1f8
	v_xor3_b32 v2, v2, v4, v3
	v_cndmask_b32_e32 v1, 0x7fc00000, v2, vcc_lo
	v_cvt_f16_f32_e32 v1, v1
	global_store_short v0, v1, s[4:5]
	s_or_b32 exec_lo, exec_lo, s30
	s_mov_b32 s30, exec_lo
	v_cmpx_gt_i32_e64 s27, v9
	s_cbranch_execnz .LBB23_216
.LBB23_235:
	s_or_b32 exec_lo, exec_lo, s30
	s_mov_b32 s30, exec_lo
	v_cmpx_gt_i32_e64 s27, v9
	s_cbranch_execz .LBB23_255
.LBB23_236:
	s_andn2_b32 vcc_lo, exec_lo, s24
	s_cbranch_vccnz .LBB23_241
; %bb.237:
	s_andn2_b32 vcc_lo, exec_lo, s29
	s_cbranch_vccnz .LBB23_242
; %bb.238:
	s_add_i32 s33, s28, 1
	s_cmp_eq_u32 s23, 2
	s_cbranch_scc1 .LBB23_263
; %bb.239:
	v_mov_b32_e32 v2, 0
	v_mov_b32_e32 v0, 0
	;; [unrolled: 1-line block ×3, first 2 shown]
	s_and_b32 s31, s33, 28
	s_mov_b32 s34, 0
	s_mov_b64 s[0:1], s[2:3]
	s_mov_b64 s[20:21], s[18:19]
.LBB23_240:                             ; =>This Inner Loop Header: Depth=1
	s_clause 0x1
	s_load_dwordx8 s[36:43], s[0:1], 0x4
	s_load_dwordx4 s[52:55], s[0:1], 0x24
	s_load_dwordx8 s[44:51], s[20:21], 0x0
	s_add_u32 s0, s0, 48
	s_addc_u32 s1, s1, 0
	s_add_i32 s34, s34, 4
	s_add_u32 s20, s20, 32
	s_addc_u32 s21, s21, 0
	s_cmp_eq_u32 s31, s34
	s_waitcnt lgkmcnt(0)
	v_mul_hi_u32 v3, s37, v1
	v_add_nc_u32_e32 v3, v1, v3
	v_lshrrev_b32_e32 v3, s38, v3
	v_mul_hi_u32 v4, s40, v3
	v_mul_lo_u32 v6, v3, s36
	v_add_nc_u32_e32 v4, v3, v4
	v_sub_nc_u32_e32 v1, v1, v6
	v_lshrrev_b32_e32 v4, s41, v4
	v_mul_lo_u32 v6, v1, s44
	v_mul_lo_u32 v8, v1, s45
	v_mul_hi_u32 v5, s43, v4
	v_add_nc_u32_e32 v5, v4, v5
	v_lshrrev_b32_e32 v5, s52, v5
	v_mul_hi_u32 v7, s54, v5
	v_mul_lo_u32 v10, v5, s42
	v_add_nc_u32_e32 v1, v5, v7
	v_mul_lo_u32 v7, v4, s39
	v_sub_nc_u32_e32 v4, v4, v10
	v_lshrrev_b32_e32 v1, s55, v1
	v_mul_lo_u32 v10, v4, s48
	v_mul_lo_u32 v4, v4, s49
	v_sub_nc_u32_e32 v3, v3, v7
	v_mul_lo_u32 v11, v1, s53
	v_mul_lo_u32 v7, v3, s46
	;; [unrolled: 1-line block ×3, first 2 shown]
	v_sub_nc_u32_e32 v5, v5, v11
	v_add3_u32 v0, v6, v0, v7
	v_mul_lo_u32 v11, v5, s50
	v_mul_lo_u32 v5, v5, s51
	v_add3_u32 v2, v8, v2, v3
	v_add3_u32 v0, v10, v0, v11
	;; [unrolled: 1-line block ×3, first 2 shown]
	s_cbranch_scc0 .LBB23_240
	s_branch .LBB23_264
.LBB23_241:
                                        ; implicit-def: $vgpr0
                                        ; implicit-def: $vgpr2
	s_branch .LBB23_268
.LBB23_242:
	v_mov_b32_e32 v0, 0
	v_mov_b32_e32 v2, 0
	s_branch .LBB23_267
.LBB23_243:
	v_mov_b32_e32 v0, 0
	v_mov_b32_e32 v2, 0
	;; [unrolled: 1-line block ×3, first 2 shown]
	s_mov_b32 s31, 0
.LBB23_244:
	s_and_b32 s33, s33, 3
	s_cmp_eq_u32 s33, 0
	s_cbranch_scc1 .LBB23_247
; %bb.245:
	s_lshl_b32 s0, s31, 3
	s_mul_i32 s20, s31, 12
	s_add_u32 s0, s2, s0
	s_addc_u32 s1, s3, 0
	s_add_u32 s0, s0, 0xc4
	s_addc_u32 s1, s1, 0
	;; [unrolled: 2-line block ×3, first 2 shown]
	.p2align	6
.LBB23_246:                             ; =>This Inner Loop Header: Depth=1
	s_clause 0x1
	s_load_dwordx2 s[34:35], s[20:21], 0x4
	s_load_dword s31, s[20:21], 0xc
	s_load_dwordx2 s[36:37], s[0:1], 0x0
	s_add_u32 s20, s20, 12
	s_addc_u32 s21, s21, 0
	s_add_u32 s0, s0, 8
	s_addc_u32 s1, s1, 0
	s_add_i32 s33, s33, -1
	s_cmp_lg_u32 s33, 0
	s_waitcnt lgkmcnt(0)
	v_mul_hi_u32 v3, s35, v1
	v_add_nc_u32_e32 v3, v1, v3
	v_lshrrev_b32_e32 v4, s31, v3
	v_mul_lo_u32 v3, v4, s34
	v_sub_nc_u32_e32 v3, v1, v3
	v_mad_u64_u32 v[0:1], null, v3, s36, v[0:1]
	v_mad_u64_u32 v[2:3], null, v3, s37, v[2:3]
	v_mov_b32_e32 v1, v4
	s_cbranch_scc1 .LBB23_246
.LBB23_247:
	s_cbranch_execnz .LBB23_250
.LBB23_248:
	s_waitcnt lgkmcnt(0)
	v_mul_hi_u32 v0, s13, v9
	s_andn2_b32 vcc_lo, exec_lo, s26
	v_add_nc_u32_e32 v0, v9, v0
	v_lshrrev_b32_e32 v1, s14, v0
	v_mul_lo_u32 v0, v1, s12
	v_sub_nc_u32_e32 v2, v9, v0
	v_mul_lo_u32 v0, v2, s8
	v_mul_lo_u32 v2, v2, s9
	s_cbranch_vccnz .LBB23_250
; %bb.249:
	v_mul_hi_u32 v3, s16, v1
	v_add_nc_u32_e32 v3, v1, v3
	v_lshrrev_b32_e32 v3, s17, v3
	v_mul_lo_u32 v3, v3, s15
	v_sub_nc_u32_e32 v3, v1, v3
	v_mad_u64_u32 v[0:1], null, v3, s10, v[0:1]
	v_mad_u64_u32 v[2:3], null, v3, s11, v[2:3]
.LBB23_250:
	s_waitcnt lgkmcnt(0)
	global_load_ushort v1, v2, s[6:7]
                                        ; implicit-def: $vgpr4
                                        ; implicit-def: $vgpr3
	s_mov_b32 s1, exec_lo
	s_waitcnt vmcnt(0)
	v_cvt_f32_f16_e32 v1, v1
	v_and_b32_e32 v2, 0x7fffffff, v1
	v_cmpx_ngt_f32_e64 0x48000000, |v1|
	s_xor_b32 s20, exec_lo, s1
	s_cbranch_execz .LBB23_252
; %bb.251:
	s_mov_b32 s0, 0x7fffff
	v_mov_b32_e32 v5, 0
	v_and_or_b32 v14, v2, s0, 0x800000
	v_mad_u64_u32 v[3:4], null, 0xfe5163ab, v14, 0
	v_mad_u64_u32 v[6:7], null, 0x3c439041, v14, v[4:5]
	v_mov_b32_e32 v4, v7
	v_mad_u64_u32 v[7:8], null, 0xdb629599, v14, v[4:5]
	v_mov_b32_e32 v4, v8
	v_lshrrev_b32_e32 v8, 23, v2
	v_mad_u64_u32 v[10:11], null, 0xf534ddc0, v14, v[4:5]
	v_add_nc_u32_e32 v8, 0xffffff88, v8
	v_cmp_lt_u32_e32 vcc_lo, 63, v8
	v_mov_b32_e32 v4, v11
	v_cndmask_b32_e64 v13, 0, 0xffffffc0, vcc_lo
	v_mad_u64_u32 v[11:12], null, 0xfc2757d1, v14, v[4:5]
	v_cndmask_b32_e32 v6, v10, v6, vcc_lo
	v_cndmask_b32_e32 v3, v7, v3, vcc_lo
	v_add_nc_u32_e32 v8, v13, v8
	v_mov_b32_e32 v4, v12
	v_cmp_lt_u32_e64 s0, 31, v8
	v_mad_u64_u32 v[12:13], null, 0x4e441529, v14, v[4:5]
	v_cndmask_b32_e64 v15, 0, 0xffffffe0, s0
	v_cndmask_b32_e64 v3, v6, v3, s0
	v_add_nc_u32_e32 v8, v15, v8
	v_mov_b32_e32 v4, v13
	v_cmp_lt_u32_e64 s1, 31, v8
	v_mad_u64_u32 v[4:5], null, 0xa2f9836e, v14, v[4:5]
	v_cndmask_b32_e32 v14, v12, v10, vcc_lo
	v_cndmask_b32_e64 v13, 0, 0xffffffe0, s1
	v_cndmask_b32_e32 v4, v4, v11, vcc_lo
	v_cndmask_b32_e32 v5, v5, v12, vcc_lo
	;; [unrolled: 1-line block ×3, first 2 shown]
	v_add_nc_u32_e32 v8, v13, v8
	v_cndmask_b32_e64 v10, v4, v14, s0
	v_cndmask_b32_e64 v4, v5, v4, s0
	;; [unrolled: 1-line block ×3, first 2 shown]
	v_sub_nc_u32_e32 v12, 32, v8
	v_cndmask_b32_e64 v11, v11, v6, s0
	v_cmp_eq_u32_e32 vcc_lo, 0, v8
	v_cndmask_b32_e64 v4, v4, v10, s1
	v_cndmask_b32_e64 v10, v10, v5, s1
	;; [unrolled: 1-line block ×4, first 2 shown]
	v_alignbit_b32 v13, v4, v10, v12
	v_alignbit_b32 v7, v10, v5, v12
	;; [unrolled: 1-line block ×3, first 2 shown]
	v_cndmask_b32_e32 v4, v13, v4, vcc_lo
	v_cndmask_b32_e32 v6, v7, v10, vcc_lo
	;; [unrolled: 1-line block ×3, first 2 shown]
	v_bfe_u32 v7, v4, 29, 1
	v_alignbit_b32 v8, v4, v6, 30
	v_alignbit_b32 v6, v6, v5, 30
	;; [unrolled: 1-line block ×3, first 2 shown]
	v_sub_nc_u32_e32 v10, 0, v7
	v_xor_b32_e32 v8, v8, v10
	v_xor_b32_e32 v5, v6, v10
	;; [unrolled: 1-line block ×3, first 2 shown]
	v_lshrrev_b32_e32 v10, 29, v4
	v_lshrrev_b32_e32 v4, 30, v4
	v_ffbh_u32_e32 v11, v8
	v_add_nc_u32_e32 v4, v7, v4
	v_min_u32_e32 v11, 32, v11
	v_sub_nc_u32_e32 v6, 31, v11
	v_lshlrev_b32_e32 v12, 23, v11
	v_alignbit_b32 v8, v8, v5, v6
	v_alignbit_b32 v3, v5, v3, v6
	v_lshlrev_b32_e32 v5, 31, v10
	v_alignbit_b32 v6, v8, v3, 9
	v_or_b32_e32 v10, 0.5, v5
	v_lshrrev_b32_e32 v8, 9, v8
	v_or_b32_e32 v5, 0x33000000, v5
	v_ffbh_u32_e32 v13, v6
	v_sub_nc_u32_e32 v10, v10, v12
	v_min_u32_e32 v12, 32, v13
	v_or_b32_e32 v8, v8, v10
	v_not_b32_e32 v10, v12
	v_mul_f32_e32 v13, 0x3fc90fda, v8
	v_add_lshl_u32 v11, v12, v11, 23
	v_alignbit_b32 v3, v6, v3, v10
	v_fma_f32 v6, 0x3fc90fda, v8, -v13
	v_sub_nc_u32_e32 v5, v5, v11
	v_lshrrev_b32_e32 v3, 9, v3
	v_fmamk_f32 v6, v8, 0x33a22168, v6
	v_or_b32_e32 v3, v5, v3
	v_fmac_f32_e32 v6, 0x3fc90fda, v3
	v_add_f32_e32 v3, v13, v6
.LBB23_252:
	s_andn2_saveexec_b32 s0, s20
; %bb.253:
	v_mul_f32_e64 v3, 0x3f22f983, |v1|
	v_rndne_f32_e32 v4, v3
	v_fma_f32 v3, 0xbfc90fda, v4, |v1|
	v_fmamk_f32 v3, v4, 0xb3a22168, v3
	v_fmamk_f32 v3, v4, 0xa7c234c4, v3
	v_cvt_i32_f32_e32 v4, v4
; %bb.254:
	s_or_b32 exec_lo, exec_lo, s0
	v_mul_f32_e32 v5, v3, v3
	s_mov_b32 s0, 0xb94c1982
	s_mov_b32 s1, 0x37d75334
	v_and_b32_e32 v8, 1, v4
	v_lshlrev_b32_e32 v4, 30, v4
	v_fmaak_f32 v6, s0, v5, 0x3c0881c4
	v_fmaak_f32 v7, s1, v5, 0xbab64f3b
	v_xor_b32_e32 v2, v2, v1
	v_cmp_eq_u32_e32 vcc_lo, 0, v8
	v_and_b32_e32 v4, 0x80000000, v4
	v_fmaak_f32 v6, v5, v6, 0xbe2aaa9d
	v_fmaak_f32 v7, v5, v7, 0x3d2aabf7
	v_add_nc_u32_e32 v9, 0x80, v9
	v_mul_f32_e32 v6, v5, v6
	v_fmaak_f32 v7, v5, v7, 0xbf000004
	v_fmac_f32_e32 v3, v3, v6
	v_fma_f32 v5, v5, v7, 1.0
	v_cndmask_b32_e32 v3, v5, v3, vcc_lo
	v_cmp_class_f32_e64 vcc_lo, v1, 0x1f8
	v_xor3_b32 v2, v2, v4, v3
	v_cndmask_b32_e32 v1, 0x7fc00000, v2, vcc_lo
	v_cvt_f16_f32_e32 v1, v1
	global_store_short v0, v1, s[4:5]
	s_or_b32 exec_lo, exec_lo, s30
	s_mov_b32 s30, exec_lo
	v_cmpx_gt_i32_e64 s27, v9
	s_cbranch_execnz .LBB23_236
.LBB23_255:
	s_or_b32 exec_lo, exec_lo, s30
	s_mov_b32 s30, exec_lo
	v_cmpx_gt_i32_e64 s27, v9
	s_cbranch_execz .LBB23_275
.LBB23_256:
	s_andn2_b32 vcc_lo, exec_lo, s24
	s_cbranch_vccnz .LBB23_261
; %bb.257:
	s_andn2_b32 vcc_lo, exec_lo, s29
	s_cbranch_vccnz .LBB23_262
; %bb.258:
	s_add_i32 s33, s28, 1
	s_cmp_eq_u32 s23, 2
	s_cbranch_scc1 .LBB23_278
; %bb.259:
	v_mov_b32_e32 v2, 0
	v_mov_b32_e32 v0, 0
	v_mov_b32_e32 v1, v9
	s_and_b32 s31, s33, 28
	s_mov_b32 s34, 0
	s_mov_b64 s[0:1], s[2:3]
	s_mov_b64 s[20:21], s[18:19]
.LBB23_260:                             ; =>This Inner Loop Header: Depth=1
	s_clause 0x1
	s_load_dwordx8 s[36:43], s[0:1], 0x4
	s_load_dwordx4 s[52:55], s[0:1], 0x24
	s_load_dwordx8 s[44:51], s[20:21], 0x0
	s_add_u32 s0, s0, 48
	s_addc_u32 s1, s1, 0
	s_add_i32 s34, s34, 4
	s_add_u32 s20, s20, 32
	s_addc_u32 s21, s21, 0
	s_cmp_eq_u32 s31, s34
	s_waitcnt lgkmcnt(0)
	v_mul_hi_u32 v3, s37, v1
	v_add_nc_u32_e32 v3, v1, v3
	v_lshrrev_b32_e32 v3, s38, v3
	v_mul_hi_u32 v4, s40, v3
	v_mul_lo_u32 v6, v3, s36
	v_add_nc_u32_e32 v4, v3, v4
	v_sub_nc_u32_e32 v1, v1, v6
	v_lshrrev_b32_e32 v4, s41, v4
	v_mul_lo_u32 v6, v1, s44
	v_mul_lo_u32 v8, v1, s45
	v_mul_hi_u32 v5, s43, v4
	v_add_nc_u32_e32 v5, v4, v5
	v_lshrrev_b32_e32 v5, s52, v5
	v_mul_hi_u32 v7, s54, v5
	v_mul_lo_u32 v10, v5, s42
	v_add_nc_u32_e32 v1, v5, v7
	v_mul_lo_u32 v7, v4, s39
	v_sub_nc_u32_e32 v4, v4, v10
	v_lshrrev_b32_e32 v1, s55, v1
	v_mul_lo_u32 v10, v4, s48
	v_mul_lo_u32 v4, v4, s49
	v_sub_nc_u32_e32 v3, v3, v7
	v_mul_lo_u32 v11, v1, s53
	v_mul_lo_u32 v7, v3, s46
	v_mul_lo_u32 v3, v3, s47
	v_sub_nc_u32_e32 v5, v5, v11
	v_add3_u32 v0, v6, v0, v7
	v_mul_lo_u32 v11, v5, s50
	v_mul_lo_u32 v5, v5, s51
	v_add3_u32 v2, v8, v2, v3
	v_add3_u32 v0, v10, v0, v11
	;; [unrolled: 1-line block ×3, first 2 shown]
	s_cbranch_scc0 .LBB23_260
	s_branch .LBB23_279
.LBB23_261:
                                        ; implicit-def: $vgpr0
                                        ; implicit-def: $vgpr2
	s_branch .LBB23_283
.LBB23_262:
	v_mov_b32_e32 v0, 0
	v_mov_b32_e32 v2, 0
	s_branch .LBB23_282
.LBB23_263:
	v_mov_b32_e32 v0, 0
	v_mov_b32_e32 v2, 0
	;; [unrolled: 1-line block ×3, first 2 shown]
	s_mov_b32 s31, 0
.LBB23_264:
	s_and_b32 s33, s33, 3
	s_cmp_eq_u32 s33, 0
	s_cbranch_scc1 .LBB23_267
; %bb.265:
	s_lshl_b32 s0, s31, 3
	s_mul_i32 s20, s31, 12
	s_add_u32 s0, s2, s0
	s_addc_u32 s1, s3, 0
	s_add_u32 s0, s0, 0xc4
	s_addc_u32 s1, s1, 0
	;; [unrolled: 2-line block ×3, first 2 shown]
	.p2align	6
.LBB23_266:                             ; =>This Inner Loop Header: Depth=1
	s_clause 0x1
	s_load_dwordx2 s[34:35], s[20:21], 0x4
	s_load_dword s31, s[20:21], 0xc
	s_load_dwordx2 s[36:37], s[0:1], 0x0
	s_add_u32 s20, s20, 12
	s_addc_u32 s21, s21, 0
	s_add_u32 s0, s0, 8
	s_addc_u32 s1, s1, 0
	s_add_i32 s33, s33, -1
	s_cmp_lg_u32 s33, 0
	s_waitcnt lgkmcnt(0)
	v_mul_hi_u32 v3, s35, v1
	v_add_nc_u32_e32 v3, v1, v3
	v_lshrrev_b32_e32 v4, s31, v3
	v_mul_lo_u32 v3, v4, s34
	v_sub_nc_u32_e32 v3, v1, v3
	v_mad_u64_u32 v[0:1], null, v3, s36, v[0:1]
	v_mad_u64_u32 v[2:3], null, v3, s37, v[2:3]
	v_mov_b32_e32 v1, v4
	s_cbranch_scc1 .LBB23_266
.LBB23_267:
	s_cbranch_execnz .LBB23_270
.LBB23_268:
	s_waitcnt lgkmcnt(0)
	v_mul_hi_u32 v0, s13, v9
	s_andn2_b32 vcc_lo, exec_lo, s26
	v_add_nc_u32_e32 v0, v9, v0
	v_lshrrev_b32_e32 v1, s14, v0
	v_mul_lo_u32 v0, v1, s12
	v_sub_nc_u32_e32 v2, v9, v0
	v_mul_lo_u32 v0, v2, s8
	v_mul_lo_u32 v2, v2, s9
	s_cbranch_vccnz .LBB23_270
; %bb.269:
	v_mul_hi_u32 v3, s16, v1
	v_add_nc_u32_e32 v3, v1, v3
	v_lshrrev_b32_e32 v3, s17, v3
	v_mul_lo_u32 v3, v3, s15
	v_sub_nc_u32_e32 v3, v1, v3
	v_mad_u64_u32 v[0:1], null, v3, s10, v[0:1]
	v_mad_u64_u32 v[2:3], null, v3, s11, v[2:3]
.LBB23_270:
	s_waitcnt lgkmcnt(0)
	global_load_ushort v1, v2, s[6:7]
                                        ; implicit-def: $vgpr4
                                        ; implicit-def: $vgpr3
	s_mov_b32 s1, exec_lo
	s_waitcnt vmcnt(0)
	v_cvt_f32_f16_e32 v1, v1
	v_and_b32_e32 v2, 0x7fffffff, v1
	v_cmpx_ngt_f32_e64 0x48000000, |v1|
	s_xor_b32 s20, exec_lo, s1
	s_cbranch_execz .LBB23_272
; %bb.271:
	s_mov_b32 s0, 0x7fffff
	v_mov_b32_e32 v5, 0
	v_and_or_b32 v14, v2, s0, 0x800000
	v_mad_u64_u32 v[3:4], null, 0xfe5163ab, v14, 0
	v_mad_u64_u32 v[6:7], null, 0x3c439041, v14, v[4:5]
	v_mov_b32_e32 v4, v7
	v_mad_u64_u32 v[7:8], null, 0xdb629599, v14, v[4:5]
	v_mov_b32_e32 v4, v8
	v_lshrrev_b32_e32 v8, 23, v2
	v_mad_u64_u32 v[10:11], null, 0xf534ddc0, v14, v[4:5]
	v_add_nc_u32_e32 v8, 0xffffff88, v8
	v_cmp_lt_u32_e32 vcc_lo, 63, v8
	v_mov_b32_e32 v4, v11
	v_cndmask_b32_e64 v13, 0, 0xffffffc0, vcc_lo
	v_mad_u64_u32 v[11:12], null, 0xfc2757d1, v14, v[4:5]
	v_cndmask_b32_e32 v6, v10, v6, vcc_lo
	v_cndmask_b32_e32 v3, v7, v3, vcc_lo
	v_add_nc_u32_e32 v8, v13, v8
	v_mov_b32_e32 v4, v12
	v_cmp_lt_u32_e64 s0, 31, v8
	v_mad_u64_u32 v[12:13], null, 0x4e441529, v14, v[4:5]
	v_cndmask_b32_e64 v15, 0, 0xffffffe0, s0
	v_cndmask_b32_e64 v3, v6, v3, s0
	v_add_nc_u32_e32 v8, v15, v8
	v_mov_b32_e32 v4, v13
	v_cmp_lt_u32_e64 s1, 31, v8
	v_mad_u64_u32 v[4:5], null, 0xa2f9836e, v14, v[4:5]
	v_cndmask_b32_e32 v14, v12, v10, vcc_lo
	v_cndmask_b32_e64 v13, 0, 0xffffffe0, s1
	v_cndmask_b32_e32 v4, v4, v11, vcc_lo
	v_cndmask_b32_e32 v5, v5, v12, vcc_lo
	;; [unrolled: 1-line block ×3, first 2 shown]
	v_add_nc_u32_e32 v8, v13, v8
	v_cndmask_b32_e64 v10, v4, v14, s0
	v_cndmask_b32_e64 v4, v5, v4, s0
	;; [unrolled: 1-line block ×3, first 2 shown]
	v_sub_nc_u32_e32 v12, 32, v8
	v_cndmask_b32_e64 v11, v11, v6, s0
	v_cmp_eq_u32_e32 vcc_lo, 0, v8
	v_cndmask_b32_e64 v4, v4, v10, s1
	v_cndmask_b32_e64 v10, v10, v5, s1
	;; [unrolled: 1-line block ×4, first 2 shown]
	v_alignbit_b32 v13, v4, v10, v12
	v_alignbit_b32 v7, v10, v5, v12
	;; [unrolled: 1-line block ×3, first 2 shown]
	v_cndmask_b32_e32 v4, v13, v4, vcc_lo
	v_cndmask_b32_e32 v6, v7, v10, vcc_lo
	;; [unrolled: 1-line block ×3, first 2 shown]
	v_bfe_u32 v7, v4, 29, 1
	v_alignbit_b32 v8, v4, v6, 30
	v_alignbit_b32 v6, v6, v5, 30
	;; [unrolled: 1-line block ×3, first 2 shown]
	v_sub_nc_u32_e32 v10, 0, v7
	v_xor_b32_e32 v8, v8, v10
	v_xor_b32_e32 v5, v6, v10
	;; [unrolled: 1-line block ×3, first 2 shown]
	v_lshrrev_b32_e32 v10, 29, v4
	v_lshrrev_b32_e32 v4, 30, v4
	v_ffbh_u32_e32 v11, v8
	v_add_nc_u32_e32 v4, v7, v4
	v_min_u32_e32 v11, 32, v11
	v_sub_nc_u32_e32 v6, 31, v11
	v_lshlrev_b32_e32 v12, 23, v11
	v_alignbit_b32 v8, v8, v5, v6
	v_alignbit_b32 v3, v5, v3, v6
	v_lshlrev_b32_e32 v5, 31, v10
	v_alignbit_b32 v6, v8, v3, 9
	v_or_b32_e32 v10, 0.5, v5
	v_lshrrev_b32_e32 v8, 9, v8
	v_or_b32_e32 v5, 0x33000000, v5
	v_ffbh_u32_e32 v13, v6
	v_sub_nc_u32_e32 v10, v10, v12
	v_min_u32_e32 v12, 32, v13
	v_or_b32_e32 v8, v8, v10
	v_not_b32_e32 v10, v12
	v_mul_f32_e32 v13, 0x3fc90fda, v8
	v_add_lshl_u32 v11, v12, v11, 23
	v_alignbit_b32 v3, v6, v3, v10
	v_fma_f32 v6, 0x3fc90fda, v8, -v13
	v_sub_nc_u32_e32 v5, v5, v11
	v_lshrrev_b32_e32 v3, 9, v3
	v_fmamk_f32 v6, v8, 0x33a22168, v6
	v_or_b32_e32 v3, v5, v3
	v_fmac_f32_e32 v6, 0x3fc90fda, v3
	v_add_f32_e32 v3, v13, v6
.LBB23_272:
	s_andn2_saveexec_b32 s0, s20
; %bb.273:
	v_mul_f32_e64 v3, 0x3f22f983, |v1|
	v_rndne_f32_e32 v4, v3
	v_fma_f32 v3, 0xbfc90fda, v4, |v1|
	v_fmamk_f32 v3, v4, 0xb3a22168, v3
	v_fmamk_f32 v3, v4, 0xa7c234c4, v3
	v_cvt_i32_f32_e32 v4, v4
; %bb.274:
	s_or_b32 exec_lo, exec_lo, s0
	v_mul_f32_e32 v5, v3, v3
	s_mov_b32 s0, 0xb94c1982
	s_mov_b32 s1, 0x37d75334
	v_and_b32_e32 v8, 1, v4
	v_lshlrev_b32_e32 v4, 30, v4
	v_fmaak_f32 v6, s0, v5, 0x3c0881c4
	v_fmaak_f32 v7, s1, v5, 0xbab64f3b
	v_xor_b32_e32 v2, v2, v1
	v_cmp_eq_u32_e32 vcc_lo, 0, v8
	v_and_b32_e32 v4, 0x80000000, v4
	v_fmaak_f32 v6, v5, v6, 0xbe2aaa9d
	v_fmaak_f32 v7, v5, v7, 0x3d2aabf7
	v_add_nc_u32_e32 v9, 0x80, v9
	v_mul_f32_e32 v6, v5, v6
	v_fmaak_f32 v7, v5, v7, 0xbf000004
	v_fmac_f32_e32 v3, v3, v6
	v_fma_f32 v5, v5, v7, 1.0
	v_cndmask_b32_e32 v3, v5, v3, vcc_lo
	v_cmp_class_f32_e64 vcc_lo, v1, 0x1f8
	v_xor3_b32 v2, v2, v4, v3
	v_cndmask_b32_e32 v1, 0x7fc00000, v2, vcc_lo
	v_cvt_f16_f32_e32 v1, v1
	global_store_short v0, v1, s[4:5]
	s_or_b32 exec_lo, exec_lo, s30
	s_mov_b32 s30, exec_lo
	v_cmpx_gt_i32_e64 s27, v9
	s_cbranch_execnz .LBB23_256
.LBB23_275:
	s_or_b32 exec_lo, exec_lo, s30
	s_mov_b32 s20, exec_lo
	v_cmpx_gt_i32_e64 s27, v9
	s_cbranch_execnz .LBB23_290
.LBB23_276:
	s_or_b32 exec_lo, exec_lo, s20
                                        ; implicit-def: $vgpr20
                                        ; implicit-def: $vgpr9
	s_andn2_saveexec_b32 s0, s25
	s_cbranch_execnz .LBB23_8
.LBB23_277:
	s_endpgm
.LBB23_278:
	v_mov_b32_e32 v0, 0
	v_mov_b32_e32 v2, 0
	;; [unrolled: 1-line block ×3, first 2 shown]
	s_mov_b32 s31, 0
.LBB23_279:
	s_and_b32 s33, s33, 3
	s_cmp_eq_u32 s33, 0
	s_cbranch_scc1 .LBB23_282
; %bb.280:
	s_lshl_b32 s0, s31, 3
	s_mul_i32 s20, s31, 12
	s_add_u32 s0, s2, s0
	s_addc_u32 s1, s3, 0
	s_add_u32 s0, s0, 0xc4
	s_addc_u32 s1, s1, 0
	;; [unrolled: 2-line block ×3, first 2 shown]
	.p2align	6
.LBB23_281:                             ; =>This Inner Loop Header: Depth=1
	s_clause 0x1
	s_load_dwordx2 s[34:35], s[20:21], 0x4
	s_load_dword s31, s[20:21], 0xc
	s_load_dwordx2 s[36:37], s[0:1], 0x0
	s_add_u32 s20, s20, 12
	s_addc_u32 s21, s21, 0
	s_add_u32 s0, s0, 8
	s_addc_u32 s1, s1, 0
	s_add_i32 s33, s33, -1
	s_cmp_lg_u32 s33, 0
	s_waitcnt lgkmcnt(0)
	v_mul_hi_u32 v3, s35, v1
	v_add_nc_u32_e32 v3, v1, v3
	v_lshrrev_b32_e32 v4, s31, v3
	v_mul_lo_u32 v3, v4, s34
	v_sub_nc_u32_e32 v3, v1, v3
	v_mad_u64_u32 v[0:1], null, v3, s36, v[0:1]
	v_mad_u64_u32 v[2:3], null, v3, s37, v[2:3]
	v_mov_b32_e32 v1, v4
	s_cbranch_scc1 .LBB23_281
.LBB23_282:
	s_cbranch_execnz .LBB23_285
.LBB23_283:
	s_waitcnt lgkmcnt(0)
	v_mul_hi_u32 v0, s13, v9
	s_andn2_b32 vcc_lo, exec_lo, s26
	v_add_nc_u32_e32 v0, v9, v0
	v_lshrrev_b32_e32 v1, s14, v0
	v_mul_lo_u32 v0, v1, s12
	v_sub_nc_u32_e32 v2, v9, v0
	v_mul_lo_u32 v0, v2, s8
	v_mul_lo_u32 v2, v2, s9
	s_cbranch_vccnz .LBB23_285
; %bb.284:
	v_mul_hi_u32 v3, s16, v1
	v_add_nc_u32_e32 v3, v1, v3
	v_lshrrev_b32_e32 v3, s17, v3
	v_mul_lo_u32 v3, v3, s15
	v_sub_nc_u32_e32 v3, v1, v3
	v_mad_u64_u32 v[0:1], null, v3, s10, v[0:1]
	v_mad_u64_u32 v[2:3], null, v3, s11, v[2:3]
.LBB23_285:
	s_waitcnt lgkmcnt(0)
	global_load_ushort v1, v2, s[6:7]
                                        ; implicit-def: $vgpr4
                                        ; implicit-def: $vgpr3
	s_mov_b32 s1, exec_lo
	s_waitcnt vmcnt(0)
	v_cvt_f32_f16_e32 v1, v1
	v_and_b32_e32 v2, 0x7fffffff, v1
	v_cmpx_ngt_f32_e64 0x48000000, |v1|
	s_xor_b32 s20, exec_lo, s1
	s_cbranch_execz .LBB23_287
; %bb.286:
	s_mov_b32 s0, 0x7fffff
	v_mov_b32_e32 v5, 0
	v_and_or_b32 v14, v2, s0, 0x800000
	v_mad_u64_u32 v[3:4], null, 0xfe5163ab, v14, 0
	v_mad_u64_u32 v[6:7], null, 0x3c439041, v14, v[4:5]
	v_mov_b32_e32 v4, v7
	v_mad_u64_u32 v[7:8], null, 0xdb629599, v14, v[4:5]
	v_mov_b32_e32 v4, v8
	v_lshrrev_b32_e32 v8, 23, v2
	v_mad_u64_u32 v[10:11], null, 0xf534ddc0, v14, v[4:5]
	v_add_nc_u32_e32 v8, 0xffffff88, v8
	v_cmp_lt_u32_e32 vcc_lo, 63, v8
	v_mov_b32_e32 v4, v11
	v_cndmask_b32_e64 v13, 0, 0xffffffc0, vcc_lo
	v_mad_u64_u32 v[11:12], null, 0xfc2757d1, v14, v[4:5]
	v_cndmask_b32_e32 v6, v10, v6, vcc_lo
	v_cndmask_b32_e32 v3, v7, v3, vcc_lo
	v_add_nc_u32_e32 v8, v13, v8
	v_mov_b32_e32 v4, v12
	v_cmp_lt_u32_e64 s0, 31, v8
	v_mad_u64_u32 v[12:13], null, 0x4e441529, v14, v[4:5]
	v_cndmask_b32_e64 v15, 0, 0xffffffe0, s0
	v_cndmask_b32_e64 v3, v6, v3, s0
	v_add_nc_u32_e32 v8, v15, v8
	v_mov_b32_e32 v4, v13
	v_cmp_lt_u32_e64 s1, 31, v8
	v_mad_u64_u32 v[4:5], null, 0xa2f9836e, v14, v[4:5]
	v_cndmask_b32_e32 v14, v12, v10, vcc_lo
	v_cndmask_b32_e64 v13, 0, 0xffffffe0, s1
	v_cndmask_b32_e32 v4, v4, v11, vcc_lo
	v_cndmask_b32_e32 v5, v5, v12, vcc_lo
	;; [unrolled: 1-line block ×3, first 2 shown]
	v_add_nc_u32_e32 v8, v13, v8
	v_cndmask_b32_e64 v10, v4, v14, s0
	v_cndmask_b32_e64 v4, v5, v4, s0
	;; [unrolled: 1-line block ×3, first 2 shown]
	v_sub_nc_u32_e32 v12, 32, v8
	v_cndmask_b32_e64 v11, v11, v6, s0
	v_cmp_eq_u32_e32 vcc_lo, 0, v8
	v_cndmask_b32_e64 v4, v4, v10, s1
	v_cndmask_b32_e64 v10, v10, v5, s1
	;; [unrolled: 1-line block ×4, first 2 shown]
	v_alignbit_b32 v13, v4, v10, v12
	v_alignbit_b32 v7, v10, v5, v12
	v_alignbit_b32 v11, v5, v3, v12
	v_cndmask_b32_e32 v4, v13, v4, vcc_lo
	v_cndmask_b32_e32 v6, v7, v10, vcc_lo
	;; [unrolled: 1-line block ×3, first 2 shown]
	v_bfe_u32 v7, v4, 29, 1
	v_alignbit_b32 v8, v4, v6, 30
	v_alignbit_b32 v6, v6, v5, 30
	;; [unrolled: 1-line block ×3, first 2 shown]
	v_sub_nc_u32_e32 v10, 0, v7
	v_xor_b32_e32 v8, v8, v10
	v_xor_b32_e32 v5, v6, v10
	;; [unrolled: 1-line block ×3, first 2 shown]
	v_lshrrev_b32_e32 v10, 29, v4
	v_lshrrev_b32_e32 v4, 30, v4
	v_ffbh_u32_e32 v11, v8
	v_add_nc_u32_e32 v4, v7, v4
	v_min_u32_e32 v11, 32, v11
	v_sub_nc_u32_e32 v6, 31, v11
	v_lshlrev_b32_e32 v12, 23, v11
	v_alignbit_b32 v8, v8, v5, v6
	v_alignbit_b32 v3, v5, v3, v6
	v_lshlrev_b32_e32 v5, 31, v10
	v_alignbit_b32 v6, v8, v3, 9
	v_or_b32_e32 v10, 0.5, v5
	v_lshrrev_b32_e32 v8, 9, v8
	v_or_b32_e32 v5, 0x33000000, v5
	v_ffbh_u32_e32 v13, v6
	v_sub_nc_u32_e32 v10, v10, v12
	v_min_u32_e32 v12, 32, v13
	v_or_b32_e32 v8, v8, v10
	v_not_b32_e32 v10, v12
	v_mul_f32_e32 v13, 0x3fc90fda, v8
	v_add_lshl_u32 v11, v12, v11, 23
	v_alignbit_b32 v3, v6, v3, v10
	v_fma_f32 v6, 0x3fc90fda, v8, -v13
	v_sub_nc_u32_e32 v5, v5, v11
	v_lshrrev_b32_e32 v3, 9, v3
	v_fmamk_f32 v6, v8, 0x33a22168, v6
	v_or_b32_e32 v3, v5, v3
	v_fmac_f32_e32 v6, 0x3fc90fda, v3
	v_add_f32_e32 v3, v13, v6
.LBB23_287:
	s_andn2_saveexec_b32 s0, s20
; %bb.288:
	v_mul_f32_e64 v3, 0x3f22f983, |v1|
	v_rndne_f32_e32 v4, v3
	v_fma_f32 v3, 0xbfc90fda, v4, |v1|
	v_fmamk_f32 v3, v4, 0xb3a22168, v3
	v_fmamk_f32 v3, v4, 0xa7c234c4, v3
	v_cvt_i32_f32_e32 v4, v4
; %bb.289:
	s_or_b32 exec_lo, exec_lo, s0
	v_mul_f32_e32 v5, v3, v3
	s_mov_b32 s0, 0xb94c1982
	s_mov_b32 s1, 0x37d75334
	v_and_b32_e32 v8, 1, v4
	v_lshlrev_b32_e32 v4, 30, v4
	v_fmaak_f32 v6, s0, v5, 0x3c0881c4
	v_fmaak_f32 v7, s1, v5, 0xbab64f3b
	v_xor_b32_e32 v2, v2, v1
	v_cmp_eq_u32_e32 vcc_lo, 0, v8
	v_and_b32_e32 v4, 0x80000000, v4
	v_fmaak_f32 v6, v5, v6, 0xbe2aaa9d
	v_fmaak_f32 v7, v5, v7, 0x3d2aabf7
	v_add_nc_u32_e32 v9, 0x80, v9
	v_mul_f32_e32 v6, v5, v6
	v_fmaak_f32 v7, v5, v7, 0xbf000004
	v_fmac_f32_e32 v3, v3, v6
	v_fma_f32 v5, v5, v7, 1.0
	v_cndmask_b32_e32 v3, v5, v3, vcc_lo
	v_cmp_class_f32_e64 vcc_lo, v1, 0x1f8
	v_xor3_b32 v2, v2, v4, v3
	v_cndmask_b32_e32 v1, 0x7fc00000, v2, vcc_lo
	v_cvt_f16_f32_e32 v1, v1
	global_store_short v0, v1, s[4:5]
	s_or_b32 exec_lo, exec_lo, s30
	s_mov_b32 s20, exec_lo
	v_cmpx_gt_i32_e64 s27, v9
	s_cbranch_execz .LBB23_276
.LBB23_290:
	s_andn2_b32 vcc_lo, exec_lo, s24
	s_cbranch_vccnz .LBB23_295
; %bb.291:
	s_andn2_b32 vcc_lo, exec_lo, s29
	s_cbranch_vccnz .LBB23_296
; %bb.292:
	s_add_i32 s28, s28, 1
	s_cmp_eq_u32 s23, 2
	s_cbranch_scc1 .LBB23_297
; %bb.293:
	v_mov_b32_e32 v2, 0
	v_mov_b32_e32 v0, 0
	;; [unrolled: 1-line block ×3, first 2 shown]
	s_and_b32 s21, s28, 28
	s_mov_b32 s27, 0
	s_mov_b64 s[0:1], s[2:3]
.LBB23_294:                             ; =>This Inner Loop Header: Depth=1
	s_clause 0x1
	s_load_dwordx8 s[36:43], s[0:1], 0x4
	s_load_dwordx4 s[52:55], s[0:1], 0x24
	s_load_dwordx8 s[44:51], s[18:19], 0x0
	s_add_u32 s0, s0, 48
	s_addc_u32 s1, s1, 0
	s_add_i32 s27, s27, 4
	s_add_u32 s18, s18, 32
	s_addc_u32 s19, s19, 0
	s_cmp_eq_u32 s21, s27
	s_waitcnt lgkmcnt(0)
	v_mul_hi_u32 v3, s37, v1
	v_add_nc_u32_e32 v3, v1, v3
	v_lshrrev_b32_e32 v3, s38, v3
	v_mul_hi_u32 v4, s40, v3
	v_mul_lo_u32 v6, v3, s36
	v_add_nc_u32_e32 v4, v3, v4
	v_sub_nc_u32_e32 v1, v1, v6
	v_lshrrev_b32_e32 v4, s41, v4
	v_mul_lo_u32 v6, v1, s44
	v_mul_lo_u32 v8, v1, s45
	v_mul_hi_u32 v5, s43, v4
	v_add_nc_u32_e32 v5, v4, v5
	v_lshrrev_b32_e32 v5, s52, v5
	v_mul_hi_u32 v7, s54, v5
	v_mul_lo_u32 v10, v5, s42
	v_add_nc_u32_e32 v1, v5, v7
	v_mul_lo_u32 v7, v4, s39
	v_sub_nc_u32_e32 v4, v4, v10
	v_lshrrev_b32_e32 v1, s55, v1
	v_mul_lo_u32 v10, v4, s48
	v_mul_lo_u32 v4, v4, s49
	v_sub_nc_u32_e32 v3, v3, v7
	v_mul_lo_u32 v11, v1, s53
	v_mul_lo_u32 v7, v3, s46
	;; [unrolled: 1-line block ×3, first 2 shown]
	v_sub_nc_u32_e32 v5, v5, v11
	v_add3_u32 v0, v6, v0, v7
	v_mul_lo_u32 v11, v5, s50
	v_mul_lo_u32 v5, v5, s51
	v_add3_u32 v2, v8, v2, v3
	v_add3_u32 v0, v10, v0, v11
	;; [unrolled: 1-line block ×3, first 2 shown]
	s_cbranch_scc0 .LBB23_294
	s_branch .LBB23_298
.LBB23_295:
                                        ; implicit-def: $vgpr0
                                        ; implicit-def: $vgpr2
	s_branch .LBB23_302
.LBB23_296:
	v_mov_b32_e32 v0, 0
	v_mov_b32_e32 v2, 0
	s_branch .LBB23_301
.LBB23_297:
	v_mov_b32_e32 v0, 0
	v_mov_b32_e32 v2, 0
	;; [unrolled: 1-line block ×3, first 2 shown]
	s_mov_b32 s21, 0
.LBB23_298:
	s_and_b32 s27, s28, 3
	s_cmp_eq_u32 s27, 0
	s_cbranch_scc1 .LBB23_301
; %bb.299:
	s_lshl_b32 s0, s21, 3
	s_mul_i32 s18, s21, 12
	s_add_u32 s0, s2, s0
	s_addc_u32 s1, s3, 0
	s_add_u32 s0, s0, 0xc4
	s_addc_u32 s1, s1, 0
	;; [unrolled: 2-line block ×3, first 2 shown]
	.p2align	6
.LBB23_300:                             ; =>This Inner Loop Header: Depth=1
	s_clause 0x1
	s_load_dwordx2 s[28:29], s[18:19], 0x4
	s_load_dword s21, s[18:19], 0xc
	s_load_dwordx2 s[30:31], s[0:1], 0x0
	s_add_u32 s18, s18, 12
	s_addc_u32 s19, s19, 0
	s_add_u32 s0, s0, 8
	s_addc_u32 s1, s1, 0
	s_add_i32 s27, s27, -1
	s_cmp_lg_u32 s27, 0
	s_waitcnt lgkmcnt(0)
	v_mul_hi_u32 v3, s29, v1
	v_add_nc_u32_e32 v3, v1, v3
	v_lshrrev_b32_e32 v4, s21, v3
	v_mul_lo_u32 v3, v4, s28
	v_sub_nc_u32_e32 v3, v1, v3
	v_mad_u64_u32 v[0:1], null, v3, s30, v[0:1]
	v_mad_u64_u32 v[2:3], null, v3, s31, v[2:3]
	v_mov_b32_e32 v1, v4
	s_cbranch_scc1 .LBB23_300
.LBB23_301:
	s_cbranch_execnz .LBB23_304
.LBB23_302:
	s_waitcnt lgkmcnt(0)
	v_mul_hi_u32 v0, s13, v9
	s_andn2_b32 vcc_lo, exec_lo, s26
	v_add_nc_u32_e32 v0, v9, v0
	v_lshrrev_b32_e32 v1, s14, v0
	v_mul_lo_u32 v0, v1, s12
	v_sub_nc_u32_e32 v2, v9, v0
	v_mul_lo_u32 v0, v2, s8
	v_mul_lo_u32 v2, v2, s9
	s_cbranch_vccnz .LBB23_304
; %bb.303:
	v_mul_hi_u32 v3, s16, v1
	v_add_nc_u32_e32 v3, v1, v3
	v_lshrrev_b32_e32 v3, s17, v3
	v_mul_lo_u32 v3, v3, s15
	v_sub_nc_u32_e32 v3, v1, v3
	v_mad_u64_u32 v[0:1], null, v3, s10, v[0:1]
	v_mad_u64_u32 v[2:3], null, v3, s11, v[2:3]
.LBB23_304:
	s_waitcnt lgkmcnt(0)
	global_load_ushort v1, v2, s[6:7]
                                        ; implicit-def: $vgpr4
                                        ; implicit-def: $vgpr3
	s_mov_b32 s1, exec_lo
	s_waitcnt vmcnt(0)
	v_cvt_f32_f16_e32 v1, v1
	v_and_b32_e32 v2, 0x7fffffff, v1
	v_cmpx_ngt_f32_e64 0x48000000, |v1|
	s_xor_b32 s6, exec_lo, s1
	s_cbranch_execz .LBB23_306
; %bb.305:
	s_mov_b32 s0, 0x7fffff
	v_mov_b32_e32 v5, 0
	v_and_or_b32 v12, v2, s0, 0x800000
	v_lshrrev_b32_e32 v10, 23, v2
	v_mad_u64_u32 v[3:4], null, 0xfe5163ab, v12, 0
	v_add_nc_u32_e32 v11, 0xffffff88, v10
	v_cmp_lt_u32_e32 vcc_lo, 63, v11
	v_mad_u64_u32 v[6:7], null, 0x3c439041, v12, v[4:5]
	v_cndmask_b32_e64 v13, 0, 0xffffffc0, vcc_lo
	v_mov_b32_e32 v4, v7
	v_add_nc_u32_e32 v13, v13, v11
	v_mad_u64_u32 v[7:8], null, 0xdb629599, v12, v[4:5]
	v_cmp_lt_u32_e64 s0, 31, v13
	v_cndmask_b32_e64 v14, 0, 0xffffffe0, s0
	v_mov_b32_e32 v4, v8
	v_cndmask_b32_e32 v3, v7, v3, vcc_lo
	v_mad_u64_u32 v[8:9], null, 0xf534ddc0, v12, v[4:5]
	v_mov_b32_e32 v4, v9
	v_cndmask_b32_e32 v6, v8, v6, vcc_lo
	v_mad_u64_u32 v[9:10], null, 0xfc2757d1, v12, v[4:5]
	v_cndmask_b32_e64 v3, v6, v3, s0
	v_mov_b32_e32 v4, v10
	v_mad_u64_u32 v[10:11], null, 0x4e441529, v12, v[4:5]
	v_mov_b32_e32 v4, v11
	v_add_nc_u32_e32 v11, v14, v13
	v_cndmask_b32_e32 v13, v10, v8, vcc_lo
	v_mad_u64_u32 v[4:5], null, 0xa2f9836e, v12, v[4:5]
	v_cmp_lt_u32_e64 s1, 31, v11
	v_cndmask_b32_e64 v12, 0, 0xffffffe0, s1
	v_cndmask_b32_e32 v4, v4, v9, vcc_lo
	v_cndmask_b32_e32 v5, v5, v10, vcc_lo
	;; [unrolled: 1-line block ×3, first 2 shown]
	v_add_nc_u32_e32 v10, v12, v11
	v_cndmask_b32_e64 v8, v4, v13, s0
	v_cndmask_b32_e64 v4, v5, v4, s0
	v_cndmask_b32_e64 v5, v13, v9, s0
	v_cndmask_b32_e64 v9, v9, v6, s0
	v_sub_nc_u32_e32 v11, 32, v10
	v_cmp_eq_u32_e32 vcc_lo, 0, v10
	v_cndmask_b32_e64 v4, v4, v8, s1
	v_cndmask_b32_e64 v8, v8, v5, s1
	;; [unrolled: 1-line block ×4, first 2 shown]
	v_alignbit_b32 v12, v4, v8, v11
	v_alignbit_b32 v7, v8, v5, v11
	;; [unrolled: 1-line block ×3, first 2 shown]
	v_cndmask_b32_e32 v4, v12, v4, vcc_lo
	v_cndmask_b32_e32 v6, v7, v8, vcc_lo
	;; [unrolled: 1-line block ×3, first 2 shown]
	v_bfe_u32 v7, v4, 29, 1
	v_alignbit_b32 v8, v4, v6, 30
	v_alignbit_b32 v6, v6, v5, 30
	;; [unrolled: 1-line block ×3, first 2 shown]
	v_sub_nc_u32_e32 v9, 0, v7
	v_xor_b32_e32 v8, v8, v9
	v_xor_b32_e32 v5, v6, v9
	;; [unrolled: 1-line block ×3, first 2 shown]
	v_lshrrev_b32_e32 v9, 29, v4
	v_lshrrev_b32_e32 v4, 30, v4
	v_ffbh_u32_e32 v10, v8
	v_add_nc_u32_e32 v4, v7, v4
	v_min_u32_e32 v10, 32, v10
	v_sub_nc_u32_e32 v6, 31, v10
	v_lshlrev_b32_e32 v11, 23, v10
	v_alignbit_b32 v8, v8, v5, v6
	v_alignbit_b32 v3, v5, v3, v6
	v_lshlrev_b32_e32 v5, 31, v9
	v_alignbit_b32 v6, v8, v3, 9
	v_or_b32_e32 v9, 0.5, v5
	v_lshrrev_b32_e32 v8, 9, v8
	v_or_b32_e32 v5, 0x33000000, v5
	v_ffbh_u32_e32 v12, v6
	v_sub_nc_u32_e32 v9, v9, v11
	v_min_u32_e32 v11, 32, v12
	v_or_b32_e32 v8, v8, v9
	v_not_b32_e32 v9, v11
	v_mul_f32_e32 v12, 0x3fc90fda, v8
	v_add_lshl_u32 v10, v11, v10, 23
	v_alignbit_b32 v3, v6, v3, v9
	v_fma_f32 v6, 0x3fc90fda, v8, -v12
	v_sub_nc_u32_e32 v5, v5, v10
	v_lshrrev_b32_e32 v3, 9, v3
	v_fmamk_f32 v6, v8, 0x33a22168, v6
	v_or_b32_e32 v3, v5, v3
	v_fmac_f32_e32 v6, 0x3fc90fda, v3
	v_add_f32_e32 v3, v12, v6
.LBB23_306:
	s_andn2_saveexec_b32 s0, s6
; %bb.307:
	v_mul_f32_e64 v3, 0x3f22f983, |v1|
	v_rndne_f32_e32 v4, v3
	v_fma_f32 v3, 0xbfc90fda, v4, |v1|
	v_fmamk_f32 v3, v4, 0xb3a22168, v3
	v_fmamk_f32 v3, v4, 0xa7c234c4, v3
	v_cvt_i32_f32_e32 v4, v4
; %bb.308:
	s_or_b32 exec_lo, exec_lo, s0
	v_mul_f32_e32 v5, v3, v3
	s_mov_b32 s0, 0xb94c1982
	s_mov_b32 s1, 0x37d75334
	v_and_b32_e32 v8, 1, v4
	v_lshlrev_b32_e32 v4, 30, v4
	v_fmaak_f32 v6, s0, v5, 0x3c0881c4
	v_fmaak_f32 v7, s1, v5, 0xbab64f3b
	v_xor_b32_e32 v2, v2, v1
	v_cmp_eq_u32_e32 vcc_lo, 0, v8
	v_and_b32_e32 v4, 0x80000000, v4
	v_fmaak_f32 v6, v5, v6, 0xbe2aaa9d
	v_fmaak_f32 v7, v5, v7, 0x3d2aabf7
	v_mul_f32_e32 v6, v5, v6
	v_fmaak_f32 v7, v5, v7, 0xbf000004
	v_fmac_f32_e32 v3, v3, v6
	v_fma_f32 v5, v5, v7, 1.0
	v_cndmask_b32_e32 v3, v5, v3, vcc_lo
	v_cmp_class_f32_e64 vcc_lo, v1, 0x1f8
	v_xor3_b32 v2, v2, v4, v3
	v_cndmask_b32_e32 v1, 0x7fc00000, v2, vcc_lo
	v_cvt_f16_f32_e32 v1, v1
	global_store_short v0, v1, s[4:5]
	s_or_b32 exec_lo, exec_lo, s20
                                        ; implicit-def: $vgpr20
                                        ; implicit-def: $vgpr9
	s_andn2_saveexec_b32 s0, s25
	s_cbranch_execz .LBB23_277
	s_branch .LBB23_8
	.section	.rodata,"a",@progbits
	.p2align	6, 0x0
	.amdhsa_kernel _ZN2at6native32elementwise_kernel_manual_unrollILi128ELi8EZNS0_22gpu_kernel_impl_nocastIZZZNS0_15sin_kernel_cudaERNS_18TensorIteratorBaseEENKUlvE0_clEvENKUlvE1_clEvEUlN3c104HalfEE_EEvS4_RKT_EUlibE_EEviT1_
		.amdhsa_group_segment_fixed_size 0
		.amdhsa_private_segment_fixed_size 0
		.amdhsa_kernarg_size 360
		.amdhsa_user_sgpr_count 6
		.amdhsa_user_sgpr_private_segment_buffer 1
		.amdhsa_user_sgpr_dispatch_ptr 0
		.amdhsa_user_sgpr_queue_ptr 0
		.amdhsa_user_sgpr_kernarg_segment_ptr 1
		.amdhsa_user_sgpr_dispatch_id 0
		.amdhsa_user_sgpr_flat_scratch_init 0
		.amdhsa_user_sgpr_private_segment_size 0
		.amdhsa_wavefront_size32 1
		.amdhsa_uses_dynamic_stack 0
		.amdhsa_system_sgpr_private_segment_wavefront_offset 0
		.amdhsa_system_sgpr_workgroup_id_x 1
		.amdhsa_system_sgpr_workgroup_id_y 0
		.amdhsa_system_sgpr_workgroup_id_z 0
		.amdhsa_system_sgpr_workgroup_info 0
		.amdhsa_system_vgpr_workitem_id 0
		.amdhsa_next_free_vgpr 50
		.amdhsa_next_free_sgpr 56
		.amdhsa_reserve_vcc 1
		.amdhsa_reserve_flat_scratch 0
		.amdhsa_float_round_mode_32 0
		.amdhsa_float_round_mode_16_64 0
		.amdhsa_float_denorm_mode_32 3
		.amdhsa_float_denorm_mode_16_64 3
		.amdhsa_dx10_clamp 1
		.amdhsa_ieee_mode 1
		.amdhsa_fp16_overflow 0
		.amdhsa_workgroup_processor_mode 1
		.amdhsa_memory_ordered 1
		.amdhsa_forward_progress 1
		.amdhsa_shared_vgpr_count 0
		.amdhsa_exception_fp_ieee_invalid_op 0
		.amdhsa_exception_fp_denorm_src 0
		.amdhsa_exception_fp_ieee_div_zero 0
		.amdhsa_exception_fp_ieee_overflow 0
		.amdhsa_exception_fp_ieee_underflow 0
		.amdhsa_exception_fp_ieee_inexact 0
		.amdhsa_exception_int_div_zero 0
	.end_amdhsa_kernel
	.section	.text._ZN2at6native32elementwise_kernel_manual_unrollILi128ELi8EZNS0_22gpu_kernel_impl_nocastIZZZNS0_15sin_kernel_cudaERNS_18TensorIteratorBaseEENKUlvE0_clEvENKUlvE1_clEvEUlN3c104HalfEE_EEvS4_RKT_EUlibE_EEviT1_,"axG",@progbits,_ZN2at6native32elementwise_kernel_manual_unrollILi128ELi8EZNS0_22gpu_kernel_impl_nocastIZZZNS0_15sin_kernel_cudaERNS_18TensorIteratorBaseEENKUlvE0_clEvENKUlvE1_clEvEUlN3c104HalfEE_EEvS4_RKT_EUlibE_EEviT1_,comdat
.Lfunc_end23:
	.size	_ZN2at6native32elementwise_kernel_manual_unrollILi128ELi8EZNS0_22gpu_kernel_impl_nocastIZZZNS0_15sin_kernel_cudaERNS_18TensorIteratorBaseEENKUlvE0_clEvENKUlvE1_clEvEUlN3c104HalfEE_EEvS4_RKT_EUlibE_EEviT1_, .Lfunc_end23-_ZN2at6native32elementwise_kernel_manual_unrollILi128ELi8EZNS0_22gpu_kernel_impl_nocastIZZZNS0_15sin_kernel_cudaERNS_18TensorIteratorBaseEENKUlvE0_clEvENKUlvE1_clEvEUlN3c104HalfEE_EEvS4_RKT_EUlibE_EEviT1_
                                        ; -- End function
	.set _ZN2at6native32elementwise_kernel_manual_unrollILi128ELi8EZNS0_22gpu_kernel_impl_nocastIZZZNS0_15sin_kernel_cudaERNS_18TensorIteratorBaseEENKUlvE0_clEvENKUlvE1_clEvEUlN3c104HalfEE_EEvS4_RKT_EUlibE_EEviT1_.num_vgpr, 50
	.set _ZN2at6native32elementwise_kernel_manual_unrollILi128ELi8EZNS0_22gpu_kernel_impl_nocastIZZZNS0_15sin_kernel_cudaERNS_18TensorIteratorBaseEENKUlvE0_clEvENKUlvE1_clEvEUlN3c104HalfEE_EEvS4_RKT_EUlibE_EEviT1_.num_agpr, 0
	.set _ZN2at6native32elementwise_kernel_manual_unrollILi128ELi8EZNS0_22gpu_kernel_impl_nocastIZZZNS0_15sin_kernel_cudaERNS_18TensorIteratorBaseEENKUlvE0_clEvENKUlvE1_clEvEUlN3c104HalfEE_EEvS4_RKT_EUlibE_EEviT1_.numbered_sgpr, 56
	.set _ZN2at6native32elementwise_kernel_manual_unrollILi128ELi8EZNS0_22gpu_kernel_impl_nocastIZZZNS0_15sin_kernel_cudaERNS_18TensorIteratorBaseEENKUlvE0_clEvENKUlvE1_clEvEUlN3c104HalfEE_EEvS4_RKT_EUlibE_EEviT1_.num_named_barrier, 0
	.set _ZN2at6native32elementwise_kernel_manual_unrollILi128ELi8EZNS0_22gpu_kernel_impl_nocastIZZZNS0_15sin_kernel_cudaERNS_18TensorIteratorBaseEENKUlvE0_clEvENKUlvE1_clEvEUlN3c104HalfEE_EEvS4_RKT_EUlibE_EEviT1_.private_seg_size, 0
	.set _ZN2at6native32elementwise_kernel_manual_unrollILi128ELi8EZNS0_22gpu_kernel_impl_nocastIZZZNS0_15sin_kernel_cudaERNS_18TensorIteratorBaseEENKUlvE0_clEvENKUlvE1_clEvEUlN3c104HalfEE_EEvS4_RKT_EUlibE_EEviT1_.uses_vcc, 1
	.set _ZN2at6native32elementwise_kernel_manual_unrollILi128ELi8EZNS0_22gpu_kernel_impl_nocastIZZZNS0_15sin_kernel_cudaERNS_18TensorIteratorBaseEENKUlvE0_clEvENKUlvE1_clEvEUlN3c104HalfEE_EEvS4_RKT_EUlibE_EEviT1_.uses_flat_scratch, 0
	.set _ZN2at6native32elementwise_kernel_manual_unrollILi128ELi8EZNS0_22gpu_kernel_impl_nocastIZZZNS0_15sin_kernel_cudaERNS_18TensorIteratorBaseEENKUlvE0_clEvENKUlvE1_clEvEUlN3c104HalfEE_EEvS4_RKT_EUlibE_EEviT1_.has_dyn_sized_stack, 0
	.set _ZN2at6native32elementwise_kernel_manual_unrollILi128ELi8EZNS0_22gpu_kernel_impl_nocastIZZZNS0_15sin_kernel_cudaERNS_18TensorIteratorBaseEENKUlvE0_clEvENKUlvE1_clEvEUlN3c104HalfEE_EEvS4_RKT_EUlibE_EEviT1_.has_recursion, 0
	.set _ZN2at6native32elementwise_kernel_manual_unrollILi128ELi8EZNS0_22gpu_kernel_impl_nocastIZZZNS0_15sin_kernel_cudaERNS_18TensorIteratorBaseEENKUlvE0_clEvENKUlvE1_clEvEUlN3c104HalfEE_EEvS4_RKT_EUlibE_EEviT1_.has_indirect_call, 0
	.section	.AMDGPU.csdata,"",@progbits
; Kernel info:
; codeLenInByte = 24716
; TotalNumSgprs: 58
; NumVgprs: 50
; ScratchSize: 0
; MemoryBound: 0
; FloatMode: 240
; IeeeMode: 1
; LDSByteSize: 0 bytes/workgroup (compile time only)
; SGPRBlocks: 0
; VGPRBlocks: 6
; NumSGPRsForWavesPerEU: 58
; NumVGPRsForWavesPerEU: 50
; Occupancy: 16
; WaveLimiterHint : 1
; COMPUTE_PGM_RSRC2:SCRATCH_EN: 0
; COMPUTE_PGM_RSRC2:USER_SGPR: 6
; COMPUTE_PGM_RSRC2:TRAP_HANDLER: 0
; COMPUTE_PGM_RSRC2:TGID_X_EN: 1
; COMPUTE_PGM_RSRC2:TGID_Y_EN: 0
; COMPUTE_PGM_RSRC2:TGID_Z_EN: 0
; COMPUTE_PGM_RSRC2:TIDIG_COMP_CNT: 0
	.section	.text._ZN2at6native32elementwise_kernel_manual_unrollILi128ELi4EZNS0_15gpu_kernel_implIZZZNS0_15sin_kernel_cudaERNS_18TensorIteratorBaseEENKUlvE0_clEvENKUlvE1_clEvEUlN3c104HalfEE_EEvS4_RKT_EUlibE_EEviT1_,"axG",@progbits,_ZN2at6native32elementwise_kernel_manual_unrollILi128ELi4EZNS0_15gpu_kernel_implIZZZNS0_15sin_kernel_cudaERNS_18TensorIteratorBaseEENKUlvE0_clEvENKUlvE1_clEvEUlN3c104HalfEE_EEvS4_RKT_EUlibE_EEviT1_,comdat
	.globl	_ZN2at6native32elementwise_kernel_manual_unrollILi128ELi4EZNS0_15gpu_kernel_implIZZZNS0_15sin_kernel_cudaERNS_18TensorIteratorBaseEENKUlvE0_clEvENKUlvE1_clEvEUlN3c104HalfEE_EEvS4_RKT_EUlibE_EEviT1_ ; -- Begin function _ZN2at6native32elementwise_kernel_manual_unrollILi128ELi4EZNS0_15gpu_kernel_implIZZZNS0_15sin_kernel_cudaERNS_18TensorIteratorBaseEENKUlvE0_clEvENKUlvE1_clEvEUlN3c104HalfEE_EEvS4_RKT_EUlibE_EEviT1_
	.p2align	8
	.type	_ZN2at6native32elementwise_kernel_manual_unrollILi128ELi4EZNS0_15gpu_kernel_implIZZZNS0_15sin_kernel_cudaERNS_18TensorIteratorBaseEENKUlvE0_clEvENKUlvE1_clEvEUlN3c104HalfEE_EEvS4_RKT_EUlibE_EEviT1_,@function
_ZN2at6native32elementwise_kernel_manual_unrollILi128ELi4EZNS0_15gpu_kernel_implIZZZNS0_15sin_kernel_cudaERNS_18TensorIteratorBaseEENKUlvE0_clEvENKUlvE1_clEvEUlN3c104HalfEE_EEvS4_RKT_EUlibE_EEviT1_: ; @_ZN2at6native32elementwise_kernel_manual_unrollILi128ELi4EZNS0_15gpu_kernel_implIZZZNS0_15sin_kernel_cudaERNS_18TensorIteratorBaseEENKUlvE0_clEvENKUlvE1_clEvEUlN3c104HalfEE_EEvS4_RKT_EUlibE_EEviT1_
; %bb.0:
	v_mov_b32_e32 v1, 0
	s_clause 0x2
	s_load_dword s13, s[4:5], 0x0
	s_load_dwordx2 s[2:3], s[4:5], 0x18
	s_load_dwordx4 s[8:11], s[4:5], 0x8
	v_lshl_or_b32 v2, s6, 9, v0
	s_mov_b32 s12, 0
	global_load_ushort v1, v1, s[4:5] offset:33
	s_mov_b32 s5, 0
	v_or_b32_e32 v0, 0x180, v2
	s_waitcnt vmcnt(0)
	v_readfirstlane_b32 s4, v1
	s_and_b32 s0, 0xffff, s4
	s_lshr_b32 s6, s0, 8
	s_mov_b32 s0, exec_lo
	s_waitcnt lgkmcnt(0)
	v_cmpx_le_i32_e64 s13, v0
	s_xor_b32 s7, exec_lo, s0
	s_cbranch_execz .LBB24_1044
; %bb.1:
	s_mov_b32 s1, -1
	s_mov_b32 s16, 0
	s_mov_b32 s14, 0
	s_mov_b32 s15, exec_lo
	v_cmpx_gt_i32_e64 s13, v2
	s_cbranch_execz .LBB24_256
; %bb.2:
	v_mul_lo_u32 v0, v2, s3
	s_and_b32 s0, 0xffff, s6
	s_cmp_lt_i32 s0, 11
	v_ashrrev_i32_e32 v1, 31, v0
	v_add_co_u32 v0, vcc_lo, s10, v0
	v_add_co_ci_u32_e64 v1, null, s11, v1, vcc_lo
	s_cbranch_scc1 .LBB24_9
; %bb.3:
	s_cmp_gt_i32 s0, 25
	s_cbranch_scc0 .LBB24_61
; %bb.4:
	s_cmp_gt_i32 s0, 28
	s_cbranch_scc0 .LBB24_62
	;; [unrolled: 3-line block ×4, first 2 shown]
; %bb.7:
	s_cmp_eq_u32 s0, 46
	s_cbranch_scc0 .LBB24_68
; %bb.8:
	global_load_dword v3, v[0:1], off
	s_waitcnt vmcnt(0)
	v_lshlrev_b32_e32 v3, 16, v3
	v_cvt_f16_f32_e32 v3, v3
	s_branch .LBB24_70
.LBB24_9:
	s_mov_b32 s1, 0
                                        ; implicit-def: $vgpr3
	s_cbranch_execnz .LBB24_206
.LBB24_10:
	s_andn2_b32 vcc_lo, exec_lo, s1
	s_cbranch_vccnz .LBB24_253
.LBB24_11:
	s_waitcnt vmcnt(0)
	v_cvt_f32_f16_e32 v0, v3
                                        ; implicit-def: $vgpr4
                                        ; implicit-def: $vgpr3
	s_mov_b32 s1, exec_lo
	v_and_b32_e32 v1, 0x7fffffff, v0
	v_cmpx_ngt_f32_e64 0x48000000, |v0|
	s_xor_b32 s12, exec_lo, s1
	s_cbranch_execz .LBB24_13
; %bb.12:
	s_mov_b32 s0, 0x7fffff
	v_mov_b32_e32 v5, 0
	v_and_or_b32 v12, v1, s0, 0x800000
	v_lshrrev_b32_e32 v10, 23, v1
	v_mad_u64_u32 v[3:4], null, 0xfe5163ab, v12, 0
	v_add_nc_u32_e32 v11, 0xffffff88, v10
	v_cmp_lt_u32_e32 vcc_lo, 63, v11
	v_mad_u64_u32 v[6:7], null, 0x3c439041, v12, v[4:5]
	v_cndmask_b32_e64 v13, 0, 0xffffffc0, vcc_lo
	v_mov_b32_e32 v4, v7
	v_add_nc_u32_e32 v13, v13, v11
	v_mad_u64_u32 v[7:8], null, 0xdb629599, v12, v[4:5]
	v_cmp_lt_u32_e64 s0, 31, v13
	v_cndmask_b32_e64 v14, 0, 0xffffffe0, s0
	v_mov_b32_e32 v4, v8
	v_cndmask_b32_e32 v3, v7, v3, vcc_lo
	v_mad_u64_u32 v[8:9], null, 0xf534ddc0, v12, v[4:5]
	v_mov_b32_e32 v4, v9
	v_cndmask_b32_e32 v6, v8, v6, vcc_lo
	v_mad_u64_u32 v[9:10], null, 0xfc2757d1, v12, v[4:5]
	v_cndmask_b32_e64 v3, v6, v3, s0
	v_mov_b32_e32 v4, v10
	v_mad_u64_u32 v[10:11], null, 0x4e441529, v12, v[4:5]
	v_mov_b32_e32 v4, v11
	v_add_nc_u32_e32 v11, v14, v13
	v_cndmask_b32_e32 v13, v10, v8, vcc_lo
	v_mad_u64_u32 v[4:5], null, 0xa2f9836e, v12, v[4:5]
	v_cmp_lt_u32_e64 s1, 31, v11
	v_cndmask_b32_e64 v12, 0, 0xffffffe0, s1
	v_cndmask_b32_e32 v4, v4, v9, vcc_lo
	v_cndmask_b32_e32 v5, v5, v10, vcc_lo
	;; [unrolled: 1-line block ×3, first 2 shown]
	v_add_nc_u32_e32 v10, v12, v11
	v_cndmask_b32_e64 v8, v4, v13, s0
	v_cndmask_b32_e64 v4, v5, v4, s0
	;; [unrolled: 1-line block ×4, first 2 shown]
	v_sub_nc_u32_e32 v11, 32, v10
	v_cmp_eq_u32_e32 vcc_lo, 0, v10
	v_cndmask_b32_e64 v4, v4, v8, s1
	v_cndmask_b32_e64 v8, v8, v5, s1
	;; [unrolled: 1-line block ×4, first 2 shown]
	v_alignbit_b32 v12, v4, v8, v11
	v_alignbit_b32 v7, v8, v5, v11
	;; [unrolled: 1-line block ×3, first 2 shown]
	v_cndmask_b32_e32 v4, v12, v4, vcc_lo
	v_cndmask_b32_e32 v6, v7, v8, vcc_lo
	;; [unrolled: 1-line block ×3, first 2 shown]
	v_bfe_u32 v7, v4, 29, 1
	v_alignbit_b32 v8, v4, v6, 30
	v_alignbit_b32 v6, v6, v5, 30
	;; [unrolled: 1-line block ×3, first 2 shown]
	v_sub_nc_u32_e32 v9, 0, v7
	v_xor_b32_e32 v8, v8, v9
	v_xor_b32_e32 v5, v6, v9
	;; [unrolled: 1-line block ×3, first 2 shown]
	v_lshrrev_b32_e32 v9, 29, v4
	v_lshrrev_b32_e32 v4, 30, v4
	v_ffbh_u32_e32 v10, v8
	v_add_nc_u32_e32 v4, v7, v4
	v_min_u32_e32 v10, 32, v10
	v_sub_nc_u32_e32 v6, 31, v10
	v_lshlrev_b32_e32 v11, 23, v10
	v_alignbit_b32 v8, v8, v5, v6
	v_alignbit_b32 v3, v5, v3, v6
	v_lshlrev_b32_e32 v5, 31, v9
	v_alignbit_b32 v6, v8, v3, 9
	v_or_b32_e32 v9, 0.5, v5
	v_lshrrev_b32_e32 v8, 9, v8
	v_or_b32_e32 v5, 0x33000000, v5
	v_ffbh_u32_e32 v12, v6
	v_sub_nc_u32_e32 v9, v9, v11
	v_min_u32_e32 v11, 32, v12
	v_or_b32_e32 v8, v8, v9
	v_not_b32_e32 v9, v11
	v_mul_f32_e32 v12, 0x3fc90fda, v8
	v_add_lshl_u32 v10, v11, v10, 23
	v_alignbit_b32 v3, v6, v3, v9
	v_fma_f32 v6, 0x3fc90fda, v8, -v12
	v_sub_nc_u32_e32 v5, v5, v10
	v_lshrrev_b32_e32 v3, 9, v3
	v_fmamk_f32 v6, v8, 0x33a22168, v6
	v_or_b32_e32 v3, v5, v3
	v_fmac_f32_e32 v6, 0x3fc90fda, v3
	v_add_f32_e32 v3, v12, v6
.LBB24_13:
	s_andn2_saveexec_b32 s0, s12
; %bb.14:
	v_mul_f32_e64 v3, 0x3f22f983, |v0|
	v_rndne_f32_e32 v4, v3
	v_fma_f32 v3, 0xbfc90fda, v4, |v0|
	v_fmamk_f32 v3, v4, 0xb3a22168, v3
	v_fmamk_f32 v3, v4, 0xa7c234c4, v3
	v_cvt_i32_f32_e32 v4, v4
; %bb.15:
	s_or_b32 exec_lo, exec_lo, s0
	v_mul_f32_e32 v5, v3, v3
	s_mov_b32 s0, 0xb94c1982
	s_mov_b32 s1, 0x37d75334
	v_and_b32_e32 v8, 1, v4
	v_lshlrev_b32_e32 v4, 30, v4
	v_fmaak_f32 v6, s0, v5, 0x3c0881c4
	v_fmaak_f32 v7, s1, v5, 0xbab64f3b
	v_xor_b32_e32 v1, v1, v0
	v_cmp_eq_u32_e32 vcc_lo, 0, v8
	v_and_b32_e32 v4, 0x80000000, v4
	v_fmaak_f32 v6, v5, v6, 0xbe2aaa9d
	v_fmaak_f32 v7, v5, v7, 0x3d2aabf7
	s_and_b32 s1, s4, 0xff
	s_mov_b32 s0, 0
	s_mov_b32 s12, -1
	v_mul_f32_e32 v6, v5, v6
	v_fmaak_f32 v7, v5, v7, 0xbf000004
	s_cmp_lt_i32 s1, 11
	s_mov_b32 s17, 0
	v_fmac_f32_e32 v3, v3, v6
	v_fma_f32 v5, v5, v7, 1.0
	v_cndmask_b32_e32 v3, v5, v3, vcc_lo
	v_mul_lo_u32 v5, v2, s2
	v_cmp_class_f32_e64 vcc_lo, v0, 0x1f8
	v_xor3_b32 v1, v1, v4, v3
	v_ashrrev_i32_e32 v3, 31, v5
	v_cndmask_b32_e32 v4, 0x7fc00000, v1, vcc_lo
	v_add_co_u32 v0, vcc_lo, s8, v5
	v_add_co_ci_u32_e64 v1, null, s9, v3, vcc_lo
	v_cvt_f16_f32_e32 v3, v4
	s_cbranch_scc1 .LBB24_22
; %bb.16:
	s_and_b32 s12, 0xffff, s1
	s_cmp_gt_i32 s12, 25
	s_cbranch_scc0 .LBB24_63
; %bb.17:
	s_cmp_gt_i32 s12, 28
	s_cbranch_scc0 .LBB24_65
; %bb.18:
	;; [unrolled: 3-line block ×4, first 2 shown]
	s_mov_b32 s18, 0
	s_mov_b32 s0, -1
	s_cmp_eq_u32 s12, 46
	s_cbranch_scc0 .LBB24_74
; %bb.21:
	v_cvt_f32_f16_e32 v4, v3
	v_cmp_o_f16_e32 vcc_lo, v3, v3
	s_mov_b32 s17, -1
	s_mov_b32 s0, 0
	v_bfe_u32 v5, v4, 16, 1
	v_add3_u32 v4, v4, v5, 0x7fff
	v_mov_b32_e32 v5, 0x7fc0
	v_cndmask_b32_sdwa v4, v5, v4, vcc_lo dst_sel:DWORD dst_unused:UNUSED_PAD src0_sel:DWORD src1_sel:WORD_1
	global_store_dword v[0:1], v4, off
	s_branch .LBB24_74
.LBB24_22:
	s_and_b32 vcc_lo, exec_lo, s12
	s_cbranch_vccz .LBB24_143
; %bb.23:
	s_and_b32 s1, 0xffff, s1
	s_mov_b32 s12, -1
	s_cmp_lt_i32 s1, 5
	s_cbranch_scc1 .LBB24_44
; %bb.24:
	s_cmp_lt_i32 s1, 8
	s_cbranch_scc1 .LBB24_34
; %bb.25:
	s_cmp_lt_i32 s1, 9
	s_cbranch_scc1 .LBB24_31
; %bb.26:
	s_cmp_gt_i32 s1, 9
	s_cbranch_scc0 .LBB24_28
; %bb.27:
	v_cvt_f32_f16_e32 v4, v3
	v_mov_b32_e32 v6, 0
	s_mov_b32 s12, 0
	v_cvt_f64_f32_e32 v[4:5], v4
	v_mov_b32_e32 v7, v6
	global_store_dwordx4 v[0:1], v[4:7], off
.LBB24_28:
	s_andn2_b32 vcc_lo, exec_lo, s12
	s_cbranch_vccnz .LBB24_30
; %bb.29:
	v_cvt_f32_f16_e32 v4, v3
	v_mov_b32_e32 v5, 0
	global_store_dwordx2 v[0:1], v[4:5], off
.LBB24_30:
	s_mov_b32 s12, 0
.LBB24_31:
	s_andn2_b32 vcc_lo, exec_lo, s12
	s_cbranch_vccnz .LBB24_33
; %bb.32:
	v_and_b32_e32 v4, 0xffff, v3
	global_store_dword v[0:1], v4, off
.LBB24_33:
	s_mov_b32 s12, 0
.LBB24_34:
	s_andn2_b32 vcc_lo, exec_lo, s12
	s_cbranch_vccnz .LBB24_43
; %bb.35:
	s_cmp_lt_i32 s1, 6
	s_mov_b32 s12, -1
	s_cbranch_scc1 .LBB24_41
; %bb.36:
	s_cmp_gt_i32 s1, 6
	s_cbranch_scc0 .LBB24_38
; %bb.37:
	v_cvt_f32_f16_e32 v4, v3
	s_mov_b32 s12, 0
	v_cvt_f64_f32_e32 v[4:5], v4
	global_store_dwordx2 v[0:1], v[4:5], off
.LBB24_38:
	s_andn2_b32 vcc_lo, exec_lo, s12
	s_cbranch_vccnz .LBB24_40
; %bb.39:
	v_cvt_f32_f16_e32 v4, v3
	global_store_dword v[0:1], v4, off
.LBB24_40:
	s_mov_b32 s12, 0
.LBB24_41:
	s_andn2_b32 vcc_lo, exec_lo, s12
	s_cbranch_vccnz .LBB24_43
; %bb.42:
	global_store_short v[0:1], v3, off
.LBB24_43:
	s_mov_b32 s12, 0
.LBB24_44:
	s_andn2_b32 vcc_lo, exec_lo, s12
	s_cbranch_vccnz .LBB24_60
; %bb.45:
	s_cmp_lt_i32 s1, 2
	s_mov_b32 s12, -1
	s_cbranch_scc1 .LBB24_55
; %bb.46:
	s_cmp_lt_i32 s1, 3
	s_cbranch_scc1 .LBB24_52
; %bb.47:
	s_cmp_gt_i32 s1, 3
	s_cbranch_scc0 .LBB24_49
; %bb.48:
	v_cvt_f32_f16_e32 v4, v3
	s_mov_b32 s12, 0
	v_cvt_i32_f32_e32 v4, v4
	v_ashrrev_i32_e32 v5, 31, v4
	global_store_dwordx2 v[0:1], v[4:5], off
.LBB24_49:
	s_andn2_b32 vcc_lo, exec_lo, s12
	s_cbranch_vccnz .LBB24_51
; %bb.50:
	v_cvt_f32_f16_e32 v4, v3
	v_cvt_i32_f32_e32 v4, v4
	global_store_dword v[0:1], v4, off
.LBB24_51:
	s_mov_b32 s12, 0
.LBB24_52:
	s_andn2_b32 vcc_lo, exec_lo, s12
	s_cbranch_vccnz .LBB24_54
; %bb.53:
	v_cvt_i16_f16_e32 v4, v3
	global_store_short v[0:1], v4, off
.LBB24_54:
	s_mov_b32 s12, 0
.LBB24_55:
	s_andn2_b32 vcc_lo, exec_lo, s12
	s_cbranch_vccnz .LBB24_60
; %bb.56:
	s_cmp_gt_i32 s1, 0
	s_mov_b32 s1, -1
	s_cbranch_scc0 .LBB24_58
; %bb.57:
	v_cvt_i16_f16_e32 v4, v3
	s_mov_b32 s1, 0
	global_store_byte v[0:1], v4, off
.LBB24_58:
	s_andn2_b32 vcc_lo, exec_lo, s1
	s_cbranch_vccnz .LBB24_60
; %bb.59:
	v_cvt_f32_f16_e32 v3, v3
	v_cvt_i32_f32_e32 v3, v3
	global_store_byte v[0:1], v3, off
.LBB24_60:
	s_branch .LBB24_144
.LBB24_61:
	s_mov_b32 s1, 0
                                        ; implicit-def: $vgpr3
	s_cbranch_execnz .LBB24_171
	s_branch .LBB24_205
.LBB24_62:
	s_mov_b32 s12, -1
	s_mov_b32 s1, 0
                                        ; implicit-def: $vgpr3
	s_branch .LBB24_152
.LBB24_63:
	s_mov_b32 s18, -1
	s_branch .LBB24_101
.LBB24_64:
	s_mov_b32 s12, -1
	s_mov_b32 s1, 0
                                        ; implicit-def: $vgpr3
	s_branch .LBB24_147
.LBB24_65:
	s_mov_b32 s18, -1
	s_branch .LBB24_84
.LBB24_66:
	s_mov_b32 s12, -1
	s_branch .LBB24_69
.LBB24_67:
	s_mov_b32 s18, -1
	s_branch .LBB24_80
.LBB24_68:
	s_mov_b32 s14, -1
.LBB24_69:
	s_mov_b32 s1, 0
                                        ; implicit-def: $vgpr3
.LBB24_70:
	s_and_b32 vcc_lo, exec_lo, s12
	s_cbranch_vccz .LBB24_146
; %bb.71:
	s_cmp_eq_u32 s0, 44
	s_cbranch_scc0 .LBB24_145
; %bb.72:
	global_load_ubyte v3, v[0:1], off
	s_mov_b32 s14, 0
	s_mov_b32 s1, -1
	s_waitcnt vmcnt(0)
	v_lshlrev_b32_e32 v4, 23, v3
	v_cmp_ne_u32_e32 vcc_lo, 0xff, v3
	v_cvt_f16_f32_e32 v4, v4
	v_cndmask_b32_e32 v4, 0x7e00, v4, vcc_lo
	v_cmp_ne_u32_e32 vcc_lo, 0, v3
	v_cndmask_b32_e32 v3, 0, v4, vcc_lo
	s_branch .LBB24_146
.LBB24_73:
	s_mov_b32 s18, -1
.LBB24_74:
	s_and_b32 vcc_lo, exec_lo, s18
	s_cbranch_vccz .LBB24_79
; %bb.75:
	s_cmp_eq_u32 s12, 44
	s_mov_b32 s0, -1
	s_cbranch_scc0 .LBB24_79
; %bb.76:
	v_cvt_f32_f16_e32 v4, v3
	v_mov_b32_e32 v5, 0xff
	s_mov_b32 s17, exec_lo
	v_bfe_u32 v6, v4, 23, 8
	v_cmpx_ne_u32_e32 0xff, v6
	s_cbranch_execz .LBB24_78
; %bb.77:
	v_and_b32_e32 v5, 0x400000, v4
	v_and_or_b32 v6, 0x3fffff, v4, v6
	v_lshrrev_b32_e32 v4, 23, v4
	v_cmp_ne_u32_e32 vcc_lo, 0, v5
	v_cmp_ne_u32_e64 s0, 0, v6
	s_and_b32 s0, vcc_lo, s0
	v_cndmask_b32_e64 v5, 0, 1, s0
	v_add_nc_u32_e32 v5, v4, v5
.LBB24_78:
	s_or_b32 exec_lo, exec_lo, s17
	s_mov_b32 s17, -1
	s_mov_b32 s0, 0
	global_store_byte v[0:1], v5, off
.LBB24_79:
	s_mov_b32 s18, 0
.LBB24_80:
	s_and_b32 vcc_lo, exec_lo, s18
	s_cbranch_vccz .LBB24_83
; %bb.81:
	s_cmp_eq_u32 s12, 29
	s_mov_b32 s0, -1
	s_cbranch_scc0 .LBB24_83
; %bb.82:
	v_cvt_f32_f16_e32 v4, v3
	v_mov_b32_e32 v5, 0
	s_mov_b32 s17, -1
	s_mov_b32 s0, 0
	s_mov_b32 s18, 0
	v_cvt_u32_f32_e32 v4, v4
	global_store_dwordx2 v[0:1], v[4:5], off
	s_branch .LBB24_84
.LBB24_83:
	s_mov_b32 s18, 0
.LBB24_84:
	s_and_b32 vcc_lo, exec_lo, s18
	s_cbranch_vccz .LBB24_100
; %bb.85:
	s_cmp_lt_i32 s12, 27
	s_mov_b32 s17, -1
	s_cbranch_scc1 .LBB24_91
; %bb.86:
	s_cmp_gt_i32 s12, 27
	s_cbranch_scc0 .LBB24_88
; %bb.87:
	v_cvt_f32_f16_e32 v4, v3
	s_mov_b32 s17, 0
	v_cvt_u32_f32_e32 v4, v4
	global_store_dword v[0:1], v4, off
.LBB24_88:
	s_andn2_b32 vcc_lo, exec_lo, s17
	s_cbranch_vccnz .LBB24_90
; %bb.89:
	v_cvt_u16_f16_e32 v4, v3
	global_store_short v[0:1], v4, off
.LBB24_90:
	s_mov_b32 s17, 0
.LBB24_91:
	s_andn2_b32 vcc_lo, exec_lo, s17
	s_cbranch_vccnz .LBB24_99
; %bb.92:
	v_cvt_f32_f16_e32 v4, v3
	v_mov_b32_e32 v6, 0x80
	s_mov_b32 s17, exec_lo
	v_and_b32_e32 v5, 0x7fffffff, v4
	v_cmpx_gt_u32_e32 0x43800000, v5
	s_cbranch_execz .LBB24_98
; %bb.93:
	v_cmp_lt_u32_e32 vcc_lo, 0x3bffffff, v5
	s_mov_b32 s18, 0
                                        ; implicit-def: $vgpr5
	s_and_saveexec_b32 s19, vcc_lo
	s_xor_b32 s19, exec_lo, s19
	s_cbranch_execz .LBB24_326
; %bb.94:
	v_bfe_u32 v5, v4, 20, 1
	s_mov_b32 s18, exec_lo
	v_add3_u32 v5, v4, v5, 0x487ffff
	v_lshrrev_b32_e32 v5, 20, v5
	s_andn2_saveexec_b32 s19, s19
	s_cbranch_execnz .LBB24_327
.LBB24_95:
	s_or_b32 exec_lo, exec_lo, s19
	v_mov_b32_e32 v6, 0
	s_and_saveexec_b32 s19, s18
.LBB24_96:
	v_lshrrev_b32_e32 v4, 24, v4
	v_and_or_b32 v6, 0x80, v4, v5
.LBB24_97:
	s_or_b32 exec_lo, exec_lo, s19
.LBB24_98:
	s_or_b32 exec_lo, exec_lo, s17
	global_store_byte v[0:1], v6, off
.LBB24_99:
	s_mov_b32 s17, -1
.LBB24_100:
	s_mov_b32 s18, 0
.LBB24_101:
	s_and_b32 vcc_lo, exec_lo, s18
	s_cbranch_vccz .LBB24_142
; %bb.102:
	s_cmp_gt_i32 s12, 22
	s_mov_b32 s18, -1
	s_cbranch_scc0 .LBB24_134
; %bb.103:
	s_cmp_lt_i32 s12, 24
	s_mov_b32 s17, -1
	s_cbranch_scc1 .LBB24_123
; %bb.104:
	s_cmp_gt_i32 s12, 24
	s_cbranch_scc0 .LBB24_112
; %bb.105:
	v_cvt_f32_f16_e32 v4, v3
	v_mov_b32_e32 v6, 0x80
	s_mov_b32 s17, exec_lo
	v_and_b32_e32 v5, 0x7fffffff, v4
	v_cmpx_gt_u32_e32 0x47800000, v5
	s_cbranch_execz .LBB24_111
; %bb.106:
	v_cmp_lt_u32_e32 vcc_lo, 0x37ffffff, v5
	s_mov_b32 s18, 0
                                        ; implicit-def: $vgpr5
	s_and_saveexec_b32 s19, vcc_lo
	s_xor_b32 s19, exec_lo, s19
	s_cbranch_execz .LBB24_330
; %bb.107:
	v_bfe_u32 v5, v4, 21, 1
	s_mov_b32 s18, exec_lo
	v_add3_u32 v5, v4, v5, 0x88fffff
	v_lshrrev_b32_e32 v5, 21, v5
	s_andn2_saveexec_b32 s19, s19
	s_cbranch_execnz .LBB24_331
.LBB24_108:
	s_or_b32 exec_lo, exec_lo, s19
	v_mov_b32_e32 v6, 0
	s_and_saveexec_b32 s19, s18
.LBB24_109:
	v_lshrrev_b32_e32 v4, 24, v4
	v_and_or_b32 v6, 0x80, v4, v5
.LBB24_110:
	s_or_b32 exec_lo, exec_lo, s19
.LBB24_111:
	s_or_b32 exec_lo, exec_lo, s17
	s_mov_b32 s17, 0
	global_store_byte v[0:1], v6, off
.LBB24_112:
	s_and_b32 vcc_lo, exec_lo, s17
	s_cbranch_vccz .LBB24_122
; %bb.113:
	v_cvt_f32_f16_e32 v4, v3
	s_mov_b32 s17, exec_lo
                                        ; implicit-def: $vgpr5
	v_and_b32_e32 v6, 0x7fffffff, v4
	v_cmpx_gt_u32_e32 0x43f00000, v6
	s_xor_b32 s17, exec_lo, s17
	s_cbranch_execz .LBB24_119
; %bb.114:
	s_mov_b32 s18, exec_lo
                                        ; implicit-def: $vgpr5
	v_cmpx_lt_u32_e32 0x3c7fffff, v6
	s_xor_b32 s18, exec_lo, s18
; %bb.115:
	v_bfe_u32 v5, v4, 20, 1
	v_add3_u32 v5, v4, v5, 0x407ffff
	v_and_b32_e32 v6, 0xff00000, v5
	v_lshrrev_b32_e32 v5, 20, v5
	v_cmp_ne_u32_e32 vcc_lo, 0x7f00000, v6
	v_cndmask_b32_e32 v5, 0x7e, v5, vcc_lo
; %bb.116:
	s_andn2_saveexec_b32 s18, s18
; %bb.117:
	v_add_f32_e64 v5, 0x46800000, |v4|
; %bb.118:
	s_or_b32 exec_lo, exec_lo, s18
                                        ; implicit-def: $vgpr6
.LBB24_119:
	s_andn2_saveexec_b32 s17, s17
; %bb.120:
	v_mov_b32_e32 v5, 0x7f
	v_cmp_lt_u32_e32 vcc_lo, 0x7f800000, v6
	v_cndmask_b32_e32 v5, 0x7e, v5, vcc_lo
; %bb.121:
	s_or_b32 exec_lo, exec_lo, s17
	v_lshrrev_b32_e32 v4, 24, v4
	v_and_or_b32 v4, 0x80, v4, v5
	global_store_byte v[0:1], v4, off
.LBB24_122:
	s_mov_b32 s17, 0
.LBB24_123:
	s_andn2_b32 vcc_lo, exec_lo, s17
	s_cbranch_vccnz .LBB24_133
; %bb.124:
	v_cvt_f32_f16_e32 v4, v3
	s_mov_b32 s17, exec_lo
                                        ; implicit-def: $vgpr5
	v_and_b32_e32 v6, 0x7fffffff, v4
	v_cmpx_gt_u32_e32 0x47800000, v6
	s_xor_b32 s17, exec_lo, s17
	s_cbranch_execz .LBB24_130
; %bb.125:
	s_mov_b32 s18, exec_lo
                                        ; implicit-def: $vgpr5
	v_cmpx_lt_u32_e32 0x387fffff, v6
	s_xor_b32 s18, exec_lo, s18
; %bb.126:
	v_bfe_u32 v5, v4, 21, 1
	v_add3_u32 v5, v4, v5, 0x80fffff
	v_lshrrev_b32_e32 v5, 21, v5
; %bb.127:
	s_andn2_saveexec_b32 s18, s18
; %bb.128:
	v_add_f32_e64 v5, 0x43000000, |v4|
; %bb.129:
	s_or_b32 exec_lo, exec_lo, s18
                                        ; implicit-def: $vgpr6
.LBB24_130:
	s_andn2_saveexec_b32 s17, s17
; %bb.131:
	v_mov_b32_e32 v5, 0x7f
	v_cmp_lt_u32_e32 vcc_lo, 0x7f800000, v6
	v_cndmask_b32_e32 v5, 0x7c, v5, vcc_lo
; %bb.132:
	s_or_b32 exec_lo, exec_lo, s17
	v_lshrrev_b32_e32 v4, 24, v4
	v_and_or_b32 v4, 0x80, v4, v5
	global_store_byte v[0:1], v4, off
.LBB24_133:
	s_mov_b32 s18, 0
	s_mov_b32 s17, -1
.LBB24_134:
	s_andn2_b32 vcc_lo, exec_lo, s18
	s_cbranch_vccnz .LBB24_142
; %bb.135:
	s_cmp_gt_i32 s12, 14
	s_mov_b32 s18, -1
	s_cbranch_scc0 .LBB24_139
; %bb.136:
	s_cmp_eq_u32 s12, 15
	s_mov_b32 s0, -1
	s_cbranch_scc0 .LBB24_138
; %bb.137:
	v_cvt_f32_f16_e32 v4, v3
	v_cmp_o_f16_e32 vcc_lo, v3, v3
	s_mov_b32 s17, -1
	s_mov_b32 s0, 0
	v_bfe_u32 v5, v4, 16, 1
	v_add3_u32 v4, v4, v5, 0x7fff
	v_mov_b32_e32 v5, 0x7fc0
	v_cndmask_b32_sdwa v4, v5, v4, vcc_lo dst_sel:DWORD dst_unused:UNUSED_PAD src0_sel:DWORD src1_sel:WORD_1
	global_store_short v[0:1], v4, off
.LBB24_138:
	s_mov_b32 s18, 0
.LBB24_139:
	s_and_b32 vcc_lo, exec_lo, s18
	s_cbranch_vccz .LBB24_142
; %bb.140:
	s_cmp_eq_u32 s12, 11
	s_mov_b32 s0, -1
	s_cbranch_scc0 .LBB24_142
; %bb.141:
	v_cmp_neq_f16_e32 vcc_lo, 0, v3
	s_mov_b32 s0, 0
	s_mov_b32 s17, -1
	v_cndmask_b32_e64 v4, 0, 1, vcc_lo
	global_store_byte v[0:1], v4, off
.LBB24_142:
.LBB24_143:
	s_andn2_b32 vcc_lo, exec_lo, s17
	s_cbranch_vccnz .LBB24_254
.LBB24_144:
	v_add_nc_u32_e32 v2, 0x80, v2
	s_mov_b32 s1, -1
	s_branch .LBB24_255
.LBB24_145:
	s_mov_b32 s14, -1
                                        ; implicit-def: $vgpr3
.LBB24_146:
	s_mov_b32 s12, 0
.LBB24_147:
	s_and_b32 vcc_lo, exec_lo, s12
	s_cbranch_vccz .LBB24_151
; %bb.148:
	s_cmp_eq_u32 s0, 29
	s_cbranch_scc0 .LBB24_150
; %bb.149:
	global_load_dwordx2 v[3:4], v[0:1], off
	s_mov_b32 s1, -1
	s_mov_b32 s14, 0
	s_mov_b32 s12, 0
	s_waitcnt vmcnt(0)
	v_ffbh_u32_e32 v5, v4
	v_min_u32_e32 v5, 32, v5
	v_lshlrev_b64 v[3:4], v5, v[3:4]
	v_min_u32_e32 v3, 1, v3
	v_or_b32_e32 v3, v4, v3
	v_sub_nc_u32_e32 v4, 32, v5
	v_cvt_f32_u32_e32 v3, v3
	v_ldexp_f32 v3, v3, v4
	v_cvt_f16_f32_e32 v3, v3
	s_branch .LBB24_152
.LBB24_150:
	s_mov_b32 s14, -1
                                        ; implicit-def: $vgpr3
.LBB24_151:
	s_mov_b32 s12, 0
.LBB24_152:
	s_and_b32 vcc_lo, exec_lo, s12
	s_cbranch_vccz .LBB24_170
; %bb.153:
	s_cmp_lt_i32 s0, 27
	s_cbranch_scc1 .LBB24_156
; %bb.154:
	s_cmp_gt_i32 s0, 27
	s_cbranch_scc0 .LBB24_157
; %bb.155:
	global_load_dword v3, v[0:1], off
	s_mov_b32 s1, 0
	s_waitcnt vmcnt(0)
	v_cvt_f32_u32_e32 v3, v3
	v_cvt_f16_f32_e32 v3, v3
	s_branch .LBB24_158
.LBB24_156:
	s_mov_b32 s1, -1
                                        ; implicit-def: $vgpr3
	s_branch .LBB24_161
.LBB24_157:
	s_mov_b32 s1, -1
                                        ; implicit-def: $vgpr3
.LBB24_158:
	s_andn2_b32 vcc_lo, exec_lo, s1
	s_cbranch_vccnz .LBB24_160
; %bb.159:
	global_load_ushort v3, v[0:1], off
	s_waitcnt vmcnt(0)
	v_cvt_f16_u16_e32 v3, v3
.LBB24_160:
	s_mov_b32 s1, 0
.LBB24_161:
	s_andn2_b32 vcc_lo, exec_lo, s1
	s_cbranch_vccnz .LBB24_169
; %bb.162:
	global_load_ubyte v4, v[0:1], off
	s_mov_b32 s1, 0
	s_mov_b32 s12, exec_lo
	s_waitcnt vmcnt(0)
	v_cmpx_lt_i16_e32 0x7f, v4
	s_xor_b32 s12, exec_lo, s12
	s_cbranch_execz .LBB24_182
; %bb.163:
	s_mov_b32 s1, -1
	s_mov_b32 s17, exec_lo
	v_cmpx_eq_u16_e32 0x80, v4
; %bb.164:
	s_xor_b32 s1, exec_lo, -1
; %bb.165:
	s_or_b32 exec_lo, exec_lo, s17
	s_and_b32 s1, s1, exec_lo
	s_or_saveexec_b32 s12, s12
	v_mov_b32_e32 v3, 0x7e00
	s_xor_b32 exec_lo, exec_lo, s12
	s_cbranch_execnz .LBB24_183
.LBB24_166:
	s_or_b32 exec_lo, exec_lo, s12
	s_and_saveexec_b32 s12, s1
	s_cbranch_execz .LBB24_168
.LBB24_167:
	v_and_b32_e32 v3, 0xffff, v4
	v_lshlrev_b32_e32 v4, 24, v4
	v_and_b32_e32 v5, 7, v3
	v_bfe_u32 v8, v3, 3, 4
	v_and_b32_e32 v4, 0x80000000, v4
	v_ffbh_u32_e32 v6, v5
	v_cmp_eq_u32_e32 vcc_lo, 0, v8
	v_min_u32_e32 v6, 32, v6
	v_subrev_nc_u32_e32 v7, 28, v6
	v_sub_nc_u32_e32 v6, 29, v6
	v_lshlrev_b32_e32 v3, v7, v3
	v_cndmask_b32_e32 v6, v8, v6, vcc_lo
	v_and_b32_e32 v3, 7, v3
	v_cndmask_b32_e32 v3, v5, v3, vcc_lo
	v_lshl_add_u32 v5, v6, 23, 0x3b800000
	v_lshlrev_b32_e32 v3, 20, v3
	v_or3_b32 v3, v4, v5, v3
	v_cvt_f16_f32_e32 v3, v3
.LBB24_168:
	s_or_b32 exec_lo, exec_lo, s12
.LBB24_169:
	s_mov_b32 s1, -1
.LBB24_170:
	s_branch .LBB24_205
.LBB24_171:
	s_cmp_gt_i32 s0, 22
	s_cbranch_scc0 .LBB24_181
; %bb.172:
	s_cmp_lt_i32 s0, 24
	s_cbranch_scc1 .LBB24_184
; %bb.173:
	s_cmp_gt_i32 s0, 24
	s_cbranch_scc0 .LBB24_185
; %bb.174:
	global_load_ubyte v4, v[0:1], off
	s_mov_b32 s1, 0
	s_mov_b32 s12, exec_lo
	s_waitcnt vmcnt(0)
	v_cmpx_lt_i16_e32 0x7f, v4
	s_xor_b32 s12, exec_lo, s12
	s_cbranch_execz .LBB24_197
; %bb.175:
	s_mov_b32 s1, -1
	s_mov_b32 s17, exec_lo
	v_cmpx_eq_u16_e32 0x80, v4
; %bb.176:
	s_xor_b32 s1, exec_lo, -1
; %bb.177:
	s_or_b32 exec_lo, exec_lo, s17
	s_and_b32 s1, s1, exec_lo
	s_or_saveexec_b32 s12, s12
	v_mov_b32_e32 v3, 0x7e00
	s_xor_b32 exec_lo, exec_lo, s12
	s_cbranch_execnz .LBB24_198
.LBB24_178:
	s_or_b32 exec_lo, exec_lo, s12
	s_and_saveexec_b32 s12, s1
	s_cbranch_execz .LBB24_180
.LBB24_179:
	v_and_b32_e32 v3, 0xffff, v4
	v_lshlrev_b32_e32 v4, 24, v4
	v_and_b32_e32 v5, 3, v3
	v_bfe_u32 v8, v3, 2, 5
	v_and_b32_e32 v4, 0x80000000, v4
	v_ffbh_u32_e32 v6, v5
	v_cmp_eq_u32_e32 vcc_lo, 0, v8
	v_min_u32_e32 v6, 32, v6
	v_subrev_nc_u32_e32 v7, 29, v6
	v_sub_nc_u32_e32 v6, 30, v6
	v_lshlrev_b32_e32 v3, v7, v3
	v_cndmask_b32_e32 v6, v8, v6, vcc_lo
	v_and_b32_e32 v3, 3, v3
	v_cndmask_b32_e32 v3, v5, v3, vcc_lo
	v_lshl_add_u32 v5, v6, 23, 0x37800000
	v_lshlrev_b32_e32 v3, 21, v3
	v_or3_b32 v3, v4, v5, v3
	v_cvt_f16_f32_e32 v3, v3
.LBB24_180:
	s_or_b32 exec_lo, exec_lo, s12
	s_mov_b32 s1, 0
	s_branch .LBB24_186
.LBB24_181:
	s_mov_b32 s12, -1
                                        ; implicit-def: $vgpr3
	s_branch .LBB24_192
.LBB24_182:
	s_or_saveexec_b32 s12, s12
	v_mov_b32_e32 v3, 0x7e00
	s_xor_b32 exec_lo, exec_lo, s12
	s_cbranch_execz .LBB24_166
.LBB24_183:
	v_cmp_ne_u16_e32 vcc_lo, 0, v4
	v_mov_b32_e32 v3, v4
	s_andn2_b32 s1, s1, exec_lo
	s_and_b32 s17, vcc_lo, exec_lo
	s_or_b32 s1, s1, s17
	s_or_b32 exec_lo, exec_lo, s12
	s_and_saveexec_b32 s12, s1
	s_cbranch_execnz .LBB24_167
	s_branch .LBB24_168
.LBB24_184:
	s_mov_b32 s1, -1
                                        ; implicit-def: $vgpr3
	s_branch .LBB24_189
.LBB24_185:
	s_mov_b32 s1, -1
                                        ; implicit-def: $vgpr3
.LBB24_186:
	s_and_b32 vcc_lo, exec_lo, s1
	s_cbranch_vccz .LBB24_188
; %bb.187:
	global_load_ubyte v3, v[0:1], off
	s_waitcnt vmcnt(0)
	v_lshlrev_b32_e32 v3, 24, v3
	v_and_b32_e32 v4, 0x7f000000, v3
	v_ffbh_u32_e32 v5, v4
	v_add_nc_u32_e32 v7, 0x1000000, v4
	v_cmp_ne_u32_e32 vcc_lo, 0, v4
	v_min_u32_e32 v5, 32, v5
	v_sub_nc_u32_e64 v5, v5, 4 clamp
	v_lshlrev_b32_e32 v6, v5, v4
	v_lshlrev_b32_e32 v5, 23, v5
	v_lshrrev_b32_e32 v6, 4, v6
	v_sub_nc_u32_e32 v5, v6, v5
	v_ashrrev_i32_e32 v6, 8, v7
	v_add_nc_u32_e32 v5, 0x3c000000, v5
	v_and_or_b32 v5, 0x7f800000, v6, v5
	v_cndmask_b32_e32 v4, 0, v5, vcc_lo
	v_and_or_b32 v3, 0x80000000, v3, v4
	v_cvt_f16_f32_e32 v3, v3
.LBB24_188:
	s_mov_b32 s1, 0
.LBB24_189:
	s_andn2_b32 vcc_lo, exec_lo, s1
	s_cbranch_vccnz .LBB24_191
; %bb.190:
	global_load_ubyte v3, v[0:1], off
	s_waitcnt vmcnt(0)
	v_lshlrev_b32_e32 v4, 25, v3
	v_lshlrev_b16 v3, 8, v3
	v_lshrrev_b32_e32 v5, 4, v4
	v_and_or_b32 v6, 0x7f00, v3, 0.5
	v_cmp_gt_u32_e32 vcc_lo, 0x8000000, v4
	v_bfe_i32 v3, v3, 0, 16
	v_or_b32_e32 v5, 0x70000000, v5
	v_add_f32_e32 v6, -0.5, v6
	v_mul_f32_e32 v5, 0x7800000, v5
	v_cndmask_b32_e32 v4, v5, v6, vcc_lo
	v_and_or_b32 v3, 0x80000000, v3, v4
	v_cvt_f16_f32_e32 v3, v3
.LBB24_191:
	s_mov_b32 s12, 0
	s_mov_b32 s1, -1
.LBB24_192:
	s_andn2_b32 vcc_lo, exec_lo, s12
	s_cbranch_vccnz .LBB24_205
; %bb.193:
	s_cmp_gt_i32 s0, 14
	s_cbranch_scc0 .LBB24_196
; %bb.194:
	s_cmp_eq_u32 s0, 15
	s_cbranch_scc0 .LBB24_199
; %bb.195:
	global_load_ushort v3, v[0:1], off
	s_mov_b32 s1, -1
	s_mov_b32 s14, 0
	s_waitcnt vmcnt(0)
	v_lshlrev_b32_e32 v3, 16, v3
	v_cvt_f16_f32_e32 v3, v3
	s_branch .LBB24_200
.LBB24_196:
	s_mov_b32 s12, -1
                                        ; implicit-def: $vgpr3
	s_branch .LBB24_201
.LBB24_197:
	s_or_saveexec_b32 s12, s12
	v_mov_b32_e32 v3, 0x7e00
	s_xor_b32 exec_lo, exec_lo, s12
	s_cbranch_execz .LBB24_178
.LBB24_198:
	v_cmp_ne_u16_e32 vcc_lo, 0, v4
	v_mov_b32_e32 v3, v4
	s_andn2_b32 s1, s1, exec_lo
	s_and_b32 s17, vcc_lo, exec_lo
	s_or_b32 s1, s1, s17
	s_or_b32 exec_lo, exec_lo, s12
	s_and_saveexec_b32 s12, s1
	s_cbranch_execnz .LBB24_179
	s_branch .LBB24_180
.LBB24_199:
	s_mov_b32 s14, -1
                                        ; implicit-def: $vgpr3
.LBB24_200:
	s_mov_b32 s12, 0
.LBB24_201:
	s_and_b32 vcc_lo, exec_lo, s12
	s_cbranch_vccz .LBB24_205
; %bb.202:
	s_cmp_eq_u32 s0, 11
	s_cbranch_scc0 .LBB24_204
; %bb.203:
	global_load_ubyte v3, v[0:1], off
	s_mov_b32 s14, 0
	s_mov_b32 s1, -1
	s_waitcnt vmcnt(0)
	v_cmp_ne_u16_e32 vcc_lo, 0, v3
	v_cndmask_b32_e64 v3, 0, 0x3c00, vcc_lo
	s_branch .LBB24_205
.LBB24_204:
	s_mov_b32 s14, -1
                                        ; implicit-def: $vgpr3
.LBB24_205:
	s_branch .LBB24_10
.LBB24_206:
	s_cmp_lt_i32 s0, 5
	s_cbranch_scc1 .LBB24_211
; %bb.207:
	s_cmp_lt_i32 s0, 8
	s_cbranch_scc1 .LBB24_212
; %bb.208:
	;; [unrolled: 3-line block ×3, first 2 shown]
	s_cmp_gt_i32 s0, 9
	s_cbranch_scc0 .LBB24_214
; %bb.210:
	global_load_dwordx2 v[3:4], v[0:1], off
	s_mov_b32 s1, 0
	s_waitcnt vmcnt(0)
	v_and_or_b32 v3, 0x1ff, v4, v3
	v_lshrrev_b32_e32 v5, 8, v4
	v_bfe_u32 v6, v4, 20, 11
	v_lshrrev_b32_e32 v4, 16, v4
	v_cmp_ne_u32_e32 vcc_lo, 0, v3
	v_sub_nc_u32_e32 v7, 0x3f1, v6
	v_add_nc_u32_e32 v6, 0xfffffc10, v6
	v_cndmask_b32_e64 v3, 0, 1, vcc_lo
	v_and_or_b32 v3, 0xffe, v5, v3
	v_med3_i32 v5, v7, 0, 13
	v_or_b32_e32 v7, 0x1000, v3
	v_lshrrev_b32_e32 v8, v5, v7
	v_lshlrev_b32_e32 v5, v5, v8
	v_cmp_ne_u32_e32 vcc_lo, v5, v7
	v_lshl_or_b32 v7, v6, 12, v3
	v_cndmask_b32_e64 v5, 0, 1, vcc_lo
	v_cmp_gt_i32_e32 vcc_lo, 1, v6
	v_or_b32_e32 v5, v8, v5
	v_cndmask_b32_e32 v5, v7, v5, vcc_lo
	v_and_b32_e32 v7, 7, v5
	v_lshrrev_b32_e32 v5, 2, v5
	v_cmp_lt_i32_e32 vcc_lo, 5, v7
	v_cndmask_b32_e64 v8, 0, 1, vcc_lo
	v_cmp_eq_u32_e32 vcc_lo, 3, v7
	v_cndmask_b32_e64 v7, 0, 1, vcc_lo
	v_cmp_ne_u32_e32 vcc_lo, 0, v3
	v_or_b32_e32 v7, v7, v8
	v_mov_b32_e32 v8, 0x7e00
	v_add_nc_u32_e32 v5, v5, v7
	v_cndmask_b32_e32 v3, 0x7c00, v8, vcc_lo
	v_cmp_gt_i32_e32 vcc_lo, 31, v6
	v_cndmask_b32_e32 v5, 0x7c00, v5, vcc_lo
	v_cmp_eq_u32_e32 vcc_lo, 0x40f, v6
	v_cndmask_b32_e32 v3, v5, v3, vcc_lo
	v_and_or_b32 v3, 0x8000, v4, v3
	s_branch .LBB24_215
.LBB24_211:
                                        ; implicit-def: $vgpr3
	s_branch .LBB24_233
.LBB24_212:
	s_mov_b32 s1, -1
                                        ; implicit-def: $vgpr3
	s_branch .LBB24_221
.LBB24_213:
	s_mov_b32 s1, -1
                                        ; implicit-def: $vgpr3
	s_branch .LBB24_218
.LBB24_214:
	s_mov_b32 s1, -1
                                        ; implicit-def: $vgpr3
.LBB24_215:
	s_andn2_b32 vcc_lo, exec_lo, s1
	s_cbranch_vccnz .LBB24_217
; %bb.216:
	global_load_dword v3, v[0:1], off
	s_waitcnt vmcnt(0)
	v_cvt_f16_f32_e32 v3, v3
.LBB24_217:
	s_mov_b32 s1, 0
.LBB24_218:
	s_andn2_b32 vcc_lo, exec_lo, s1
	s_cbranch_vccnz .LBB24_220
; %bb.219:
	global_load_dword v3, v[0:1], off
.LBB24_220:
	s_mov_b32 s1, 0
.LBB24_221:
	s_andn2_b32 vcc_lo, exec_lo, s1
	s_cbranch_vccnz .LBB24_232
; %bb.222:
	s_cmp_lt_i32 s0, 6
	s_cbranch_scc1 .LBB24_225
; %bb.223:
	s_cmp_gt_i32 s0, 6
	s_cbranch_scc0 .LBB24_226
; %bb.224:
	global_load_dwordx2 v[3:4], v[0:1], off
	s_mov_b32 s1, 0
	s_waitcnt vmcnt(0)
	v_and_or_b32 v3, 0x1ff, v4, v3
	v_lshrrev_b32_e32 v5, 8, v4
	v_bfe_u32 v6, v4, 20, 11
	v_lshrrev_b32_e32 v4, 16, v4
	v_cmp_ne_u32_e32 vcc_lo, 0, v3
	v_sub_nc_u32_e32 v7, 0x3f1, v6
	v_add_nc_u32_e32 v6, 0xfffffc10, v6
	v_cndmask_b32_e64 v3, 0, 1, vcc_lo
	v_and_or_b32 v3, 0xffe, v5, v3
	v_med3_i32 v5, v7, 0, 13
	v_or_b32_e32 v7, 0x1000, v3
	v_lshrrev_b32_e32 v8, v5, v7
	v_lshlrev_b32_e32 v5, v5, v8
	v_cmp_ne_u32_e32 vcc_lo, v5, v7
	v_lshl_or_b32 v7, v6, 12, v3
	v_cndmask_b32_e64 v5, 0, 1, vcc_lo
	v_cmp_gt_i32_e32 vcc_lo, 1, v6
	v_or_b32_e32 v5, v8, v5
	v_cndmask_b32_e32 v5, v7, v5, vcc_lo
	v_and_b32_e32 v7, 7, v5
	v_lshrrev_b32_e32 v5, 2, v5
	v_cmp_lt_i32_e32 vcc_lo, 5, v7
	v_cndmask_b32_e64 v8, 0, 1, vcc_lo
	v_cmp_eq_u32_e32 vcc_lo, 3, v7
	v_cndmask_b32_e64 v7, 0, 1, vcc_lo
	v_cmp_ne_u32_e32 vcc_lo, 0, v3
	v_or_b32_e32 v7, v7, v8
	v_mov_b32_e32 v8, 0x7e00
	v_add_nc_u32_e32 v5, v5, v7
	v_cndmask_b32_e32 v3, 0x7c00, v8, vcc_lo
	v_cmp_gt_i32_e32 vcc_lo, 31, v6
	v_cndmask_b32_e32 v5, 0x7c00, v5, vcc_lo
	v_cmp_eq_u32_e32 vcc_lo, 0x40f, v6
	v_cndmask_b32_e32 v3, v5, v3, vcc_lo
	v_and_or_b32 v3, 0x8000, v4, v3
	s_branch .LBB24_227
.LBB24_225:
	s_mov_b32 s1, -1
                                        ; implicit-def: $vgpr3
	s_branch .LBB24_230
.LBB24_226:
	s_mov_b32 s1, -1
                                        ; implicit-def: $vgpr3
.LBB24_227:
	s_andn2_b32 vcc_lo, exec_lo, s1
	s_cbranch_vccnz .LBB24_229
; %bb.228:
	global_load_dword v3, v[0:1], off
	s_waitcnt vmcnt(0)
	v_cvt_f16_f32_e32 v3, v3
.LBB24_229:
	s_mov_b32 s1, 0
.LBB24_230:
	s_andn2_b32 vcc_lo, exec_lo, s1
	s_cbranch_vccnz .LBB24_232
; %bb.231:
	global_load_ushort v3, v[0:1], off
.LBB24_232:
	s_cbranch_execnz .LBB24_252
.LBB24_233:
	s_cmp_lt_i32 s0, 2
	s_cbranch_scc1 .LBB24_237
; %bb.234:
	s_cmp_lt_i32 s0, 3
	s_cbranch_scc1 .LBB24_238
; %bb.235:
	s_cmp_gt_i32 s0, 3
	s_cbranch_scc0 .LBB24_239
; %bb.236:
	global_load_dwordx2 v[3:4], v[0:1], off
	s_mov_b32 s1, 0
	s_waitcnt vmcnt(0)
	v_xor_b32_e32 v5, v3, v4
	v_ffbh_i32_e32 v6, v4
	v_ashrrev_i32_e32 v5, 31, v5
	v_add_nc_u32_e32 v6, -1, v6
	v_add_nc_u32_e32 v5, 32, v5
	v_min_u32_e32 v5, v6, v5
	v_lshlrev_b64 v[3:4], v5, v[3:4]
	v_min_u32_e32 v3, 1, v3
	v_or_b32_e32 v3, v4, v3
	v_sub_nc_u32_e32 v4, 32, v5
	v_cvt_f32_i32_e32 v3, v3
	v_ldexp_f32 v3, v3, v4
	v_cvt_f16_f32_e32 v3, v3
	s_branch .LBB24_240
.LBB24_237:
	s_mov_b32 s1, -1
                                        ; implicit-def: $vgpr3
	s_branch .LBB24_246
.LBB24_238:
	s_mov_b32 s1, -1
                                        ; implicit-def: $vgpr3
	s_branch .LBB24_243
.LBB24_239:
	s_mov_b32 s1, -1
                                        ; implicit-def: $vgpr3
.LBB24_240:
	s_andn2_b32 vcc_lo, exec_lo, s1
	s_cbranch_vccnz .LBB24_242
; %bb.241:
	global_load_dword v3, v[0:1], off
	s_waitcnt vmcnt(0)
	v_cvt_f32_i32_e32 v3, v3
	v_cvt_f16_f32_e32 v3, v3
.LBB24_242:
	s_mov_b32 s1, 0
.LBB24_243:
	s_andn2_b32 vcc_lo, exec_lo, s1
	s_cbranch_vccnz .LBB24_245
; %bb.244:
	global_load_ushort v3, v[0:1], off
	s_waitcnt vmcnt(0)
	v_cvt_f16_i16_e32 v3, v3
.LBB24_245:
	s_mov_b32 s1, 0
.LBB24_246:
	s_andn2_b32 vcc_lo, exec_lo, s1
	s_cbranch_vccnz .LBB24_252
; %bb.247:
	s_cmp_gt_i32 s0, 0
	s_mov_b32 s0, 0
	s_cbranch_scc0 .LBB24_249
; %bb.248:
	global_load_sbyte v3, v[0:1], off
	s_waitcnt vmcnt(0)
	v_cvt_f16_i16_e32 v3, v3
	s_branch .LBB24_250
.LBB24_249:
	s_mov_b32 s0, -1
                                        ; implicit-def: $vgpr3
.LBB24_250:
	s_andn2_b32 vcc_lo, exec_lo, s0
	s_cbranch_vccnz .LBB24_252
; %bb.251:
	global_load_ubyte v0, v[0:1], off
	s_waitcnt vmcnt(0)
	v_cvt_f16_u16_e32 v3, v0
.LBB24_252:
	s_branch .LBB24_11
.LBB24_253:
	s_mov_b32 s0, 0
.LBB24_254:
	s_mov_b32 s1, 0
                                        ; implicit-def: $vgpr2
.LBB24_255:
	s_and_b32 s12, s0, exec_lo
	s_and_b32 s14, s14, exec_lo
	s_orn2_b32 s1, s1, exec_lo
.LBB24_256:
	s_or_b32 exec_lo, exec_lo, s15
	s_mov_b32 s17, 0
	s_mov_b32 s0, 0
                                        ; implicit-def: $vgpr0_vgpr1
                                        ; implicit-def: $vgpr4
	s_and_saveexec_b32 s15, s1
	s_cbranch_execz .LBB24_265
; %bb.257:
	s_mov_b32 s0, -1
	s_mov_b32 s16, s14
	s_mov_b32 s17, s12
	s_mov_b32 s18, exec_lo
	v_cmpx_gt_i32_e64 s13, v2
	s_cbranch_execz .LBB24_522
; %bb.258:
	v_mul_lo_u32 v0, v2, s3
	s_and_b32 s0, 0xffff, s6
	s_cmp_lt_i32 s0, 11
	v_ashrrev_i32_e32 v1, 31, v0
	v_add_co_u32 v0, vcc_lo, s10, v0
	v_add_co_ci_u32_e64 v1, null, s11, v1, vcc_lo
	s_cbranch_scc1 .LBB24_268
; %bb.259:
	s_cmp_gt_i32 s0, 25
	s_cbranch_scc0 .LBB24_321
; %bb.260:
	s_cmp_gt_i32 s0, 28
	s_cbranch_scc0 .LBB24_322
	;; [unrolled: 3-line block ×4, first 2 shown]
; %bb.263:
	s_cmp_eq_u32 s0, 46
	s_mov_b32 s17, 0
	s_cbranch_scc0 .LBB24_332
; %bb.264:
	global_load_dword v3, v[0:1], off
	s_mov_b32 s1, -1
	s_mov_b32 s16, 0
	s_waitcnt vmcnt(0)
	v_lshlrev_b32_e32 v3, 16, v3
	v_cvt_f16_f32_e32 v3, v3
	s_branch .LBB24_334
.LBB24_265:
	s_or_b32 exec_lo, exec_lo, s15
	s_mov_b32 s13, 0
	s_and_saveexec_b32 s1, s14
	s_cbranch_execnz .LBB24_873
.LBB24_266:
	s_or_b32 exec_lo, exec_lo, s1
	s_and_saveexec_b32 s1, s16
	s_xor_b32 s1, exec_lo, s1
	s_cbranch_execz .LBB24_874
.LBB24_267:
	global_load_ubyte v3, v[0:1], off
	s_or_b32 s0, s0, exec_lo
	s_waitcnt vmcnt(0)
	v_cmp_ne_u16_e32 vcc_lo, 0, v3
	v_cndmask_b32_e64 v4, 0, 0x3c00, vcc_lo
	s_or_b32 exec_lo, exec_lo, s1
	s_and_saveexec_b32 s1, s17
	s_cbranch_execz .LBB24_920
	s_branch .LBB24_875
.LBB24_268:
	s_mov_b32 s1, 0
	s_mov_b32 s16, s14
                                        ; implicit-def: $vgpr3
	s_cbranch_execnz .LBB24_471
.LBB24_269:
	s_andn2_b32 vcc_lo, exec_lo, s1
	s_cbranch_vccnz .LBB24_519
.LBB24_270:
	s_waitcnt vmcnt(0)
	v_cvt_f32_f16_e32 v0, v3
                                        ; implicit-def: $vgpr4
                                        ; implicit-def: $vgpr3
	s_mov_b32 s1, exec_lo
	v_and_b32_e32 v1, 0x7fffffff, v0
	v_cmpx_ngt_f32_e64 0x48000000, |v0|
	s_xor_b32 s17, exec_lo, s1
	s_cbranch_execz .LBB24_272
; %bb.271:
	s_mov_b32 s0, 0x7fffff
	v_mov_b32_e32 v5, 0
	v_and_or_b32 v12, v1, s0, 0x800000
	v_lshrrev_b32_e32 v10, 23, v1
	v_mad_u64_u32 v[3:4], null, 0xfe5163ab, v12, 0
	v_add_nc_u32_e32 v11, 0xffffff88, v10
	v_cmp_lt_u32_e32 vcc_lo, 63, v11
	v_mad_u64_u32 v[6:7], null, 0x3c439041, v12, v[4:5]
	v_cndmask_b32_e64 v13, 0, 0xffffffc0, vcc_lo
	v_mov_b32_e32 v4, v7
	v_add_nc_u32_e32 v13, v13, v11
	v_mad_u64_u32 v[7:8], null, 0xdb629599, v12, v[4:5]
	v_cmp_lt_u32_e64 s0, 31, v13
	v_cndmask_b32_e64 v14, 0, 0xffffffe0, s0
	v_mov_b32_e32 v4, v8
	v_cndmask_b32_e32 v3, v7, v3, vcc_lo
	v_mad_u64_u32 v[8:9], null, 0xf534ddc0, v12, v[4:5]
	v_mov_b32_e32 v4, v9
	v_cndmask_b32_e32 v6, v8, v6, vcc_lo
	v_mad_u64_u32 v[9:10], null, 0xfc2757d1, v12, v[4:5]
	v_cndmask_b32_e64 v3, v6, v3, s0
	v_mov_b32_e32 v4, v10
	v_mad_u64_u32 v[10:11], null, 0x4e441529, v12, v[4:5]
	v_mov_b32_e32 v4, v11
	v_add_nc_u32_e32 v11, v14, v13
	v_cndmask_b32_e32 v13, v10, v8, vcc_lo
	v_mad_u64_u32 v[4:5], null, 0xa2f9836e, v12, v[4:5]
	v_cmp_lt_u32_e64 s1, 31, v11
	v_cndmask_b32_e64 v12, 0, 0xffffffe0, s1
	v_cndmask_b32_e32 v4, v4, v9, vcc_lo
	v_cndmask_b32_e32 v5, v5, v10, vcc_lo
	;; [unrolled: 1-line block ×3, first 2 shown]
	v_add_nc_u32_e32 v10, v12, v11
	v_cndmask_b32_e64 v8, v4, v13, s0
	v_cndmask_b32_e64 v4, v5, v4, s0
	;; [unrolled: 1-line block ×4, first 2 shown]
	v_sub_nc_u32_e32 v11, 32, v10
	v_cmp_eq_u32_e32 vcc_lo, 0, v10
	v_cndmask_b32_e64 v4, v4, v8, s1
	v_cndmask_b32_e64 v8, v8, v5, s1
	;; [unrolled: 1-line block ×4, first 2 shown]
	v_alignbit_b32 v12, v4, v8, v11
	v_alignbit_b32 v7, v8, v5, v11
	;; [unrolled: 1-line block ×3, first 2 shown]
	v_cndmask_b32_e32 v4, v12, v4, vcc_lo
	v_cndmask_b32_e32 v6, v7, v8, vcc_lo
	;; [unrolled: 1-line block ×3, first 2 shown]
	v_bfe_u32 v7, v4, 29, 1
	v_alignbit_b32 v8, v4, v6, 30
	v_alignbit_b32 v6, v6, v5, 30
	;; [unrolled: 1-line block ×3, first 2 shown]
	v_sub_nc_u32_e32 v9, 0, v7
	v_xor_b32_e32 v8, v8, v9
	v_xor_b32_e32 v5, v6, v9
	;; [unrolled: 1-line block ×3, first 2 shown]
	v_lshrrev_b32_e32 v9, 29, v4
	v_lshrrev_b32_e32 v4, 30, v4
	v_ffbh_u32_e32 v10, v8
	v_add_nc_u32_e32 v4, v7, v4
	v_min_u32_e32 v10, 32, v10
	v_sub_nc_u32_e32 v6, 31, v10
	v_lshlrev_b32_e32 v11, 23, v10
	v_alignbit_b32 v8, v8, v5, v6
	v_alignbit_b32 v3, v5, v3, v6
	v_lshlrev_b32_e32 v5, 31, v9
	v_alignbit_b32 v6, v8, v3, 9
	v_or_b32_e32 v9, 0.5, v5
	v_lshrrev_b32_e32 v8, 9, v8
	v_or_b32_e32 v5, 0x33000000, v5
	v_ffbh_u32_e32 v12, v6
	v_sub_nc_u32_e32 v9, v9, v11
	v_min_u32_e32 v11, 32, v12
	v_or_b32_e32 v8, v8, v9
	v_not_b32_e32 v9, v11
	v_mul_f32_e32 v12, 0x3fc90fda, v8
	v_add_lshl_u32 v10, v11, v10, 23
	v_alignbit_b32 v3, v6, v3, v9
	v_fma_f32 v6, 0x3fc90fda, v8, -v12
	v_sub_nc_u32_e32 v5, v5, v10
	v_lshrrev_b32_e32 v3, 9, v3
	v_fmamk_f32 v6, v8, 0x33a22168, v6
	v_or_b32_e32 v3, v5, v3
	v_fmac_f32_e32 v6, 0x3fc90fda, v3
	v_add_f32_e32 v3, v12, v6
.LBB24_272:
	s_andn2_saveexec_b32 s0, s17
; %bb.273:
	v_mul_f32_e64 v3, 0x3f22f983, |v0|
	v_rndne_f32_e32 v4, v3
	v_fma_f32 v3, 0xbfc90fda, v4, |v0|
	v_fmamk_f32 v3, v4, 0xb3a22168, v3
	v_fmamk_f32 v3, v4, 0xa7c234c4, v3
	v_cvt_i32_f32_e32 v4, v4
; %bb.274:
	s_or_b32 exec_lo, exec_lo, s0
	v_mul_f32_e32 v5, v3, v3
	s_mov_b32 s0, 0xb94c1982
	s_mov_b32 s1, 0x37d75334
	v_and_b32_e32 v8, 1, v4
	v_lshlrev_b32_e32 v4, 30, v4
	v_fmaak_f32 v6, s0, v5, 0x3c0881c4
	v_fmaak_f32 v7, s1, v5, 0xbab64f3b
	v_xor_b32_e32 v1, v1, v0
	v_cmp_eq_u32_e32 vcc_lo, 0, v8
	v_and_b32_e32 v4, 0x80000000, v4
	v_fmaak_f32 v6, v5, v6, 0xbe2aaa9d
	v_fmaak_f32 v7, v5, v7, 0x3d2aabf7
	s_and_b32 s1, s4, 0xff
	s_mov_b32 s19, 0
	s_mov_b32 s17, -1
	v_mul_f32_e32 v6, v5, v6
	v_fmaak_f32 v7, v5, v7, 0xbf000004
	s_cmp_lt_i32 s1, 11
	s_mov_b32 s0, s12
	v_fmac_f32_e32 v3, v3, v6
	v_fma_f32 v5, v5, v7, 1.0
	v_cndmask_b32_e32 v3, v5, v3, vcc_lo
	v_mul_lo_u32 v5, v2, s2
	v_cmp_class_f32_e64 vcc_lo, v0, 0x1f8
	v_xor3_b32 v1, v1, v4, v3
	v_ashrrev_i32_e32 v3, 31, v5
	v_cndmask_b32_e32 v4, 0x7fc00000, v1, vcc_lo
	v_add_co_u32 v0, vcc_lo, s8, v5
	v_add_co_ci_u32_e64 v1, null, s9, v3, vcc_lo
	v_cvt_f16_f32_e32 v3, v4
	s_cbranch_scc1 .LBB24_281
; %bb.275:
	s_and_b32 s17, 0xffff, s1
	s_cmp_gt_i32 s17, 25
	s_cbranch_scc0 .LBB24_323
; %bb.276:
	s_cmp_gt_i32 s17, 28
	s_cbranch_scc0 .LBB24_325
; %bb.277:
	;; [unrolled: 3-line block ×4, first 2 shown]
	s_mov_b32 s20, 0
	s_mov_b32 s0, -1
	s_cmp_eq_u32 s17, 46
	s_cbranch_scc0 .LBB24_338
; %bb.280:
	v_cvt_f32_f16_e32 v4, v3
	v_cmp_o_f16_e32 vcc_lo, v3, v3
	s_mov_b32 s19, -1
	s_mov_b32 s0, 0
	v_bfe_u32 v5, v4, 16, 1
	v_add3_u32 v4, v4, v5, 0x7fff
	v_mov_b32_e32 v5, 0x7fc0
	v_cndmask_b32_sdwa v4, v5, v4, vcc_lo dst_sel:DWORD dst_unused:UNUSED_PAD src0_sel:DWORD src1_sel:WORD_1
	global_store_dword v[0:1], v4, off
	s_branch .LBB24_338
.LBB24_281:
	s_and_b32 vcc_lo, exec_lo, s17
	s_cbranch_vccz .LBB24_407
; %bb.282:
	s_and_b32 s1, 0xffff, s1
	s_mov_b32 s17, -1
	s_cmp_lt_i32 s1, 5
	s_cbranch_scc1 .LBB24_303
; %bb.283:
	s_cmp_lt_i32 s1, 8
	s_cbranch_scc1 .LBB24_293
; %bb.284:
	;; [unrolled: 3-line block ×3, first 2 shown]
	s_cmp_gt_i32 s1, 9
	s_cbranch_scc0 .LBB24_287
; %bb.286:
	v_cvt_f32_f16_e32 v4, v3
	v_mov_b32_e32 v6, 0
	s_mov_b32 s17, 0
	v_cvt_f64_f32_e32 v[4:5], v4
	v_mov_b32_e32 v7, v6
	global_store_dwordx4 v[0:1], v[4:7], off
.LBB24_287:
	s_andn2_b32 vcc_lo, exec_lo, s17
	s_cbranch_vccnz .LBB24_289
; %bb.288:
	v_cvt_f32_f16_e32 v4, v3
	v_mov_b32_e32 v5, 0
	global_store_dwordx2 v[0:1], v[4:5], off
.LBB24_289:
	s_mov_b32 s17, 0
.LBB24_290:
	s_andn2_b32 vcc_lo, exec_lo, s17
	s_cbranch_vccnz .LBB24_292
; %bb.291:
	v_and_b32_e32 v4, 0xffff, v3
	global_store_dword v[0:1], v4, off
.LBB24_292:
	s_mov_b32 s17, 0
.LBB24_293:
	s_andn2_b32 vcc_lo, exec_lo, s17
	s_cbranch_vccnz .LBB24_302
; %bb.294:
	s_cmp_lt_i32 s1, 6
	s_mov_b32 s17, -1
	s_cbranch_scc1 .LBB24_300
; %bb.295:
	s_cmp_gt_i32 s1, 6
	s_cbranch_scc0 .LBB24_297
; %bb.296:
	v_cvt_f32_f16_e32 v4, v3
	s_mov_b32 s17, 0
	v_cvt_f64_f32_e32 v[4:5], v4
	global_store_dwordx2 v[0:1], v[4:5], off
.LBB24_297:
	s_andn2_b32 vcc_lo, exec_lo, s17
	s_cbranch_vccnz .LBB24_299
; %bb.298:
	v_cvt_f32_f16_e32 v4, v3
	global_store_dword v[0:1], v4, off
.LBB24_299:
	s_mov_b32 s17, 0
.LBB24_300:
	s_andn2_b32 vcc_lo, exec_lo, s17
	s_cbranch_vccnz .LBB24_302
; %bb.301:
	global_store_short v[0:1], v3, off
.LBB24_302:
	s_mov_b32 s17, 0
.LBB24_303:
	s_andn2_b32 vcc_lo, exec_lo, s17
	s_cbranch_vccnz .LBB24_319
; %bb.304:
	s_cmp_lt_i32 s1, 2
	s_mov_b32 s17, -1
	s_cbranch_scc1 .LBB24_314
; %bb.305:
	s_cmp_lt_i32 s1, 3
	s_cbranch_scc1 .LBB24_311
; %bb.306:
	s_cmp_gt_i32 s1, 3
	s_cbranch_scc0 .LBB24_308
; %bb.307:
	v_cvt_f32_f16_e32 v4, v3
	s_mov_b32 s17, 0
	v_cvt_i32_f32_e32 v4, v4
	v_ashrrev_i32_e32 v5, 31, v4
	global_store_dwordx2 v[0:1], v[4:5], off
.LBB24_308:
	s_andn2_b32 vcc_lo, exec_lo, s17
	s_cbranch_vccnz .LBB24_310
; %bb.309:
	v_cvt_f32_f16_e32 v4, v3
	v_cvt_i32_f32_e32 v4, v4
	global_store_dword v[0:1], v4, off
.LBB24_310:
	s_mov_b32 s17, 0
.LBB24_311:
	s_andn2_b32 vcc_lo, exec_lo, s17
	s_cbranch_vccnz .LBB24_313
; %bb.312:
	v_cvt_i16_f16_e32 v4, v3
	global_store_short v[0:1], v4, off
.LBB24_313:
	s_mov_b32 s17, 0
.LBB24_314:
	s_andn2_b32 vcc_lo, exec_lo, s17
	s_cbranch_vccnz .LBB24_319
; %bb.315:
	s_cmp_gt_i32 s1, 0
	s_mov_b32 s1, -1
	s_cbranch_scc0 .LBB24_317
; %bb.316:
	v_cvt_i16_f16_e32 v4, v3
	s_mov_b32 s1, 0
	global_store_byte v[0:1], v4, off
.LBB24_317:
	s_andn2_b32 vcc_lo, exec_lo, s1
	s_cbranch_vccnz .LBB24_319
; %bb.318:
	v_cvt_f32_f16_e32 v3, v3
	v_cvt_i32_f32_e32 v3, v3
	global_store_byte v[0:1], v3, off
.LBB24_319:
	s_branch .LBB24_408
.LBB24_320:
	s_mov_b32 s1, 0
	s_branch .LBB24_520
.LBB24_321:
	s_mov_b32 s17, -1
	s_mov_b32 s1, 0
	s_mov_b32 s16, s14
                                        ; implicit-def: $vgpr3
	s_branch .LBB24_435
.LBB24_322:
	s_mov_b32 s17, -1
	s_mov_b32 s1, 0
	s_mov_b32 s16, s14
                                        ; implicit-def: $vgpr3
	s_branch .LBB24_416
.LBB24_323:
	s_mov_b32 s20, -1
	s_mov_b32 s0, s12
	s_branch .LBB24_365
.LBB24_324:
	s_mov_b32 s17, -1
	s_mov_b32 s1, 0
	s_mov_b32 s16, s14
                                        ; implicit-def: $vgpr3
	s_branch .LBB24_411
.LBB24_325:
	s_mov_b32 s20, -1
	s_mov_b32 s0, s12
	s_branch .LBB24_348
.LBB24_326:
	s_andn2_saveexec_b32 s19, s19
	s_cbranch_execz .LBB24_95
.LBB24_327:
	v_add_f32_e64 v5, 0x46000000, |v4|
	s_andn2_b32 s18, s18, exec_lo
	v_and_b32_e32 v5, 0xff, v5
	v_cmp_ne_u32_e32 vcc_lo, 0, v5
	s_and_b32 s20, vcc_lo, exec_lo
	s_or_b32 s18, s18, s20
	s_or_b32 exec_lo, exec_lo, s19
	v_mov_b32_e32 v6, 0
	s_and_saveexec_b32 s19, s18
	s_cbranch_execnz .LBB24_96
	s_branch .LBB24_97
.LBB24_328:
	s_mov_b32 s17, -1
	s_mov_b32 s1, 0
	s_mov_b32 s16, s14
	s_branch .LBB24_333
.LBB24_329:
	s_mov_b32 s20, -1
	s_mov_b32 s0, s12
	s_branch .LBB24_344
.LBB24_330:
	s_andn2_saveexec_b32 s19, s19
	s_cbranch_execz .LBB24_108
.LBB24_331:
	v_add_f32_e64 v5, 0x42800000, |v4|
	s_andn2_b32 s18, s18, exec_lo
	v_and_b32_e32 v5, 0xff, v5
	v_cmp_ne_u32_e32 vcc_lo, 0, v5
	s_and_b32 s20, vcc_lo, exec_lo
	s_or_b32 s18, s18, s20
	s_or_b32 exec_lo, exec_lo, s19
	v_mov_b32_e32 v6, 0
	s_and_saveexec_b32 s19, s18
	s_cbranch_execnz .LBB24_109
	s_branch .LBB24_110
.LBB24_332:
	s_mov_b32 s16, -1
	s_mov_b32 s1, 0
.LBB24_333:
                                        ; implicit-def: $vgpr3
.LBB24_334:
	s_and_b32 vcc_lo, exec_lo, s17
	s_cbranch_vccz .LBB24_410
; %bb.335:
	s_cmp_eq_u32 s0, 44
	s_cbranch_scc0 .LBB24_409
; %bb.336:
	global_load_ubyte v3, v[0:1], off
	s_mov_b32 s16, 0
	s_mov_b32 s1, -1
	s_waitcnt vmcnt(0)
	v_lshlrev_b32_e32 v4, 23, v3
	v_cmp_ne_u32_e32 vcc_lo, 0xff, v3
	v_cvt_f16_f32_e32 v4, v4
	v_cndmask_b32_e32 v4, 0x7e00, v4, vcc_lo
	v_cmp_ne_u32_e32 vcc_lo, 0, v3
	v_cndmask_b32_e32 v3, 0, v4, vcc_lo
	s_branch .LBB24_410
.LBB24_337:
	s_mov_b32 s20, -1
	s_mov_b32 s0, s12
.LBB24_338:
	s_and_b32 vcc_lo, exec_lo, s20
	s_cbranch_vccz .LBB24_343
; %bb.339:
	s_cmp_eq_u32 s17, 44
	s_mov_b32 s0, -1
	s_cbranch_scc0 .LBB24_343
; %bb.340:
	v_cvt_f32_f16_e32 v4, v3
	v_mov_b32_e32 v5, 0xff
	s_mov_b32 s19, exec_lo
	v_bfe_u32 v6, v4, 23, 8
	v_cmpx_ne_u32_e32 0xff, v6
	s_cbranch_execz .LBB24_342
; %bb.341:
	v_and_b32_e32 v5, 0x400000, v4
	v_and_or_b32 v6, 0x3fffff, v4, v6
	v_lshrrev_b32_e32 v4, 23, v4
	v_cmp_ne_u32_e32 vcc_lo, 0, v5
	v_cmp_ne_u32_e64 s0, 0, v6
	s_and_b32 s0, vcc_lo, s0
	v_cndmask_b32_e64 v5, 0, 1, s0
	v_add_nc_u32_e32 v5, v4, v5
.LBB24_342:
	s_or_b32 exec_lo, exec_lo, s19
	s_mov_b32 s19, -1
	s_mov_b32 s0, 0
	global_store_byte v[0:1], v5, off
.LBB24_343:
	s_mov_b32 s20, 0
.LBB24_344:
	s_and_b32 vcc_lo, exec_lo, s20
	s_cbranch_vccz .LBB24_347
; %bb.345:
	s_cmp_eq_u32 s17, 29
	s_mov_b32 s0, -1
	s_cbranch_scc0 .LBB24_347
; %bb.346:
	v_cvt_f32_f16_e32 v4, v3
	v_mov_b32_e32 v5, 0
	s_mov_b32 s19, -1
	s_mov_b32 s0, 0
	s_mov_b32 s20, 0
	v_cvt_u32_f32_e32 v4, v4
	global_store_dwordx2 v[0:1], v[4:5], off
	s_branch .LBB24_348
.LBB24_347:
	s_mov_b32 s20, 0
.LBB24_348:
	s_and_b32 vcc_lo, exec_lo, s20
	s_cbranch_vccz .LBB24_364
; %bb.349:
	s_cmp_lt_i32 s17, 27
	s_mov_b32 s19, -1
	s_cbranch_scc1 .LBB24_355
; %bb.350:
	s_cmp_gt_i32 s17, 27
	s_cbranch_scc0 .LBB24_352
; %bb.351:
	v_cvt_f32_f16_e32 v4, v3
	s_mov_b32 s19, 0
	v_cvt_u32_f32_e32 v4, v4
	global_store_dword v[0:1], v4, off
.LBB24_352:
	s_andn2_b32 vcc_lo, exec_lo, s19
	s_cbranch_vccnz .LBB24_354
; %bb.353:
	v_cvt_u16_f16_e32 v4, v3
	global_store_short v[0:1], v4, off
.LBB24_354:
	s_mov_b32 s19, 0
.LBB24_355:
	s_andn2_b32 vcc_lo, exec_lo, s19
	s_cbranch_vccnz .LBB24_363
; %bb.356:
	v_cvt_f32_f16_e32 v4, v3
	v_mov_b32_e32 v6, 0x80
	s_mov_b32 s19, exec_lo
	v_and_b32_e32 v5, 0x7fffffff, v4
	v_cmpx_gt_u32_e32 0x43800000, v5
	s_cbranch_execz .LBB24_362
; %bb.357:
	v_cmp_lt_u32_e32 vcc_lo, 0x3bffffff, v5
	s_mov_b32 s20, 0
                                        ; implicit-def: $vgpr5
	s_and_saveexec_b32 s21, vcc_lo
	s_xor_b32 s21, exec_lo, s21
	s_cbranch_execz .LBB24_535
; %bb.358:
	v_bfe_u32 v5, v4, 20, 1
	s_mov_b32 s20, exec_lo
	v_add3_u32 v5, v4, v5, 0x487ffff
	v_lshrrev_b32_e32 v5, 20, v5
	s_andn2_saveexec_b32 s21, s21
	s_cbranch_execnz .LBB24_536
.LBB24_359:
	s_or_b32 exec_lo, exec_lo, s21
	v_mov_b32_e32 v6, 0
	s_and_saveexec_b32 s21, s20
.LBB24_360:
	v_lshrrev_b32_e32 v4, 24, v4
	v_and_or_b32 v6, 0x80, v4, v5
.LBB24_361:
	s_or_b32 exec_lo, exec_lo, s21
.LBB24_362:
	s_or_b32 exec_lo, exec_lo, s19
	global_store_byte v[0:1], v6, off
.LBB24_363:
	s_mov_b32 s19, -1
.LBB24_364:
	s_mov_b32 s20, 0
.LBB24_365:
	s_and_b32 vcc_lo, exec_lo, s20
	s_cbranch_vccz .LBB24_406
; %bb.366:
	s_cmp_gt_i32 s17, 22
	s_mov_b32 s20, -1
	s_cbranch_scc0 .LBB24_398
; %bb.367:
	s_cmp_lt_i32 s17, 24
	s_mov_b32 s19, -1
	s_cbranch_scc1 .LBB24_387
; %bb.368:
	s_cmp_gt_i32 s17, 24
	s_cbranch_scc0 .LBB24_376
; %bb.369:
	v_cvt_f32_f16_e32 v4, v3
	v_mov_b32_e32 v6, 0x80
	s_mov_b32 s19, exec_lo
	v_and_b32_e32 v5, 0x7fffffff, v4
	v_cmpx_gt_u32_e32 0x47800000, v5
	s_cbranch_execz .LBB24_375
; %bb.370:
	v_cmp_lt_u32_e32 vcc_lo, 0x37ffffff, v5
	s_mov_b32 s20, 0
                                        ; implicit-def: $vgpr5
	s_and_saveexec_b32 s21, vcc_lo
	s_xor_b32 s21, exec_lo, s21
	s_cbranch_execz .LBB24_538
; %bb.371:
	v_bfe_u32 v5, v4, 21, 1
	s_mov_b32 s20, exec_lo
	v_add3_u32 v5, v4, v5, 0x88fffff
	v_lshrrev_b32_e32 v5, 21, v5
	s_andn2_saveexec_b32 s21, s21
	s_cbranch_execnz .LBB24_539
.LBB24_372:
	s_or_b32 exec_lo, exec_lo, s21
	v_mov_b32_e32 v6, 0
	s_and_saveexec_b32 s21, s20
.LBB24_373:
	v_lshrrev_b32_e32 v4, 24, v4
	v_and_or_b32 v6, 0x80, v4, v5
.LBB24_374:
	s_or_b32 exec_lo, exec_lo, s21
.LBB24_375:
	s_or_b32 exec_lo, exec_lo, s19
	s_mov_b32 s19, 0
	global_store_byte v[0:1], v6, off
.LBB24_376:
	s_and_b32 vcc_lo, exec_lo, s19
	s_cbranch_vccz .LBB24_386
; %bb.377:
	v_cvt_f32_f16_e32 v4, v3
	s_mov_b32 s19, exec_lo
                                        ; implicit-def: $vgpr5
	v_and_b32_e32 v6, 0x7fffffff, v4
	v_cmpx_gt_u32_e32 0x43f00000, v6
	s_xor_b32 s19, exec_lo, s19
	s_cbranch_execz .LBB24_383
; %bb.378:
	s_mov_b32 s20, exec_lo
                                        ; implicit-def: $vgpr5
	v_cmpx_lt_u32_e32 0x3c7fffff, v6
	s_xor_b32 s20, exec_lo, s20
; %bb.379:
	v_bfe_u32 v5, v4, 20, 1
	v_add3_u32 v5, v4, v5, 0x407ffff
	v_and_b32_e32 v6, 0xff00000, v5
	v_lshrrev_b32_e32 v5, 20, v5
	v_cmp_ne_u32_e32 vcc_lo, 0x7f00000, v6
	v_cndmask_b32_e32 v5, 0x7e, v5, vcc_lo
; %bb.380:
	s_andn2_saveexec_b32 s20, s20
; %bb.381:
	v_add_f32_e64 v5, 0x46800000, |v4|
; %bb.382:
	s_or_b32 exec_lo, exec_lo, s20
                                        ; implicit-def: $vgpr6
.LBB24_383:
	s_andn2_saveexec_b32 s19, s19
; %bb.384:
	v_mov_b32_e32 v5, 0x7f
	v_cmp_lt_u32_e32 vcc_lo, 0x7f800000, v6
	v_cndmask_b32_e32 v5, 0x7e, v5, vcc_lo
; %bb.385:
	s_or_b32 exec_lo, exec_lo, s19
	v_lshrrev_b32_e32 v4, 24, v4
	v_and_or_b32 v4, 0x80, v4, v5
	global_store_byte v[0:1], v4, off
.LBB24_386:
	s_mov_b32 s19, 0
.LBB24_387:
	s_andn2_b32 vcc_lo, exec_lo, s19
	s_cbranch_vccnz .LBB24_397
; %bb.388:
	v_cvt_f32_f16_e32 v4, v3
	s_mov_b32 s19, exec_lo
                                        ; implicit-def: $vgpr5
	v_and_b32_e32 v6, 0x7fffffff, v4
	v_cmpx_gt_u32_e32 0x47800000, v6
	s_xor_b32 s19, exec_lo, s19
	s_cbranch_execz .LBB24_394
; %bb.389:
	s_mov_b32 s20, exec_lo
                                        ; implicit-def: $vgpr5
	v_cmpx_lt_u32_e32 0x387fffff, v6
	s_xor_b32 s20, exec_lo, s20
; %bb.390:
	v_bfe_u32 v5, v4, 21, 1
	v_add3_u32 v5, v4, v5, 0x80fffff
	v_lshrrev_b32_e32 v5, 21, v5
; %bb.391:
	s_andn2_saveexec_b32 s20, s20
; %bb.392:
	v_add_f32_e64 v5, 0x43000000, |v4|
; %bb.393:
	s_or_b32 exec_lo, exec_lo, s20
                                        ; implicit-def: $vgpr6
.LBB24_394:
	s_andn2_saveexec_b32 s19, s19
; %bb.395:
	v_mov_b32_e32 v5, 0x7f
	v_cmp_lt_u32_e32 vcc_lo, 0x7f800000, v6
	v_cndmask_b32_e32 v5, 0x7c, v5, vcc_lo
; %bb.396:
	s_or_b32 exec_lo, exec_lo, s19
	v_lshrrev_b32_e32 v4, 24, v4
	v_and_or_b32 v4, 0x80, v4, v5
	global_store_byte v[0:1], v4, off
.LBB24_397:
	s_mov_b32 s20, 0
	s_mov_b32 s19, -1
.LBB24_398:
	s_andn2_b32 vcc_lo, exec_lo, s20
	s_cbranch_vccnz .LBB24_406
; %bb.399:
	s_cmp_gt_i32 s17, 14
	s_mov_b32 s20, -1
	s_cbranch_scc0 .LBB24_403
; %bb.400:
	s_cmp_eq_u32 s17, 15
	s_mov_b32 s0, -1
	s_cbranch_scc0 .LBB24_402
; %bb.401:
	v_cvt_f32_f16_e32 v4, v3
	v_cmp_o_f16_e32 vcc_lo, v3, v3
	s_mov_b32 s19, -1
	s_mov_b32 s0, 0
	v_bfe_u32 v5, v4, 16, 1
	v_add3_u32 v4, v4, v5, 0x7fff
	v_mov_b32_e32 v5, 0x7fc0
	v_cndmask_b32_sdwa v4, v5, v4, vcc_lo dst_sel:DWORD dst_unused:UNUSED_PAD src0_sel:DWORD src1_sel:WORD_1
	global_store_short v[0:1], v4, off
.LBB24_402:
	s_mov_b32 s20, 0
.LBB24_403:
	s_and_b32 vcc_lo, exec_lo, s20
	s_cbranch_vccz .LBB24_406
; %bb.404:
	s_cmp_eq_u32 s17, 11
	s_mov_b32 s0, -1
	s_cbranch_scc0 .LBB24_406
; %bb.405:
	v_cmp_neq_f16_e32 vcc_lo, 0, v3
	s_mov_b32 s0, 0
	s_mov_b32 s19, -1
	v_cndmask_b32_e64 v4, 0, 1, vcc_lo
	global_store_byte v[0:1], v4, off
.LBB24_406:
.LBB24_407:
	s_andn2_b32 vcc_lo, exec_lo, s19
	s_cbranch_vccnz .LBB24_320
.LBB24_408:
	v_add_nc_u32_e32 v2, 0x80, v2
	s_mov_b32 s1, -1
	s_branch .LBB24_521
.LBB24_409:
	s_mov_b32 s16, -1
                                        ; implicit-def: $vgpr3
.LBB24_410:
	s_mov_b32 s17, 0
.LBB24_411:
	s_and_b32 vcc_lo, exec_lo, s17
	s_cbranch_vccz .LBB24_415
; %bb.412:
	s_cmp_eq_u32 s0, 29
	s_cbranch_scc0 .LBB24_414
; %bb.413:
	global_load_dwordx2 v[3:4], v[0:1], off
	s_mov_b32 s1, -1
	s_mov_b32 s16, 0
	s_mov_b32 s17, 0
	s_waitcnt vmcnt(0)
	v_ffbh_u32_e32 v5, v4
	v_min_u32_e32 v5, 32, v5
	v_lshlrev_b64 v[3:4], v5, v[3:4]
	v_min_u32_e32 v3, 1, v3
	v_or_b32_e32 v3, v4, v3
	v_sub_nc_u32_e32 v4, 32, v5
	v_cvt_f32_u32_e32 v3, v3
	v_ldexp_f32 v3, v3, v4
	v_cvt_f16_f32_e32 v3, v3
	s_branch .LBB24_416
.LBB24_414:
	s_mov_b32 s16, -1
                                        ; implicit-def: $vgpr3
.LBB24_415:
	s_mov_b32 s17, 0
.LBB24_416:
	s_and_b32 vcc_lo, exec_lo, s17
	s_cbranch_vccz .LBB24_434
; %bb.417:
	s_cmp_lt_i32 s0, 27
	s_cbranch_scc1 .LBB24_420
; %bb.418:
	s_cmp_gt_i32 s0, 27
	s_cbranch_scc0 .LBB24_421
; %bb.419:
	global_load_dword v3, v[0:1], off
	s_mov_b32 s1, 0
	s_waitcnt vmcnt(0)
	v_cvt_f32_u32_e32 v3, v3
	v_cvt_f16_f32_e32 v3, v3
	s_branch .LBB24_422
.LBB24_420:
	s_mov_b32 s1, -1
                                        ; implicit-def: $vgpr3
	s_branch .LBB24_425
.LBB24_421:
	s_mov_b32 s1, -1
                                        ; implicit-def: $vgpr3
.LBB24_422:
	s_andn2_b32 vcc_lo, exec_lo, s1
	s_cbranch_vccnz .LBB24_424
; %bb.423:
	global_load_ushort v3, v[0:1], off
	s_waitcnt vmcnt(0)
	v_cvt_f16_u16_e32 v3, v3
.LBB24_424:
	s_mov_b32 s1, 0
.LBB24_425:
	s_andn2_b32 vcc_lo, exec_lo, s1
	s_cbranch_vccnz .LBB24_433
; %bb.426:
	global_load_ubyte v4, v[0:1], off
	s_mov_b32 s1, 0
	s_mov_b32 s17, exec_lo
	s_waitcnt vmcnt(0)
	v_cmpx_lt_i16_e32 0x7f, v4
	s_xor_b32 s17, exec_lo, s17
	s_cbranch_execz .LBB24_447
; %bb.427:
	s_mov_b32 s1, -1
	s_mov_b32 s19, exec_lo
	v_cmpx_eq_u16_e32 0x80, v4
; %bb.428:
	s_xor_b32 s1, exec_lo, -1
; %bb.429:
	s_or_b32 exec_lo, exec_lo, s19
	s_and_b32 s1, s1, exec_lo
	s_or_saveexec_b32 s17, s17
	v_mov_b32_e32 v3, 0x7e00
	s_xor_b32 exec_lo, exec_lo, s17
	s_cbranch_execnz .LBB24_448
.LBB24_430:
	s_or_b32 exec_lo, exec_lo, s17
	s_and_saveexec_b32 s17, s1
	s_cbranch_execz .LBB24_432
.LBB24_431:
	v_and_b32_e32 v3, 0xffff, v4
	v_lshlrev_b32_e32 v4, 24, v4
	v_and_b32_e32 v5, 7, v3
	v_bfe_u32 v8, v3, 3, 4
	v_and_b32_e32 v4, 0x80000000, v4
	v_ffbh_u32_e32 v6, v5
	v_cmp_eq_u32_e32 vcc_lo, 0, v8
	v_min_u32_e32 v6, 32, v6
	v_subrev_nc_u32_e32 v7, 28, v6
	v_sub_nc_u32_e32 v6, 29, v6
	v_lshlrev_b32_e32 v3, v7, v3
	v_cndmask_b32_e32 v6, v8, v6, vcc_lo
	v_and_b32_e32 v3, 7, v3
	v_cndmask_b32_e32 v3, v5, v3, vcc_lo
	v_lshl_add_u32 v5, v6, 23, 0x3b800000
	v_lshlrev_b32_e32 v3, 20, v3
	v_or3_b32 v3, v4, v5, v3
	v_cvt_f16_f32_e32 v3, v3
.LBB24_432:
	s_or_b32 exec_lo, exec_lo, s17
.LBB24_433:
	s_mov_b32 s1, -1
.LBB24_434:
	s_mov_b32 s17, 0
.LBB24_435:
	s_and_b32 vcc_lo, exec_lo, s17
	s_cbranch_vccz .LBB24_470
; %bb.436:
	s_cmp_gt_i32 s0, 22
	s_cbranch_scc0 .LBB24_446
; %bb.437:
	s_cmp_lt_i32 s0, 24
	s_cbranch_scc1 .LBB24_449
; %bb.438:
	s_cmp_gt_i32 s0, 24
	s_cbranch_scc0 .LBB24_450
; %bb.439:
	global_load_ubyte v4, v[0:1], off
	s_mov_b32 s1, 0
	s_mov_b32 s17, exec_lo
	s_waitcnt vmcnt(0)
	v_cmpx_lt_i16_e32 0x7f, v4
	s_xor_b32 s17, exec_lo, s17
	s_cbranch_execz .LBB24_462
; %bb.440:
	s_mov_b32 s1, -1
	s_mov_b32 s19, exec_lo
	v_cmpx_eq_u16_e32 0x80, v4
; %bb.441:
	s_xor_b32 s1, exec_lo, -1
; %bb.442:
	s_or_b32 exec_lo, exec_lo, s19
	s_and_b32 s1, s1, exec_lo
	s_or_saveexec_b32 s17, s17
	v_mov_b32_e32 v3, 0x7e00
	s_xor_b32 exec_lo, exec_lo, s17
	s_cbranch_execnz .LBB24_463
.LBB24_443:
	s_or_b32 exec_lo, exec_lo, s17
	s_and_saveexec_b32 s17, s1
	s_cbranch_execz .LBB24_445
.LBB24_444:
	v_and_b32_e32 v3, 0xffff, v4
	v_lshlrev_b32_e32 v4, 24, v4
	v_and_b32_e32 v5, 3, v3
	v_bfe_u32 v8, v3, 2, 5
	v_and_b32_e32 v4, 0x80000000, v4
	v_ffbh_u32_e32 v6, v5
	v_cmp_eq_u32_e32 vcc_lo, 0, v8
	v_min_u32_e32 v6, 32, v6
	v_subrev_nc_u32_e32 v7, 29, v6
	v_sub_nc_u32_e32 v6, 30, v6
	v_lshlrev_b32_e32 v3, v7, v3
	v_cndmask_b32_e32 v6, v8, v6, vcc_lo
	v_and_b32_e32 v3, 3, v3
	v_cndmask_b32_e32 v3, v5, v3, vcc_lo
	v_lshl_add_u32 v5, v6, 23, 0x37800000
	v_lshlrev_b32_e32 v3, 21, v3
	v_or3_b32 v3, v4, v5, v3
	v_cvt_f16_f32_e32 v3, v3
.LBB24_445:
	s_or_b32 exec_lo, exec_lo, s17
	s_mov_b32 s1, 0
	s_branch .LBB24_451
.LBB24_446:
	s_mov_b32 s17, -1
                                        ; implicit-def: $vgpr3
	s_branch .LBB24_457
.LBB24_447:
	s_or_saveexec_b32 s17, s17
	v_mov_b32_e32 v3, 0x7e00
	s_xor_b32 exec_lo, exec_lo, s17
	s_cbranch_execz .LBB24_430
.LBB24_448:
	v_cmp_ne_u16_e32 vcc_lo, 0, v4
	v_mov_b32_e32 v3, v4
	s_andn2_b32 s1, s1, exec_lo
	s_and_b32 s19, vcc_lo, exec_lo
	s_or_b32 s1, s1, s19
	s_or_b32 exec_lo, exec_lo, s17
	s_and_saveexec_b32 s17, s1
	s_cbranch_execnz .LBB24_431
	s_branch .LBB24_432
.LBB24_449:
	s_mov_b32 s1, -1
                                        ; implicit-def: $vgpr3
	s_branch .LBB24_454
.LBB24_450:
	s_mov_b32 s1, -1
                                        ; implicit-def: $vgpr3
.LBB24_451:
	s_and_b32 vcc_lo, exec_lo, s1
	s_cbranch_vccz .LBB24_453
; %bb.452:
	global_load_ubyte v3, v[0:1], off
	s_waitcnt vmcnt(0)
	v_lshlrev_b32_e32 v3, 24, v3
	v_and_b32_e32 v4, 0x7f000000, v3
	v_ffbh_u32_e32 v5, v4
	v_add_nc_u32_e32 v7, 0x1000000, v4
	v_cmp_ne_u32_e32 vcc_lo, 0, v4
	v_min_u32_e32 v5, 32, v5
	v_sub_nc_u32_e64 v5, v5, 4 clamp
	v_lshlrev_b32_e32 v6, v5, v4
	v_lshlrev_b32_e32 v5, 23, v5
	v_lshrrev_b32_e32 v6, 4, v6
	v_sub_nc_u32_e32 v5, v6, v5
	v_ashrrev_i32_e32 v6, 8, v7
	v_add_nc_u32_e32 v5, 0x3c000000, v5
	v_and_or_b32 v5, 0x7f800000, v6, v5
	v_cndmask_b32_e32 v4, 0, v5, vcc_lo
	v_and_or_b32 v3, 0x80000000, v3, v4
	v_cvt_f16_f32_e32 v3, v3
.LBB24_453:
	s_mov_b32 s1, 0
.LBB24_454:
	s_andn2_b32 vcc_lo, exec_lo, s1
	s_cbranch_vccnz .LBB24_456
; %bb.455:
	global_load_ubyte v3, v[0:1], off
	s_waitcnt vmcnt(0)
	v_lshlrev_b32_e32 v4, 25, v3
	v_lshlrev_b16 v3, 8, v3
	v_lshrrev_b32_e32 v5, 4, v4
	v_and_or_b32 v6, 0x7f00, v3, 0.5
	v_cmp_gt_u32_e32 vcc_lo, 0x8000000, v4
	v_bfe_i32 v3, v3, 0, 16
	v_or_b32_e32 v5, 0x70000000, v5
	v_add_f32_e32 v6, -0.5, v6
	v_mul_f32_e32 v5, 0x7800000, v5
	v_cndmask_b32_e32 v4, v5, v6, vcc_lo
	v_and_or_b32 v3, 0x80000000, v3, v4
	v_cvt_f16_f32_e32 v3, v3
.LBB24_456:
	s_mov_b32 s17, 0
	s_mov_b32 s1, -1
.LBB24_457:
	s_andn2_b32 vcc_lo, exec_lo, s17
	s_cbranch_vccnz .LBB24_470
; %bb.458:
	s_cmp_gt_i32 s0, 14
	s_cbranch_scc0 .LBB24_461
; %bb.459:
	s_cmp_eq_u32 s0, 15
	s_cbranch_scc0 .LBB24_464
; %bb.460:
	global_load_ushort v3, v[0:1], off
	s_mov_b32 s1, -1
	s_mov_b32 s16, 0
	s_waitcnt vmcnt(0)
	v_lshlrev_b32_e32 v3, 16, v3
	v_cvt_f16_f32_e32 v3, v3
	s_branch .LBB24_465
.LBB24_461:
	s_mov_b32 s17, -1
                                        ; implicit-def: $vgpr3
	s_branch .LBB24_466
.LBB24_462:
	s_or_saveexec_b32 s17, s17
	v_mov_b32_e32 v3, 0x7e00
	s_xor_b32 exec_lo, exec_lo, s17
	s_cbranch_execz .LBB24_443
.LBB24_463:
	v_cmp_ne_u16_e32 vcc_lo, 0, v4
	v_mov_b32_e32 v3, v4
	s_andn2_b32 s1, s1, exec_lo
	s_and_b32 s19, vcc_lo, exec_lo
	s_or_b32 s1, s1, s19
	s_or_b32 exec_lo, exec_lo, s17
	s_and_saveexec_b32 s17, s1
	s_cbranch_execnz .LBB24_444
	s_branch .LBB24_445
.LBB24_464:
	s_mov_b32 s16, -1
                                        ; implicit-def: $vgpr3
.LBB24_465:
	s_mov_b32 s17, 0
.LBB24_466:
	s_and_b32 vcc_lo, exec_lo, s17
	s_cbranch_vccz .LBB24_470
; %bb.467:
	s_cmp_eq_u32 s0, 11
	s_cbranch_scc0 .LBB24_469
; %bb.468:
	global_load_ubyte v3, v[0:1], off
	s_mov_b32 s16, 0
	s_mov_b32 s1, -1
	s_waitcnt vmcnt(0)
	v_cmp_ne_u16_e32 vcc_lo, 0, v3
	v_cndmask_b32_e64 v3, 0, 0x3c00, vcc_lo
	s_branch .LBB24_470
.LBB24_469:
	s_mov_b32 s16, -1
                                        ; implicit-def: $vgpr3
.LBB24_470:
	s_branch .LBB24_269
.LBB24_471:
	s_cmp_lt_i32 s0, 5
	s_cbranch_scc1 .LBB24_476
; %bb.472:
	s_cmp_lt_i32 s0, 8
	s_cbranch_scc1 .LBB24_477
; %bb.473:
	;; [unrolled: 3-line block ×3, first 2 shown]
	s_cmp_gt_i32 s0, 9
	s_cbranch_scc0 .LBB24_479
; %bb.475:
	global_load_dwordx2 v[3:4], v[0:1], off
	s_mov_b32 s1, 0
	s_waitcnt vmcnt(0)
	v_and_or_b32 v3, 0x1ff, v4, v3
	v_lshrrev_b32_e32 v5, 8, v4
	v_bfe_u32 v6, v4, 20, 11
	v_lshrrev_b32_e32 v4, 16, v4
	v_cmp_ne_u32_e32 vcc_lo, 0, v3
	v_sub_nc_u32_e32 v7, 0x3f1, v6
	v_add_nc_u32_e32 v6, 0xfffffc10, v6
	v_cndmask_b32_e64 v3, 0, 1, vcc_lo
	v_and_or_b32 v3, 0xffe, v5, v3
	v_med3_i32 v5, v7, 0, 13
	v_or_b32_e32 v7, 0x1000, v3
	v_lshrrev_b32_e32 v8, v5, v7
	v_lshlrev_b32_e32 v5, v5, v8
	v_cmp_ne_u32_e32 vcc_lo, v5, v7
	v_lshl_or_b32 v7, v6, 12, v3
	v_cndmask_b32_e64 v5, 0, 1, vcc_lo
	v_cmp_gt_i32_e32 vcc_lo, 1, v6
	v_or_b32_e32 v5, v8, v5
	v_cndmask_b32_e32 v5, v7, v5, vcc_lo
	v_and_b32_e32 v7, 7, v5
	v_lshrrev_b32_e32 v5, 2, v5
	v_cmp_lt_i32_e32 vcc_lo, 5, v7
	v_cndmask_b32_e64 v8, 0, 1, vcc_lo
	v_cmp_eq_u32_e32 vcc_lo, 3, v7
	v_cndmask_b32_e64 v7, 0, 1, vcc_lo
	v_cmp_ne_u32_e32 vcc_lo, 0, v3
	v_or_b32_e32 v7, v7, v8
	v_mov_b32_e32 v8, 0x7e00
	v_add_nc_u32_e32 v5, v5, v7
	v_cndmask_b32_e32 v3, 0x7c00, v8, vcc_lo
	v_cmp_gt_i32_e32 vcc_lo, 31, v6
	v_cndmask_b32_e32 v5, 0x7c00, v5, vcc_lo
	v_cmp_eq_u32_e32 vcc_lo, 0x40f, v6
	v_cndmask_b32_e32 v3, v5, v3, vcc_lo
	v_and_or_b32 v3, 0x8000, v4, v3
	s_branch .LBB24_480
.LBB24_476:
	s_mov_b32 s1, -1
                                        ; implicit-def: $vgpr3
	s_branch .LBB24_498
.LBB24_477:
	s_mov_b32 s1, -1
                                        ; implicit-def: $vgpr3
	s_branch .LBB24_486
.LBB24_478:
	s_mov_b32 s1, -1
                                        ; implicit-def: $vgpr3
	s_branch .LBB24_483
.LBB24_479:
	s_mov_b32 s1, -1
                                        ; implicit-def: $vgpr3
.LBB24_480:
	s_andn2_b32 vcc_lo, exec_lo, s1
	s_cbranch_vccnz .LBB24_482
; %bb.481:
	global_load_dword v3, v[0:1], off
	s_waitcnt vmcnt(0)
	v_cvt_f16_f32_e32 v3, v3
.LBB24_482:
	s_mov_b32 s1, 0
.LBB24_483:
	s_andn2_b32 vcc_lo, exec_lo, s1
	s_cbranch_vccnz .LBB24_485
; %bb.484:
	global_load_dword v3, v[0:1], off
.LBB24_485:
	s_mov_b32 s1, 0
.LBB24_486:
	s_andn2_b32 vcc_lo, exec_lo, s1
	s_cbranch_vccnz .LBB24_497
; %bb.487:
	s_cmp_lt_i32 s0, 6
	s_cbranch_scc1 .LBB24_490
; %bb.488:
	s_cmp_gt_i32 s0, 6
	s_cbranch_scc0 .LBB24_491
; %bb.489:
	global_load_dwordx2 v[3:4], v[0:1], off
	s_mov_b32 s1, 0
	s_waitcnt vmcnt(0)
	v_and_or_b32 v3, 0x1ff, v4, v3
	v_lshrrev_b32_e32 v5, 8, v4
	v_bfe_u32 v6, v4, 20, 11
	v_lshrrev_b32_e32 v4, 16, v4
	v_cmp_ne_u32_e32 vcc_lo, 0, v3
	v_sub_nc_u32_e32 v7, 0x3f1, v6
	v_add_nc_u32_e32 v6, 0xfffffc10, v6
	v_cndmask_b32_e64 v3, 0, 1, vcc_lo
	v_and_or_b32 v3, 0xffe, v5, v3
	v_med3_i32 v5, v7, 0, 13
	v_or_b32_e32 v7, 0x1000, v3
	v_lshrrev_b32_e32 v8, v5, v7
	v_lshlrev_b32_e32 v5, v5, v8
	v_cmp_ne_u32_e32 vcc_lo, v5, v7
	v_lshl_or_b32 v7, v6, 12, v3
	v_cndmask_b32_e64 v5, 0, 1, vcc_lo
	v_cmp_gt_i32_e32 vcc_lo, 1, v6
	v_or_b32_e32 v5, v8, v5
	v_cndmask_b32_e32 v5, v7, v5, vcc_lo
	v_and_b32_e32 v7, 7, v5
	v_lshrrev_b32_e32 v5, 2, v5
	v_cmp_lt_i32_e32 vcc_lo, 5, v7
	v_cndmask_b32_e64 v8, 0, 1, vcc_lo
	v_cmp_eq_u32_e32 vcc_lo, 3, v7
	v_cndmask_b32_e64 v7, 0, 1, vcc_lo
	v_cmp_ne_u32_e32 vcc_lo, 0, v3
	v_or_b32_e32 v7, v7, v8
	v_mov_b32_e32 v8, 0x7e00
	v_add_nc_u32_e32 v5, v5, v7
	v_cndmask_b32_e32 v3, 0x7c00, v8, vcc_lo
	v_cmp_gt_i32_e32 vcc_lo, 31, v6
	v_cndmask_b32_e32 v5, 0x7c00, v5, vcc_lo
	v_cmp_eq_u32_e32 vcc_lo, 0x40f, v6
	v_cndmask_b32_e32 v3, v5, v3, vcc_lo
	v_and_or_b32 v3, 0x8000, v4, v3
	s_branch .LBB24_492
.LBB24_490:
	s_mov_b32 s1, -1
                                        ; implicit-def: $vgpr3
	s_branch .LBB24_495
.LBB24_491:
	s_mov_b32 s1, -1
                                        ; implicit-def: $vgpr3
.LBB24_492:
	s_andn2_b32 vcc_lo, exec_lo, s1
	s_cbranch_vccnz .LBB24_494
; %bb.493:
	global_load_dword v3, v[0:1], off
	s_waitcnt vmcnt(0)
	v_cvt_f16_f32_e32 v3, v3
.LBB24_494:
	s_mov_b32 s1, 0
.LBB24_495:
	s_andn2_b32 vcc_lo, exec_lo, s1
	s_cbranch_vccnz .LBB24_497
; %bb.496:
	global_load_ushort v3, v[0:1], off
.LBB24_497:
	s_mov_b32 s1, 0
.LBB24_498:
	s_andn2_b32 vcc_lo, exec_lo, s1
	s_cbranch_vccnz .LBB24_518
; %bb.499:
	s_cmp_lt_i32 s0, 2
	s_cbranch_scc1 .LBB24_503
; %bb.500:
	s_cmp_lt_i32 s0, 3
	s_cbranch_scc1 .LBB24_504
; %bb.501:
	s_cmp_gt_i32 s0, 3
	s_cbranch_scc0 .LBB24_505
; %bb.502:
	global_load_dwordx2 v[3:4], v[0:1], off
	s_mov_b32 s1, 0
	s_waitcnt vmcnt(0)
	v_xor_b32_e32 v5, v3, v4
	v_ffbh_i32_e32 v6, v4
	v_ashrrev_i32_e32 v5, 31, v5
	v_add_nc_u32_e32 v6, -1, v6
	v_add_nc_u32_e32 v5, 32, v5
	v_min_u32_e32 v5, v6, v5
	v_lshlrev_b64 v[3:4], v5, v[3:4]
	v_min_u32_e32 v3, 1, v3
	v_or_b32_e32 v3, v4, v3
	v_sub_nc_u32_e32 v4, 32, v5
	v_cvt_f32_i32_e32 v3, v3
	v_ldexp_f32 v3, v3, v4
	v_cvt_f16_f32_e32 v3, v3
	s_branch .LBB24_506
.LBB24_503:
	s_mov_b32 s1, -1
                                        ; implicit-def: $vgpr3
	s_branch .LBB24_512
.LBB24_504:
	s_mov_b32 s1, -1
                                        ; implicit-def: $vgpr3
	s_branch .LBB24_509
.LBB24_505:
	s_mov_b32 s1, -1
                                        ; implicit-def: $vgpr3
.LBB24_506:
	s_andn2_b32 vcc_lo, exec_lo, s1
	s_cbranch_vccnz .LBB24_508
; %bb.507:
	global_load_dword v3, v[0:1], off
	s_waitcnt vmcnt(0)
	v_cvt_f32_i32_e32 v3, v3
	v_cvt_f16_f32_e32 v3, v3
.LBB24_508:
	s_mov_b32 s1, 0
.LBB24_509:
	s_andn2_b32 vcc_lo, exec_lo, s1
	s_cbranch_vccnz .LBB24_511
; %bb.510:
	global_load_ushort v3, v[0:1], off
	s_waitcnt vmcnt(0)
	v_cvt_f16_i16_e32 v3, v3
.LBB24_511:
	s_mov_b32 s1, 0
.LBB24_512:
	s_andn2_b32 vcc_lo, exec_lo, s1
	s_cbranch_vccnz .LBB24_518
; %bb.513:
	s_cmp_gt_i32 s0, 0
	s_mov_b32 s0, 0
	s_cbranch_scc0 .LBB24_515
; %bb.514:
	global_load_sbyte v3, v[0:1], off
	s_waitcnt vmcnt(0)
	v_cvt_f16_i16_e32 v3, v3
	s_branch .LBB24_516
.LBB24_515:
	s_mov_b32 s0, -1
                                        ; implicit-def: $vgpr3
.LBB24_516:
	s_andn2_b32 vcc_lo, exec_lo, s0
	s_cbranch_vccnz .LBB24_518
; %bb.517:
	global_load_ubyte v0, v[0:1], off
	s_waitcnt vmcnt(0)
	v_cvt_f16_u16_e32 v3, v0
.LBB24_518:
	s_branch .LBB24_270
.LBB24_519:
	s_mov_b32 s1, 0
	s_mov_b32 s0, s12
.LBB24_520:
                                        ; implicit-def: $vgpr2
.LBB24_521:
	s_andn2_b32 s17, s12, exec_lo
	s_and_b32 s0, s0, exec_lo
	s_andn2_b32 s19, s14, exec_lo
	s_and_b32 s16, s16, exec_lo
	s_or_b32 s17, s17, s0
	s_or_b32 s16, s19, s16
	s_orn2_b32 s0, s1, exec_lo
.LBB24_522:
	s_or_b32 exec_lo, exec_lo, s18
	s_mov_b32 s1, 0
	s_mov_b32 s19, 0
	;; [unrolled: 1-line block ×3, first 2 shown]
                                        ; implicit-def: $vgpr0_vgpr1
                                        ; implicit-def: $vgpr4
	s_and_saveexec_b32 s18, s0
	s_cbranch_execz .LBB24_872
; %bb.523:
	s_mov_b32 s20, -1
	s_mov_b32 s0, s16
	s_mov_b32 s1, s17
	s_mov_b32 s19, exec_lo
	v_cmpx_gt_i32_e64 s13, v2
	s_cbranch_execz .LBB24_786
; %bb.524:
	v_mul_lo_u32 v0, v2, s3
	s_and_b32 s0, 0xffff, s6
	s_cmp_lt_i32 s0, 11
	v_ashrrev_i32_e32 v1, 31, v0
	v_add_co_u32 v0, vcc_lo, s10, v0
	v_add_co_ci_u32_e64 v1, null, s11, v1, vcc_lo
	s_cbranch_scc1 .LBB24_531
; %bb.525:
	s_cmp_gt_i32 s0, 25
	s_cbranch_scc0 .LBB24_532
; %bb.526:
	s_cmp_gt_i32 s0, 28
	s_cbranch_scc0 .LBB24_533
	;; [unrolled: 3-line block ×4, first 2 shown]
; %bb.529:
	s_cmp_eq_u32 s0, 46
	s_mov_b32 s21, 0
	s_cbranch_scc0 .LBB24_540
; %bb.530:
	global_load_dword v3, v[0:1], off
	s_mov_b32 s1, -1
	s_mov_b32 s20, 0
	s_waitcnt vmcnt(0)
	v_lshlrev_b32_e32 v3, 16, v3
	v_cvt_f16_f32_e32 v3, v3
	s_branch .LBB24_542
.LBB24_531:
	s_mov_b32 s21, -1
	s_mov_b32 s1, 0
	s_mov_b32 s20, s16
                                        ; implicit-def: $vgpr3
	s_branch .LBB24_607
.LBB24_532:
	s_mov_b32 s21, -1
	s_mov_b32 s1, 0
	s_mov_b32 s20, s16
                                        ; implicit-def: $vgpr3
	s_branch .LBB24_571
.LBB24_533:
	s_mov_b32 s21, -1
	s_mov_b32 s1, 0
	s_mov_b32 s20, s16
                                        ; implicit-def: $vgpr3
	s_branch .LBB24_552
.LBB24_534:
	s_mov_b32 s21, -1
	s_mov_b32 s1, 0
	s_mov_b32 s20, s16
                                        ; implicit-def: $vgpr3
	s_branch .LBB24_547
.LBB24_535:
	s_andn2_saveexec_b32 s21, s21
	s_cbranch_execz .LBB24_359
.LBB24_536:
	v_add_f32_e64 v5, 0x46000000, |v4|
	s_andn2_b32 s20, s20, exec_lo
	v_and_b32_e32 v5, 0xff, v5
	v_cmp_ne_u32_e32 vcc_lo, 0, v5
	s_and_b32 s22, vcc_lo, exec_lo
	s_or_b32 s20, s20, s22
	s_or_b32 exec_lo, exec_lo, s21
	v_mov_b32_e32 v6, 0
	s_and_saveexec_b32 s21, s20
	s_cbranch_execnz .LBB24_360
	s_branch .LBB24_361
.LBB24_537:
	s_mov_b32 s21, -1
	s_mov_b32 s1, 0
	s_mov_b32 s20, s16
	s_branch .LBB24_541
.LBB24_538:
	s_andn2_saveexec_b32 s21, s21
	s_cbranch_execz .LBB24_372
.LBB24_539:
	v_add_f32_e64 v5, 0x42800000, |v4|
	s_andn2_b32 s20, s20, exec_lo
	v_and_b32_e32 v5, 0xff, v5
	v_cmp_ne_u32_e32 vcc_lo, 0, v5
	s_and_b32 s22, vcc_lo, exec_lo
	s_or_b32 s20, s20, s22
	s_or_b32 exec_lo, exec_lo, s21
	v_mov_b32_e32 v6, 0
	s_and_saveexec_b32 s21, s20
	s_cbranch_execnz .LBB24_373
	s_branch .LBB24_374
.LBB24_540:
	s_mov_b32 s1, 0
.LBB24_541:
                                        ; implicit-def: $vgpr3
.LBB24_542:
	s_and_b32 vcc_lo, exec_lo, s21
	s_cbranch_vccz .LBB24_546
; %bb.543:
	s_cmp_eq_u32 s0, 44
	s_cbranch_scc0 .LBB24_545
; %bb.544:
	global_load_ubyte v3, v[0:1], off
	s_mov_b32 s20, 0
	s_mov_b32 s1, -1
	s_waitcnt vmcnt(0)
	v_lshlrev_b32_e32 v4, 23, v3
	v_cmp_ne_u32_e32 vcc_lo, 0xff, v3
	v_cvt_f16_f32_e32 v4, v4
	v_cndmask_b32_e32 v4, 0x7e00, v4, vcc_lo
	v_cmp_ne_u32_e32 vcc_lo, 0, v3
	v_cndmask_b32_e32 v3, 0, v4, vcc_lo
	s_branch .LBB24_546
.LBB24_545:
	s_mov_b32 s20, -1
                                        ; implicit-def: $vgpr3
.LBB24_546:
	s_mov_b32 s21, 0
.LBB24_547:
	s_and_b32 vcc_lo, exec_lo, s21
	s_cbranch_vccz .LBB24_551
; %bb.548:
	s_cmp_eq_u32 s0, 29
	s_cbranch_scc0 .LBB24_550
; %bb.549:
	global_load_dwordx2 v[3:4], v[0:1], off
	s_mov_b32 s1, -1
	s_mov_b32 s20, 0
	s_mov_b32 s21, 0
	s_waitcnt vmcnt(0)
	v_ffbh_u32_e32 v5, v4
	v_min_u32_e32 v5, 32, v5
	v_lshlrev_b64 v[3:4], v5, v[3:4]
	v_min_u32_e32 v3, 1, v3
	v_or_b32_e32 v3, v4, v3
	v_sub_nc_u32_e32 v4, 32, v5
	v_cvt_f32_u32_e32 v3, v3
	v_ldexp_f32 v3, v3, v4
	v_cvt_f16_f32_e32 v3, v3
	s_branch .LBB24_552
.LBB24_550:
	s_mov_b32 s20, -1
                                        ; implicit-def: $vgpr3
.LBB24_551:
	s_mov_b32 s21, 0
.LBB24_552:
	s_and_b32 vcc_lo, exec_lo, s21
	s_cbranch_vccz .LBB24_570
; %bb.553:
	s_cmp_lt_i32 s0, 27
	s_cbranch_scc1 .LBB24_556
; %bb.554:
	s_cmp_gt_i32 s0, 27
	s_cbranch_scc0 .LBB24_557
; %bb.555:
	global_load_dword v3, v[0:1], off
	s_mov_b32 s1, 0
	s_waitcnt vmcnt(0)
	v_cvt_f32_u32_e32 v3, v3
	v_cvt_f16_f32_e32 v3, v3
	s_branch .LBB24_558
.LBB24_556:
	s_mov_b32 s1, -1
                                        ; implicit-def: $vgpr3
	s_branch .LBB24_561
.LBB24_557:
	s_mov_b32 s1, -1
                                        ; implicit-def: $vgpr3
.LBB24_558:
	s_andn2_b32 vcc_lo, exec_lo, s1
	s_cbranch_vccnz .LBB24_560
; %bb.559:
	global_load_ushort v3, v[0:1], off
	s_waitcnt vmcnt(0)
	v_cvt_f16_u16_e32 v3, v3
.LBB24_560:
	s_mov_b32 s1, 0
.LBB24_561:
	s_andn2_b32 vcc_lo, exec_lo, s1
	s_cbranch_vccnz .LBB24_569
; %bb.562:
	global_load_ubyte v4, v[0:1], off
	s_mov_b32 s1, 0
	s_mov_b32 s21, exec_lo
	s_waitcnt vmcnt(0)
	v_cmpx_lt_i16_e32 0x7f, v4
	s_xor_b32 s21, exec_lo, s21
	s_cbranch_execz .LBB24_583
; %bb.563:
	s_mov_b32 s1, -1
	s_mov_b32 s22, exec_lo
	v_cmpx_eq_u16_e32 0x80, v4
; %bb.564:
	s_xor_b32 s1, exec_lo, -1
; %bb.565:
	s_or_b32 exec_lo, exec_lo, s22
	s_and_b32 s1, s1, exec_lo
	s_or_saveexec_b32 s21, s21
	v_mov_b32_e32 v3, 0x7e00
	s_xor_b32 exec_lo, exec_lo, s21
	s_cbranch_execnz .LBB24_584
.LBB24_566:
	s_or_b32 exec_lo, exec_lo, s21
	s_and_saveexec_b32 s21, s1
	s_cbranch_execz .LBB24_568
.LBB24_567:
	v_and_b32_e32 v3, 0xffff, v4
	v_lshlrev_b32_e32 v4, 24, v4
	v_and_b32_e32 v5, 7, v3
	v_bfe_u32 v8, v3, 3, 4
	v_and_b32_e32 v4, 0x80000000, v4
	v_ffbh_u32_e32 v6, v5
	v_cmp_eq_u32_e32 vcc_lo, 0, v8
	v_min_u32_e32 v6, 32, v6
	v_subrev_nc_u32_e32 v7, 28, v6
	v_sub_nc_u32_e32 v6, 29, v6
	v_lshlrev_b32_e32 v3, v7, v3
	v_cndmask_b32_e32 v6, v8, v6, vcc_lo
	v_and_b32_e32 v3, 7, v3
	v_cndmask_b32_e32 v3, v5, v3, vcc_lo
	v_lshl_add_u32 v5, v6, 23, 0x3b800000
	v_lshlrev_b32_e32 v3, 20, v3
	v_or3_b32 v3, v4, v5, v3
	v_cvt_f16_f32_e32 v3, v3
.LBB24_568:
	s_or_b32 exec_lo, exec_lo, s21
.LBB24_569:
	s_mov_b32 s1, -1
.LBB24_570:
	s_mov_b32 s21, 0
.LBB24_571:
	s_and_b32 vcc_lo, exec_lo, s21
	s_cbranch_vccz .LBB24_606
; %bb.572:
	s_cmp_gt_i32 s0, 22
	s_cbranch_scc0 .LBB24_582
; %bb.573:
	s_cmp_lt_i32 s0, 24
	s_cbranch_scc1 .LBB24_585
; %bb.574:
	s_cmp_gt_i32 s0, 24
	s_cbranch_scc0 .LBB24_586
; %bb.575:
	global_load_ubyte v4, v[0:1], off
	s_mov_b32 s1, 0
	s_mov_b32 s21, exec_lo
	s_waitcnt vmcnt(0)
	v_cmpx_lt_i16_e32 0x7f, v4
	s_xor_b32 s21, exec_lo, s21
	s_cbranch_execz .LBB24_598
; %bb.576:
	s_mov_b32 s1, -1
	s_mov_b32 s22, exec_lo
	v_cmpx_eq_u16_e32 0x80, v4
; %bb.577:
	s_xor_b32 s1, exec_lo, -1
; %bb.578:
	s_or_b32 exec_lo, exec_lo, s22
	s_and_b32 s1, s1, exec_lo
	s_or_saveexec_b32 s21, s21
	v_mov_b32_e32 v3, 0x7e00
	s_xor_b32 exec_lo, exec_lo, s21
	s_cbranch_execnz .LBB24_599
.LBB24_579:
	s_or_b32 exec_lo, exec_lo, s21
	s_and_saveexec_b32 s21, s1
	s_cbranch_execz .LBB24_581
.LBB24_580:
	v_and_b32_e32 v3, 0xffff, v4
	v_lshlrev_b32_e32 v4, 24, v4
	v_and_b32_e32 v5, 3, v3
	v_bfe_u32 v8, v3, 2, 5
	v_and_b32_e32 v4, 0x80000000, v4
	v_ffbh_u32_e32 v6, v5
	v_cmp_eq_u32_e32 vcc_lo, 0, v8
	v_min_u32_e32 v6, 32, v6
	v_subrev_nc_u32_e32 v7, 29, v6
	v_sub_nc_u32_e32 v6, 30, v6
	v_lshlrev_b32_e32 v3, v7, v3
	v_cndmask_b32_e32 v6, v8, v6, vcc_lo
	v_and_b32_e32 v3, 3, v3
	v_cndmask_b32_e32 v3, v5, v3, vcc_lo
	v_lshl_add_u32 v5, v6, 23, 0x37800000
	v_lshlrev_b32_e32 v3, 21, v3
	v_or3_b32 v3, v4, v5, v3
	v_cvt_f16_f32_e32 v3, v3
.LBB24_581:
	s_or_b32 exec_lo, exec_lo, s21
	s_mov_b32 s1, 0
	s_branch .LBB24_587
.LBB24_582:
	s_mov_b32 s21, -1
                                        ; implicit-def: $vgpr3
	s_branch .LBB24_593
.LBB24_583:
	s_or_saveexec_b32 s21, s21
	v_mov_b32_e32 v3, 0x7e00
	s_xor_b32 exec_lo, exec_lo, s21
	s_cbranch_execz .LBB24_566
.LBB24_584:
	v_cmp_ne_u16_e32 vcc_lo, 0, v4
	v_mov_b32_e32 v3, v4
	s_andn2_b32 s1, s1, exec_lo
	s_and_b32 s22, vcc_lo, exec_lo
	s_or_b32 s1, s1, s22
	s_or_b32 exec_lo, exec_lo, s21
	s_and_saveexec_b32 s21, s1
	s_cbranch_execnz .LBB24_567
	s_branch .LBB24_568
.LBB24_585:
	s_mov_b32 s1, -1
                                        ; implicit-def: $vgpr3
	s_branch .LBB24_590
.LBB24_586:
	s_mov_b32 s1, -1
                                        ; implicit-def: $vgpr3
.LBB24_587:
	s_and_b32 vcc_lo, exec_lo, s1
	s_cbranch_vccz .LBB24_589
; %bb.588:
	global_load_ubyte v3, v[0:1], off
	s_waitcnt vmcnt(0)
	v_lshlrev_b32_e32 v3, 24, v3
	v_and_b32_e32 v4, 0x7f000000, v3
	v_ffbh_u32_e32 v5, v4
	v_add_nc_u32_e32 v7, 0x1000000, v4
	v_cmp_ne_u32_e32 vcc_lo, 0, v4
	v_min_u32_e32 v5, 32, v5
	v_sub_nc_u32_e64 v5, v5, 4 clamp
	v_lshlrev_b32_e32 v6, v5, v4
	v_lshlrev_b32_e32 v5, 23, v5
	v_lshrrev_b32_e32 v6, 4, v6
	v_sub_nc_u32_e32 v5, v6, v5
	v_ashrrev_i32_e32 v6, 8, v7
	v_add_nc_u32_e32 v5, 0x3c000000, v5
	v_and_or_b32 v5, 0x7f800000, v6, v5
	v_cndmask_b32_e32 v4, 0, v5, vcc_lo
	v_and_or_b32 v3, 0x80000000, v3, v4
	v_cvt_f16_f32_e32 v3, v3
.LBB24_589:
	s_mov_b32 s1, 0
.LBB24_590:
	s_andn2_b32 vcc_lo, exec_lo, s1
	s_cbranch_vccnz .LBB24_592
; %bb.591:
	global_load_ubyte v3, v[0:1], off
	s_waitcnt vmcnt(0)
	v_lshlrev_b32_e32 v4, 25, v3
	v_lshlrev_b16 v3, 8, v3
	v_lshrrev_b32_e32 v5, 4, v4
	v_and_or_b32 v6, 0x7f00, v3, 0.5
	v_cmp_gt_u32_e32 vcc_lo, 0x8000000, v4
	v_bfe_i32 v3, v3, 0, 16
	v_or_b32_e32 v5, 0x70000000, v5
	v_add_f32_e32 v6, -0.5, v6
	v_mul_f32_e32 v5, 0x7800000, v5
	v_cndmask_b32_e32 v4, v5, v6, vcc_lo
	v_and_or_b32 v3, 0x80000000, v3, v4
	v_cvt_f16_f32_e32 v3, v3
.LBB24_592:
	s_mov_b32 s21, 0
	s_mov_b32 s1, -1
.LBB24_593:
	s_andn2_b32 vcc_lo, exec_lo, s21
	s_cbranch_vccnz .LBB24_606
; %bb.594:
	s_cmp_gt_i32 s0, 14
	s_cbranch_scc0 .LBB24_597
; %bb.595:
	s_cmp_eq_u32 s0, 15
	s_cbranch_scc0 .LBB24_600
; %bb.596:
	global_load_ushort v3, v[0:1], off
	s_mov_b32 s1, -1
	s_mov_b32 s20, 0
	s_waitcnt vmcnt(0)
	v_lshlrev_b32_e32 v3, 16, v3
	v_cvt_f16_f32_e32 v3, v3
	s_branch .LBB24_601
.LBB24_597:
	s_mov_b32 s21, -1
                                        ; implicit-def: $vgpr3
	s_branch .LBB24_602
.LBB24_598:
	s_or_saveexec_b32 s21, s21
	v_mov_b32_e32 v3, 0x7e00
	s_xor_b32 exec_lo, exec_lo, s21
	s_cbranch_execz .LBB24_579
.LBB24_599:
	v_cmp_ne_u16_e32 vcc_lo, 0, v4
	v_mov_b32_e32 v3, v4
	s_andn2_b32 s1, s1, exec_lo
	s_and_b32 s22, vcc_lo, exec_lo
	s_or_b32 s1, s1, s22
	s_or_b32 exec_lo, exec_lo, s21
	s_and_saveexec_b32 s21, s1
	s_cbranch_execnz .LBB24_580
	s_branch .LBB24_581
.LBB24_600:
	s_mov_b32 s20, -1
                                        ; implicit-def: $vgpr3
.LBB24_601:
	s_mov_b32 s21, 0
.LBB24_602:
	s_and_b32 vcc_lo, exec_lo, s21
	s_cbranch_vccz .LBB24_606
; %bb.603:
	s_cmp_eq_u32 s0, 11
	s_cbranch_scc0 .LBB24_605
; %bb.604:
	global_load_ubyte v3, v[0:1], off
	s_mov_b32 s20, 0
	s_mov_b32 s1, -1
	s_waitcnt vmcnt(0)
	v_cmp_ne_u16_e32 vcc_lo, 0, v3
	v_cndmask_b32_e64 v3, 0, 0x3c00, vcc_lo
	s_branch .LBB24_606
.LBB24_605:
	s_mov_b32 s20, -1
                                        ; implicit-def: $vgpr3
.LBB24_606:
	s_mov_b32 s21, 0
.LBB24_607:
	s_and_b32 vcc_lo, exec_lo, s21
	s_cbranch_vccz .LBB24_656
; %bb.608:
	s_cmp_lt_i32 s0, 5
	s_cbranch_scc1 .LBB24_613
; %bb.609:
	s_cmp_lt_i32 s0, 8
	s_cbranch_scc1 .LBB24_614
	;; [unrolled: 3-line block ×3, first 2 shown]
; %bb.611:
	s_cmp_gt_i32 s0, 9
	s_cbranch_scc0 .LBB24_616
; %bb.612:
	global_load_dwordx2 v[3:4], v[0:1], off
	s_mov_b32 s1, 0
	s_waitcnt vmcnt(0)
	v_and_or_b32 v3, 0x1ff, v4, v3
	v_lshrrev_b32_e32 v5, 8, v4
	v_bfe_u32 v6, v4, 20, 11
	v_lshrrev_b32_e32 v4, 16, v4
	v_cmp_ne_u32_e32 vcc_lo, 0, v3
	v_sub_nc_u32_e32 v7, 0x3f1, v6
	v_add_nc_u32_e32 v6, 0xfffffc10, v6
	v_cndmask_b32_e64 v3, 0, 1, vcc_lo
	v_and_or_b32 v3, 0xffe, v5, v3
	v_med3_i32 v5, v7, 0, 13
	v_or_b32_e32 v7, 0x1000, v3
	v_lshrrev_b32_e32 v8, v5, v7
	v_lshlrev_b32_e32 v5, v5, v8
	v_cmp_ne_u32_e32 vcc_lo, v5, v7
	v_lshl_or_b32 v7, v6, 12, v3
	v_cndmask_b32_e64 v5, 0, 1, vcc_lo
	v_cmp_gt_i32_e32 vcc_lo, 1, v6
	v_or_b32_e32 v5, v8, v5
	v_cndmask_b32_e32 v5, v7, v5, vcc_lo
	v_and_b32_e32 v7, 7, v5
	v_lshrrev_b32_e32 v5, 2, v5
	v_cmp_lt_i32_e32 vcc_lo, 5, v7
	v_cndmask_b32_e64 v8, 0, 1, vcc_lo
	v_cmp_eq_u32_e32 vcc_lo, 3, v7
	v_cndmask_b32_e64 v7, 0, 1, vcc_lo
	v_cmp_ne_u32_e32 vcc_lo, 0, v3
	v_or_b32_e32 v7, v7, v8
	v_mov_b32_e32 v8, 0x7e00
	v_add_nc_u32_e32 v5, v5, v7
	v_cndmask_b32_e32 v3, 0x7c00, v8, vcc_lo
	v_cmp_gt_i32_e32 vcc_lo, 31, v6
	v_cndmask_b32_e32 v5, 0x7c00, v5, vcc_lo
	v_cmp_eq_u32_e32 vcc_lo, 0x40f, v6
	v_cndmask_b32_e32 v3, v5, v3, vcc_lo
	v_and_or_b32 v3, 0x8000, v4, v3
	s_branch .LBB24_617
.LBB24_613:
	s_mov_b32 s1, -1
                                        ; implicit-def: $vgpr3
	s_branch .LBB24_635
.LBB24_614:
	s_mov_b32 s1, -1
                                        ; implicit-def: $vgpr3
	s_branch .LBB24_623
.LBB24_615:
	s_mov_b32 s1, -1
                                        ; implicit-def: $vgpr3
	s_branch .LBB24_620
.LBB24_616:
	s_mov_b32 s1, -1
                                        ; implicit-def: $vgpr3
.LBB24_617:
	s_andn2_b32 vcc_lo, exec_lo, s1
	s_cbranch_vccnz .LBB24_619
; %bb.618:
	global_load_dword v3, v[0:1], off
	s_waitcnt vmcnt(0)
	v_cvt_f16_f32_e32 v3, v3
.LBB24_619:
	s_mov_b32 s1, 0
.LBB24_620:
	s_andn2_b32 vcc_lo, exec_lo, s1
	s_cbranch_vccnz .LBB24_622
; %bb.621:
	global_load_dword v3, v[0:1], off
.LBB24_622:
	s_mov_b32 s1, 0
.LBB24_623:
	s_andn2_b32 vcc_lo, exec_lo, s1
	s_cbranch_vccnz .LBB24_634
; %bb.624:
	s_cmp_lt_i32 s0, 6
	s_cbranch_scc1 .LBB24_627
; %bb.625:
	s_cmp_gt_i32 s0, 6
	s_cbranch_scc0 .LBB24_628
; %bb.626:
	global_load_dwordx2 v[3:4], v[0:1], off
	s_mov_b32 s1, 0
	s_waitcnt vmcnt(0)
	v_and_or_b32 v3, 0x1ff, v4, v3
	v_lshrrev_b32_e32 v5, 8, v4
	v_bfe_u32 v6, v4, 20, 11
	v_lshrrev_b32_e32 v4, 16, v4
	v_cmp_ne_u32_e32 vcc_lo, 0, v3
	v_sub_nc_u32_e32 v7, 0x3f1, v6
	v_add_nc_u32_e32 v6, 0xfffffc10, v6
	v_cndmask_b32_e64 v3, 0, 1, vcc_lo
	v_and_or_b32 v3, 0xffe, v5, v3
	v_med3_i32 v5, v7, 0, 13
	v_or_b32_e32 v7, 0x1000, v3
	v_lshrrev_b32_e32 v8, v5, v7
	v_lshlrev_b32_e32 v5, v5, v8
	v_cmp_ne_u32_e32 vcc_lo, v5, v7
	v_lshl_or_b32 v7, v6, 12, v3
	v_cndmask_b32_e64 v5, 0, 1, vcc_lo
	v_cmp_gt_i32_e32 vcc_lo, 1, v6
	v_or_b32_e32 v5, v8, v5
	v_cndmask_b32_e32 v5, v7, v5, vcc_lo
	v_and_b32_e32 v7, 7, v5
	v_lshrrev_b32_e32 v5, 2, v5
	v_cmp_lt_i32_e32 vcc_lo, 5, v7
	v_cndmask_b32_e64 v8, 0, 1, vcc_lo
	v_cmp_eq_u32_e32 vcc_lo, 3, v7
	v_cndmask_b32_e64 v7, 0, 1, vcc_lo
	v_cmp_ne_u32_e32 vcc_lo, 0, v3
	v_or_b32_e32 v7, v7, v8
	v_mov_b32_e32 v8, 0x7e00
	v_add_nc_u32_e32 v5, v5, v7
	v_cndmask_b32_e32 v3, 0x7c00, v8, vcc_lo
	v_cmp_gt_i32_e32 vcc_lo, 31, v6
	v_cndmask_b32_e32 v5, 0x7c00, v5, vcc_lo
	v_cmp_eq_u32_e32 vcc_lo, 0x40f, v6
	v_cndmask_b32_e32 v3, v5, v3, vcc_lo
	v_and_or_b32 v3, 0x8000, v4, v3
	s_branch .LBB24_629
.LBB24_627:
	s_mov_b32 s1, -1
                                        ; implicit-def: $vgpr3
	s_branch .LBB24_632
.LBB24_628:
	s_mov_b32 s1, -1
                                        ; implicit-def: $vgpr3
.LBB24_629:
	s_andn2_b32 vcc_lo, exec_lo, s1
	s_cbranch_vccnz .LBB24_631
; %bb.630:
	global_load_dword v3, v[0:1], off
	s_waitcnt vmcnt(0)
	v_cvt_f16_f32_e32 v3, v3
.LBB24_631:
	s_mov_b32 s1, 0
.LBB24_632:
	s_andn2_b32 vcc_lo, exec_lo, s1
	s_cbranch_vccnz .LBB24_634
; %bb.633:
	global_load_ushort v3, v[0:1], off
.LBB24_634:
	s_mov_b32 s1, 0
.LBB24_635:
	s_andn2_b32 vcc_lo, exec_lo, s1
	s_cbranch_vccnz .LBB24_655
; %bb.636:
	s_cmp_lt_i32 s0, 2
	s_cbranch_scc1 .LBB24_640
; %bb.637:
	s_cmp_lt_i32 s0, 3
	s_cbranch_scc1 .LBB24_641
; %bb.638:
	s_cmp_gt_i32 s0, 3
	s_cbranch_scc0 .LBB24_642
; %bb.639:
	global_load_dwordx2 v[3:4], v[0:1], off
	s_mov_b32 s1, 0
	s_waitcnt vmcnt(0)
	v_xor_b32_e32 v5, v3, v4
	v_ffbh_i32_e32 v6, v4
	v_ashrrev_i32_e32 v5, 31, v5
	v_add_nc_u32_e32 v6, -1, v6
	v_add_nc_u32_e32 v5, 32, v5
	v_min_u32_e32 v5, v6, v5
	v_lshlrev_b64 v[3:4], v5, v[3:4]
	v_min_u32_e32 v3, 1, v3
	v_or_b32_e32 v3, v4, v3
	v_sub_nc_u32_e32 v4, 32, v5
	v_cvt_f32_i32_e32 v3, v3
	v_ldexp_f32 v3, v3, v4
	v_cvt_f16_f32_e32 v3, v3
	s_branch .LBB24_643
.LBB24_640:
	s_mov_b32 s1, -1
                                        ; implicit-def: $vgpr3
	s_branch .LBB24_649
.LBB24_641:
	s_mov_b32 s1, -1
                                        ; implicit-def: $vgpr3
	s_branch .LBB24_646
.LBB24_642:
	s_mov_b32 s1, -1
                                        ; implicit-def: $vgpr3
.LBB24_643:
	s_andn2_b32 vcc_lo, exec_lo, s1
	s_cbranch_vccnz .LBB24_645
; %bb.644:
	global_load_dword v3, v[0:1], off
	s_waitcnt vmcnt(0)
	v_cvt_f32_i32_e32 v3, v3
	v_cvt_f16_f32_e32 v3, v3
.LBB24_645:
	s_mov_b32 s1, 0
.LBB24_646:
	s_andn2_b32 vcc_lo, exec_lo, s1
	s_cbranch_vccnz .LBB24_648
; %bb.647:
	global_load_ushort v3, v[0:1], off
	s_waitcnt vmcnt(0)
	v_cvt_f16_i16_e32 v3, v3
.LBB24_648:
	s_mov_b32 s1, 0
.LBB24_649:
	s_andn2_b32 vcc_lo, exec_lo, s1
	s_cbranch_vccnz .LBB24_655
; %bb.650:
	s_cmp_gt_i32 s0, 0
	s_mov_b32 s0, 0
	s_cbranch_scc0 .LBB24_652
; %bb.651:
	global_load_sbyte v3, v[0:1], off
	s_waitcnt vmcnt(0)
	v_cvt_f16_i16_e32 v3, v3
	s_branch .LBB24_653
.LBB24_652:
	s_mov_b32 s0, -1
                                        ; implicit-def: $vgpr3
.LBB24_653:
	s_andn2_b32 vcc_lo, exec_lo, s0
	s_cbranch_vccnz .LBB24_655
; %bb.654:
	global_load_ubyte v0, v[0:1], off
	s_waitcnt vmcnt(0)
	v_cvt_f16_u16_e32 v3, v0
.LBB24_655:
	s_mov_b32 s1, -1
.LBB24_656:
	s_andn2_b32 vcc_lo, exec_lo, s1
	s_cbranch_vccnz .LBB24_668
; %bb.657:
	s_waitcnt vmcnt(0)
	v_cvt_f32_f16_e32 v0, v3
                                        ; implicit-def: $vgpr4
                                        ; implicit-def: $vgpr3
	s_mov_b32 s1, exec_lo
	v_and_b32_e32 v1, 0x7fffffff, v0
	v_cmpx_ngt_f32_e64 0x48000000, |v0|
	s_xor_b32 s21, exec_lo, s1
	s_cbranch_execz .LBB24_659
; %bb.658:
	s_mov_b32 s0, 0x7fffff
	v_mov_b32_e32 v5, 0
	v_and_or_b32 v12, v1, s0, 0x800000
	v_lshrrev_b32_e32 v10, 23, v1
	v_mad_u64_u32 v[3:4], null, 0xfe5163ab, v12, 0
	v_add_nc_u32_e32 v11, 0xffffff88, v10
	v_cmp_lt_u32_e32 vcc_lo, 63, v11
	v_mad_u64_u32 v[6:7], null, 0x3c439041, v12, v[4:5]
	v_cndmask_b32_e64 v13, 0, 0xffffffc0, vcc_lo
	v_mov_b32_e32 v4, v7
	v_add_nc_u32_e32 v13, v13, v11
	v_mad_u64_u32 v[7:8], null, 0xdb629599, v12, v[4:5]
	v_cmp_lt_u32_e64 s0, 31, v13
	v_cndmask_b32_e64 v14, 0, 0xffffffe0, s0
	v_mov_b32_e32 v4, v8
	v_cndmask_b32_e32 v3, v7, v3, vcc_lo
	v_mad_u64_u32 v[8:9], null, 0xf534ddc0, v12, v[4:5]
	v_mov_b32_e32 v4, v9
	v_cndmask_b32_e32 v6, v8, v6, vcc_lo
	v_mad_u64_u32 v[9:10], null, 0xfc2757d1, v12, v[4:5]
	v_cndmask_b32_e64 v3, v6, v3, s0
	v_mov_b32_e32 v4, v10
	v_mad_u64_u32 v[10:11], null, 0x4e441529, v12, v[4:5]
	v_mov_b32_e32 v4, v11
	v_add_nc_u32_e32 v11, v14, v13
	v_cndmask_b32_e32 v13, v10, v8, vcc_lo
	v_mad_u64_u32 v[4:5], null, 0xa2f9836e, v12, v[4:5]
	v_cmp_lt_u32_e64 s1, 31, v11
	v_cndmask_b32_e64 v12, 0, 0xffffffe0, s1
	v_cndmask_b32_e32 v4, v4, v9, vcc_lo
	v_cndmask_b32_e32 v5, v5, v10, vcc_lo
	;; [unrolled: 1-line block ×3, first 2 shown]
	v_add_nc_u32_e32 v10, v12, v11
	v_cndmask_b32_e64 v8, v4, v13, s0
	v_cndmask_b32_e64 v4, v5, v4, s0
	;; [unrolled: 1-line block ×4, first 2 shown]
	v_sub_nc_u32_e32 v11, 32, v10
	v_cmp_eq_u32_e32 vcc_lo, 0, v10
	v_cndmask_b32_e64 v4, v4, v8, s1
	v_cndmask_b32_e64 v8, v8, v5, s1
	;; [unrolled: 1-line block ×4, first 2 shown]
	v_alignbit_b32 v12, v4, v8, v11
	v_alignbit_b32 v7, v8, v5, v11
	;; [unrolled: 1-line block ×3, first 2 shown]
	v_cndmask_b32_e32 v4, v12, v4, vcc_lo
	v_cndmask_b32_e32 v6, v7, v8, vcc_lo
	;; [unrolled: 1-line block ×3, first 2 shown]
	v_bfe_u32 v7, v4, 29, 1
	v_alignbit_b32 v8, v4, v6, 30
	v_alignbit_b32 v6, v6, v5, 30
	;; [unrolled: 1-line block ×3, first 2 shown]
	v_sub_nc_u32_e32 v9, 0, v7
	v_xor_b32_e32 v8, v8, v9
	v_xor_b32_e32 v5, v6, v9
	v_xor_b32_e32 v3, v3, v9
	v_lshrrev_b32_e32 v9, 29, v4
	v_lshrrev_b32_e32 v4, 30, v4
	v_ffbh_u32_e32 v10, v8
	v_add_nc_u32_e32 v4, v7, v4
	v_min_u32_e32 v10, 32, v10
	v_sub_nc_u32_e32 v6, 31, v10
	v_lshlrev_b32_e32 v11, 23, v10
	v_alignbit_b32 v8, v8, v5, v6
	v_alignbit_b32 v3, v5, v3, v6
	v_lshlrev_b32_e32 v5, 31, v9
	v_alignbit_b32 v6, v8, v3, 9
	v_or_b32_e32 v9, 0.5, v5
	v_lshrrev_b32_e32 v8, 9, v8
	v_or_b32_e32 v5, 0x33000000, v5
	v_ffbh_u32_e32 v12, v6
	v_sub_nc_u32_e32 v9, v9, v11
	v_min_u32_e32 v11, 32, v12
	v_or_b32_e32 v8, v8, v9
	v_not_b32_e32 v9, v11
	v_mul_f32_e32 v12, 0x3fc90fda, v8
	v_add_lshl_u32 v10, v11, v10, 23
	v_alignbit_b32 v3, v6, v3, v9
	v_fma_f32 v6, 0x3fc90fda, v8, -v12
	v_sub_nc_u32_e32 v5, v5, v10
	v_lshrrev_b32_e32 v3, 9, v3
	v_fmamk_f32 v6, v8, 0x33a22168, v6
	v_or_b32_e32 v3, v5, v3
	v_fmac_f32_e32 v6, 0x3fc90fda, v3
	v_add_f32_e32 v3, v12, v6
.LBB24_659:
	s_andn2_saveexec_b32 s0, s21
; %bb.660:
	v_mul_f32_e64 v3, 0x3f22f983, |v0|
	v_rndne_f32_e32 v4, v3
	v_fma_f32 v3, 0xbfc90fda, v4, |v0|
	v_fmamk_f32 v3, v4, 0xb3a22168, v3
	v_fmamk_f32 v3, v4, 0xa7c234c4, v3
	v_cvt_i32_f32_e32 v4, v4
; %bb.661:
	s_or_b32 exec_lo, exec_lo, s0
	v_mul_f32_e32 v5, v3, v3
	s_mov_b32 s0, 0xb94c1982
	s_mov_b32 s1, 0x37d75334
	v_and_b32_e32 v8, 1, v4
	v_lshlrev_b32_e32 v4, 30, v4
	v_fmaak_f32 v6, s0, v5, 0x3c0881c4
	v_fmaak_f32 v7, s1, v5, 0xbab64f3b
	v_xor_b32_e32 v1, v1, v0
	v_cmp_eq_u32_e32 vcc_lo, 0, v8
	v_and_b32_e32 v4, 0x80000000, v4
	v_fmaak_f32 v6, v5, v6, 0xbe2aaa9d
	v_fmaak_f32 v7, v5, v7, 0x3d2aabf7
	s_and_b32 s1, s4, 0xff
	s_mov_b32 s22, 0
	s_mov_b32 s21, -1
	v_mul_f32_e32 v6, v5, v6
	v_fmaak_f32 v7, v5, v7, 0xbf000004
	s_cmp_lt_i32 s1, 11
	s_mov_b32 s0, s17
	v_fmac_f32_e32 v3, v3, v6
	v_fma_f32 v5, v5, v7, 1.0
	v_cndmask_b32_e32 v3, v5, v3, vcc_lo
	v_mul_lo_u32 v5, v2, s2
	v_cmp_class_f32_e64 vcc_lo, v0, 0x1f8
	v_xor3_b32 v1, v1, v4, v3
	v_ashrrev_i32_e32 v3, 31, v5
	v_cndmask_b32_e32 v4, 0x7fc00000, v1, vcc_lo
	v_add_co_u32 v0, vcc_lo, s8, v5
	v_add_co_ci_u32_e64 v1, null, s9, v3, vcc_lo
	v_cvt_f16_f32_e32 v3, v4
	s_cbranch_scc1 .LBB24_669
; %bb.662:
	s_and_b32 s21, 0xffff, s1
	s_cmp_gt_i32 s21, 25
	s_cbranch_scc0 .LBB24_710
; %bb.663:
	s_cmp_gt_i32 s21, 28
	s_cbranch_scc0 .LBB24_711
; %bb.664:
	;; [unrolled: 3-line block ×4, first 2 shown]
	s_mov_b32 s23, 0
	s_mov_b32 s0, -1
	s_cmp_eq_u32 s21, 46
	s_cbranch_scc0 .LBB24_714
; %bb.667:
	v_cvt_f32_f16_e32 v4, v3
	v_cmp_o_f16_e32 vcc_lo, v3, v3
	s_mov_b32 s22, -1
	s_mov_b32 s0, 0
	v_bfe_u32 v5, v4, 16, 1
	v_add3_u32 v4, v4, v5, 0x7fff
	v_mov_b32_e32 v5, 0x7fc0
	v_cndmask_b32_sdwa v4, v5, v4, vcc_lo dst_sel:DWORD dst_unused:UNUSED_PAD src0_sel:DWORD src1_sel:WORD_1
	global_store_dword v[0:1], v4, off
	s_branch .LBB24_714
.LBB24_668:
	s_mov_b32 s21, 0
	s_mov_b32 s0, s17
	s_branch .LBB24_709
.LBB24_669:
	s_and_b32 vcc_lo, exec_lo, s21
	s_cbranch_vccz .LBB24_783
; %bb.670:
	s_and_b32 s1, 0xffff, s1
	s_mov_b32 s21, -1
	s_cmp_lt_i32 s1, 5
	s_cbranch_scc1 .LBB24_691
; %bb.671:
	s_cmp_lt_i32 s1, 8
	s_cbranch_scc1 .LBB24_681
; %bb.672:
	;; [unrolled: 3-line block ×3, first 2 shown]
	s_cmp_gt_i32 s1, 9
	s_cbranch_scc0 .LBB24_675
; %bb.674:
	v_cvt_f32_f16_e32 v4, v3
	v_mov_b32_e32 v6, 0
	s_mov_b32 s21, 0
	v_cvt_f64_f32_e32 v[4:5], v4
	v_mov_b32_e32 v7, v6
	global_store_dwordx4 v[0:1], v[4:7], off
.LBB24_675:
	s_andn2_b32 vcc_lo, exec_lo, s21
	s_cbranch_vccnz .LBB24_677
; %bb.676:
	v_cvt_f32_f16_e32 v4, v3
	v_mov_b32_e32 v5, 0
	global_store_dwordx2 v[0:1], v[4:5], off
.LBB24_677:
	s_mov_b32 s21, 0
.LBB24_678:
	s_andn2_b32 vcc_lo, exec_lo, s21
	s_cbranch_vccnz .LBB24_680
; %bb.679:
	v_and_b32_e32 v4, 0xffff, v3
	global_store_dword v[0:1], v4, off
.LBB24_680:
	s_mov_b32 s21, 0
.LBB24_681:
	s_andn2_b32 vcc_lo, exec_lo, s21
	s_cbranch_vccnz .LBB24_690
; %bb.682:
	s_cmp_lt_i32 s1, 6
	s_mov_b32 s21, -1
	s_cbranch_scc1 .LBB24_688
; %bb.683:
	s_cmp_gt_i32 s1, 6
	s_cbranch_scc0 .LBB24_685
; %bb.684:
	v_cvt_f32_f16_e32 v4, v3
	s_mov_b32 s21, 0
	v_cvt_f64_f32_e32 v[4:5], v4
	global_store_dwordx2 v[0:1], v[4:5], off
.LBB24_685:
	s_andn2_b32 vcc_lo, exec_lo, s21
	s_cbranch_vccnz .LBB24_687
; %bb.686:
	v_cvt_f32_f16_e32 v4, v3
	global_store_dword v[0:1], v4, off
.LBB24_687:
	s_mov_b32 s21, 0
.LBB24_688:
	s_andn2_b32 vcc_lo, exec_lo, s21
	s_cbranch_vccnz .LBB24_690
; %bb.689:
	global_store_short v[0:1], v3, off
.LBB24_690:
	s_mov_b32 s21, 0
.LBB24_691:
	s_andn2_b32 vcc_lo, exec_lo, s21
	s_cbranch_vccnz .LBB24_707
; %bb.692:
	s_cmp_lt_i32 s1, 2
	s_mov_b32 s21, -1
	s_cbranch_scc1 .LBB24_702
; %bb.693:
	s_cmp_lt_i32 s1, 3
	s_cbranch_scc1 .LBB24_699
; %bb.694:
	s_cmp_gt_i32 s1, 3
	s_cbranch_scc0 .LBB24_696
; %bb.695:
	v_cvt_f32_f16_e32 v4, v3
	s_mov_b32 s21, 0
	v_cvt_i32_f32_e32 v4, v4
	v_ashrrev_i32_e32 v5, 31, v4
	global_store_dwordx2 v[0:1], v[4:5], off
.LBB24_696:
	s_andn2_b32 vcc_lo, exec_lo, s21
	s_cbranch_vccnz .LBB24_698
; %bb.697:
	v_cvt_f32_f16_e32 v4, v3
	v_cvt_i32_f32_e32 v4, v4
	global_store_dword v[0:1], v4, off
.LBB24_698:
	s_mov_b32 s21, 0
.LBB24_699:
	s_andn2_b32 vcc_lo, exec_lo, s21
	s_cbranch_vccnz .LBB24_701
; %bb.700:
	v_cvt_i16_f16_e32 v4, v3
	global_store_short v[0:1], v4, off
.LBB24_701:
	s_mov_b32 s21, 0
.LBB24_702:
	s_andn2_b32 vcc_lo, exec_lo, s21
	s_cbranch_vccnz .LBB24_707
; %bb.703:
	s_cmp_gt_i32 s1, 0
	s_mov_b32 s1, -1
	s_cbranch_scc0 .LBB24_705
; %bb.704:
	v_cvt_i16_f16_e32 v4, v3
	s_mov_b32 s1, 0
	global_store_byte v[0:1], v4, off
.LBB24_705:
	s_andn2_b32 vcc_lo, exec_lo, s1
	s_cbranch_vccnz .LBB24_707
; %bb.706:
	v_cvt_f32_f16_e32 v3, v3
	v_cvt_i32_f32_e32 v3, v3
	global_store_byte v[0:1], v3, off
.LBB24_707:
	s_branch .LBB24_784
.LBB24_708:
	s_mov_b32 s21, 0
.LBB24_709:
                                        ; implicit-def: $vgpr2
	s_branch .LBB24_785
.LBB24_710:
	s_mov_b32 s23, -1
	s_mov_b32 s0, s17
	s_branch .LBB24_741
.LBB24_711:
	s_mov_b32 s23, -1
	s_mov_b32 s0, s17
	s_branch .LBB24_724
.LBB24_712:
	s_mov_b32 s23, -1
	s_mov_b32 s0, s17
	s_branch .LBB24_720
.LBB24_713:
	s_mov_b32 s23, -1
	s_mov_b32 s0, s17
.LBB24_714:
	s_and_b32 vcc_lo, exec_lo, s23
	s_cbranch_vccz .LBB24_719
; %bb.715:
	s_cmp_eq_u32 s21, 44
	s_mov_b32 s0, -1
	s_cbranch_scc0 .LBB24_719
; %bb.716:
	v_cvt_f32_f16_e32 v4, v3
	v_mov_b32_e32 v5, 0xff
	s_mov_b32 s22, exec_lo
	v_bfe_u32 v6, v4, 23, 8
	v_cmpx_ne_u32_e32 0xff, v6
	s_cbranch_execz .LBB24_718
; %bb.717:
	v_and_b32_e32 v5, 0x400000, v4
	v_and_or_b32 v6, 0x3fffff, v4, v6
	v_lshrrev_b32_e32 v4, 23, v4
	v_cmp_ne_u32_e32 vcc_lo, 0, v5
	v_cmp_ne_u32_e64 s0, 0, v6
	s_and_b32 s0, vcc_lo, s0
	v_cndmask_b32_e64 v5, 0, 1, s0
	v_add_nc_u32_e32 v5, v4, v5
.LBB24_718:
	s_or_b32 exec_lo, exec_lo, s22
	s_mov_b32 s22, -1
	s_mov_b32 s0, 0
	global_store_byte v[0:1], v5, off
.LBB24_719:
	s_mov_b32 s23, 0
.LBB24_720:
	s_and_b32 vcc_lo, exec_lo, s23
	s_cbranch_vccz .LBB24_723
; %bb.721:
	s_cmp_eq_u32 s21, 29
	s_mov_b32 s0, -1
	s_cbranch_scc0 .LBB24_723
; %bb.722:
	v_cvt_f32_f16_e32 v4, v3
	v_mov_b32_e32 v5, 0
	s_mov_b32 s22, -1
	s_mov_b32 s0, 0
	s_mov_b32 s23, 0
	v_cvt_u32_f32_e32 v4, v4
	global_store_dwordx2 v[0:1], v[4:5], off
	s_branch .LBB24_724
.LBB24_723:
	s_mov_b32 s23, 0
.LBB24_724:
	s_and_b32 vcc_lo, exec_lo, s23
	s_cbranch_vccz .LBB24_740
; %bb.725:
	s_cmp_lt_i32 s21, 27
	s_mov_b32 s22, -1
	s_cbranch_scc1 .LBB24_731
; %bb.726:
	s_cmp_gt_i32 s21, 27
	s_cbranch_scc0 .LBB24_728
; %bb.727:
	v_cvt_f32_f16_e32 v4, v3
	s_mov_b32 s22, 0
	v_cvt_u32_f32_e32 v4, v4
	global_store_dword v[0:1], v4, off
.LBB24_728:
	s_andn2_b32 vcc_lo, exec_lo, s22
	s_cbranch_vccnz .LBB24_730
; %bb.729:
	v_cvt_u16_f16_e32 v4, v3
	global_store_short v[0:1], v4, off
.LBB24_730:
	s_mov_b32 s22, 0
.LBB24_731:
	s_andn2_b32 vcc_lo, exec_lo, s22
	s_cbranch_vccnz .LBB24_739
; %bb.732:
	v_cvt_f32_f16_e32 v4, v3
	v_mov_b32_e32 v6, 0x80
	s_mov_b32 s22, exec_lo
	v_and_b32_e32 v5, 0x7fffffff, v4
	v_cmpx_gt_u32_e32 0x43800000, v5
	s_cbranch_execz .LBB24_738
; %bb.733:
	v_cmp_lt_u32_e32 vcc_lo, 0x3bffffff, v5
	s_mov_b32 s23, 0
                                        ; implicit-def: $vgpr5
	s_and_saveexec_b32 s24, vcc_lo
	s_xor_b32 s24, exec_lo, s24
	s_cbranch_execz .LBB24_799
; %bb.734:
	v_bfe_u32 v5, v4, 20, 1
	s_mov_b32 s23, exec_lo
	v_add3_u32 v5, v4, v5, 0x487ffff
	v_lshrrev_b32_e32 v5, 20, v5
	s_andn2_saveexec_b32 s24, s24
	s_cbranch_execnz .LBB24_800
.LBB24_735:
	s_or_b32 exec_lo, exec_lo, s24
	v_mov_b32_e32 v6, 0
	s_and_saveexec_b32 s24, s23
.LBB24_736:
	v_lshrrev_b32_e32 v4, 24, v4
	v_and_or_b32 v6, 0x80, v4, v5
.LBB24_737:
	s_or_b32 exec_lo, exec_lo, s24
.LBB24_738:
	s_or_b32 exec_lo, exec_lo, s22
	global_store_byte v[0:1], v6, off
.LBB24_739:
	s_mov_b32 s22, -1
.LBB24_740:
	s_mov_b32 s23, 0
.LBB24_741:
	s_and_b32 vcc_lo, exec_lo, s23
	s_cbranch_vccz .LBB24_782
; %bb.742:
	s_cmp_gt_i32 s21, 22
	s_mov_b32 s23, -1
	s_cbranch_scc0 .LBB24_774
; %bb.743:
	s_cmp_lt_i32 s21, 24
	s_mov_b32 s22, -1
	s_cbranch_scc1 .LBB24_763
; %bb.744:
	s_cmp_gt_i32 s21, 24
	s_cbranch_scc0 .LBB24_752
; %bb.745:
	v_cvt_f32_f16_e32 v4, v3
	v_mov_b32_e32 v6, 0x80
	s_mov_b32 s22, exec_lo
	v_and_b32_e32 v5, 0x7fffffff, v4
	v_cmpx_gt_u32_e32 0x47800000, v5
	s_cbranch_execz .LBB24_751
; %bb.746:
	v_cmp_lt_u32_e32 vcc_lo, 0x37ffffff, v5
	s_mov_b32 s23, 0
                                        ; implicit-def: $vgpr5
	s_and_saveexec_b32 s24, vcc_lo
	s_xor_b32 s24, exec_lo, s24
	s_cbranch_execz .LBB24_802
; %bb.747:
	v_bfe_u32 v5, v4, 21, 1
	s_mov_b32 s23, exec_lo
	v_add3_u32 v5, v4, v5, 0x88fffff
	v_lshrrev_b32_e32 v5, 21, v5
	s_andn2_saveexec_b32 s24, s24
	s_cbranch_execnz .LBB24_803
.LBB24_748:
	s_or_b32 exec_lo, exec_lo, s24
	v_mov_b32_e32 v6, 0
	s_and_saveexec_b32 s24, s23
.LBB24_749:
	v_lshrrev_b32_e32 v4, 24, v4
	v_and_or_b32 v6, 0x80, v4, v5
.LBB24_750:
	s_or_b32 exec_lo, exec_lo, s24
.LBB24_751:
	s_or_b32 exec_lo, exec_lo, s22
	s_mov_b32 s22, 0
	global_store_byte v[0:1], v6, off
.LBB24_752:
	s_and_b32 vcc_lo, exec_lo, s22
	s_cbranch_vccz .LBB24_762
; %bb.753:
	v_cvt_f32_f16_e32 v4, v3
	s_mov_b32 s22, exec_lo
                                        ; implicit-def: $vgpr5
	v_and_b32_e32 v6, 0x7fffffff, v4
	v_cmpx_gt_u32_e32 0x43f00000, v6
	s_xor_b32 s22, exec_lo, s22
	s_cbranch_execz .LBB24_759
; %bb.754:
	s_mov_b32 s23, exec_lo
                                        ; implicit-def: $vgpr5
	v_cmpx_lt_u32_e32 0x3c7fffff, v6
	s_xor_b32 s23, exec_lo, s23
; %bb.755:
	v_bfe_u32 v5, v4, 20, 1
	v_add3_u32 v5, v4, v5, 0x407ffff
	v_and_b32_e32 v6, 0xff00000, v5
	v_lshrrev_b32_e32 v5, 20, v5
	v_cmp_ne_u32_e32 vcc_lo, 0x7f00000, v6
	v_cndmask_b32_e32 v5, 0x7e, v5, vcc_lo
; %bb.756:
	s_andn2_saveexec_b32 s23, s23
; %bb.757:
	v_add_f32_e64 v5, 0x46800000, |v4|
; %bb.758:
	s_or_b32 exec_lo, exec_lo, s23
                                        ; implicit-def: $vgpr6
.LBB24_759:
	s_andn2_saveexec_b32 s22, s22
; %bb.760:
	v_mov_b32_e32 v5, 0x7f
	v_cmp_lt_u32_e32 vcc_lo, 0x7f800000, v6
	v_cndmask_b32_e32 v5, 0x7e, v5, vcc_lo
; %bb.761:
	s_or_b32 exec_lo, exec_lo, s22
	v_lshrrev_b32_e32 v4, 24, v4
	v_and_or_b32 v4, 0x80, v4, v5
	global_store_byte v[0:1], v4, off
.LBB24_762:
	s_mov_b32 s22, 0
.LBB24_763:
	s_andn2_b32 vcc_lo, exec_lo, s22
	s_cbranch_vccnz .LBB24_773
; %bb.764:
	v_cvt_f32_f16_e32 v4, v3
	s_mov_b32 s22, exec_lo
                                        ; implicit-def: $vgpr5
	v_and_b32_e32 v6, 0x7fffffff, v4
	v_cmpx_gt_u32_e32 0x47800000, v6
	s_xor_b32 s22, exec_lo, s22
	s_cbranch_execz .LBB24_770
; %bb.765:
	s_mov_b32 s23, exec_lo
                                        ; implicit-def: $vgpr5
	v_cmpx_lt_u32_e32 0x387fffff, v6
	s_xor_b32 s23, exec_lo, s23
; %bb.766:
	v_bfe_u32 v5, v4, 21, 1
	v_add3_u32 v5, v4, v5, 0x80fffff
	v_lshrrev_b32_e32 v5, 21, v5
; %bb.767:
	s_andn2_saveexec_b32 s23, s23
; %bb.768:
	v_add_f32_e64 v5, 0x43000000, |v4|
; %bb.769:
	s_or_b32 exec_lo, exec_lo, s23
                                        ; implicit-def: $vgpr6
.LBB24_770:
	s_andn2_saveexec_b32 s22, s22
; %bb.771:
	v_mov_b32_e32 v5, 0x7f
	v_cmp_lt_u32_e32 vcc_lo, 0x7f800000, v6
	v_cndmask_b32_e32 v5, 0x7c, v5, vcc_lo
; %bb.772:
	s_or_b32 exec_lo, exec_lo, s22
	v_lshrrev_b32_e32 v4, 24, v4
	v_and_or_b32 v4, 0x80, v4, v5
	global_store_byte v[0:1], v4, off
.LBB24_773:
	s_mov_b32 s23, 0
	s_mov_b32 s22, -1
.LBB24_774:
	s_andn2_b32 vcc_lo, exec_lo, s23
	s_cbranch_vccnz .LBB24_782
; %bb.775:
	s_cmp_gt_i32 s21, 14
	s_mov_b32 s23, -1
	s_cbranch_scc0 .LBB24_779
; %bb.776:
	s_cmp_eq_u32 s21, 15
	s_mov_b32 s0, -1
	s_cbranch_scc0 .LBB24_778
; %bb.777:
	v_cvt_f32_f16_e32 v4, v3
	v_cmp_o_f16_e32 vcc_lo, v3, v3
	s_mov_b32 s22, -1
	s_mov_b32 s0, 0
	v_bfe_u32 v5, v4, 16, 1
	v_add3_u32 v4, v4, v5, 0x7fff
	v_mov_b32_e32 v5, 0x7fc0
	v_cndmask_b32_sdwa v4, v5, v4, vcc_lo dst_sel:DWORD dst_unused:UNUSED_PAD src0_sel:DWORD src1_sel:WORD_1
	global_store_short v[0:1], v4, off
.LBB24_778:
	s_mov_b32 s23, 0
.LBB24_779:
	s_and_b32 vcc_lo, exec_lo, s23
	s_cbranch_vccz .LBB24_782
; %bb.780:
	s_cmp_eq_u32 s21, 11
	s_mov_b32 s0, -1
	s_cbranch_scc0 .LBB24_782
; %bb.781:
	v_cmp_neq_f16_e32 vcc_lo, 0, v3
	s_mov_b32 s0, 0
	s_mov_b32 s22, -1
	v_cndmask_b32_e64 v4, 0, 1, vcc_lo
	global_store_byte v[0:1], v4, off
.LBB24_782:
.LBB24_783:
	s_andn2_b32 vcc_lo, exec_lo, s22
	s_cbranch_vccnz .LBB24_708
.LBB24_784:
	v_add_nc_u32_e32 v2, 0x80, v2
	s_mov_b32 s21, -1
.LBB24_785:
	s_andn2_b32 s1, s17, exec_lo
	s_and_b32 s0, s0, exec_lo
	s_andn2_b32 s22, s16, exec_lo
	s_and_b32 s20, s20, exec_lo
	s_or_b32 s1, s1, s0
	s_or_b32 s0, s22, s20
	s_orn2_b32 s20, s21, exec_lo
.LBB24_786:
	s_or_b32 exec_lo, exec_lo, s19
	s_mov_b32 s21, 0
	s_mov_b32 s22, 0
	;; [unrolled: 1-line block ×3, first 2 shown]
                                        ; implicit-def: $vgpr0_vgpr1
                                        ; implicit-def: $vgpr4
	s_and_saveexec_b32 s19, s20
	s_cbranch_execz .LBB24_871
; %bb.787:
	v_cmp_gt_i32_e32 vcc_lo, s13, v2
	s_mov_b32 s20, 0
	s_mov_b32 s21, s0
	;; [unrolled: 1-line block ×3, first 2 shown]
                                        ; implicit-def: $vgpr0_vgpr1
                                        ; implicit-def: $vgpr4
	s_and_saveexec_b32 s13, vcc_lo
	s_cbranch_execz .LBB24_870
; %bb.788:
	v_mul_lo_u32 v0, v2, s3
	s_and_b32 s20, 0xffff, s6
	s_cmp_lt_i32 s20, 11
	v_ashrrev_i32_e32 v1, 31, v0
	v_add_co_u32 v0, vcc_lo, s10, v0
	v_add_co_ci_u32_e64 v1, null, s11, v1, vcc_lo
	s_cbranch_scc1 .LBB24_795
; %bb.789:
	s_cmp_gt_i32 s20, 25
	s_cbranch_scc0 .LBB24_796
; %bb.790:
	s_cmp_gt_i32 s20, 28
	s_cbranch_scc0 .LBB24_797
	;; [unrolled: 3-line block ×4, first 2 shown]
; %bb.793:
	s_cmp_eq_u32 s20, 46
	s_cbranch_scc0 .LBB24_804
; %bb.794:
	global_load_dword v3, v[0:1], off
	s_mov_b32 s21, 0
	s_mov_b32 s23, -1
	s_waitcnt vmcnt(0)
	v_lshlrev_b32_e32 v3, 16, v3
	v_cvt_f16_f32_e32 v4, v3
	s_branch .LBB24_806
.LBB24_795:
	s_mov_b32 s20, -1
	s_mov_b32 s21, s0
                                        ; implicit-def: $vgpr4
	s_branch .LBB24_869
.LBB24_796:
	s_mov_b32 s24, -1
	s_mov_b32 s21, s0
                                        ; implicit-def: $vgpr4
	s_branch .LBB24_835
.LBB24_797:
	s_mov_b32 s24, -1
	s_mov_b32 s21, s0
                                        ; implicit-def: $vgpr4
	s_branch .LBB24_816
.LBB24_798:
	s_mov_b32 s24, -1
	s_mov_b32 s21, s0
                                        ; implicit-def: $vgpr4
	s_branch .LBB24_811
.LBB24_799:
	s_andn2_saveexec_b32 s24, s24
	s_cbranch_execz .LBB24_735
.LBB24_800:
	v_add_f32_e64 v5, 0x46000000, |v4|
	s_andn2_b32 s23, s23, exec_lo
	v_and_b32_e32 v5, 0xff, v5
	v_cmp_ne_u32_e32 vcc_lo, 0, v5
	s_and_b32 s25, vcc_lo, exec_lo
	s_or_b32 s23, s23, s25
	s_or_b32 exec_lo, exec_lo, s24
	v_mov_b32_e32 v6, 0
	s_and_saveexec_b32 s24, s23
	s_cbranch_execnz .LBB24_736
	s_branch .LBB24_737
.LBB24_801:
	s_mov_b32 s24, -1
	s_mov_b32 s21, s0
	s_branch .LBB24_805
.LBB24_802:
	s_andn2_saveexec_b32 s24, s24
	s_cbranch_execz .LBB24_748
.LBB24_803:
	v_add_f32_e64 v5, 0x42800000, |v4|
	s_andn2_b32 s23, s23, exec_lo
	v_and_b32_e32 v5, 0xff, v5
	v_cmp_ne_u32_e32 vcc_lo, 0, v5
	s_and_b32 s25, vcc_lo, exec_lo
	s_or_b32 s23, s23, s25
	s_or_b32 exec_lo, exec_lo, s24
	v_mov_b32_e32 v6, 0
	s_and_saveexec_b32 s24, s23
	s_cbranch_execnz .LBB24_749
	s_branch .LBB24_750
.LBB24_804:
	s_mov_b32 s21, -1
.LBB24_805:
                                        ; implicit-def: $vgpr4
.LBB24_806:
	s_and_b32 vcc_lo, exec_lo, s24
	s_cbranch_vccz .LBB24_810
; %bb.807:
	s_cmp_eq_u32 s20, 44
	s_cbranch_scc0 .LBB24_809
; %bb.808:
	global_load_ubyte v3, v[0:1], off
	s_mov_b32 s21, 0
	s_mov_b32 s23, -1
	s_waitcnt vmcnt(0)
	v_lshlrev_b32_e32 v4, 23, v3
	v_cmp_ne_u32_e32 vcc_lo, 0xff, v3
	v_cvt_f16_f32_e32 v4, v4
	v_cndmask_b32_e32 v4, 0x7e00, v4, vcc_lo
	v_cmp_ne_u32_e32 vcc_lo, 0, v3
	v_cndmask_b32_e32 v4, 0, v4, vcc_lo
	s_branch .LBB24_810
.LBB24_809:
	s_mov_b32 s21, -1
                                        ; implicit-def: $vgpr4
.LBB24_810:
	s_mov_b32 s24, 0
.LBB24_811:
	s_and_b32 vcc_lo, exec_lo, s24
	s_cbranch_vccz .LBB24_815
; %bb.812:
	s_cmp_eq_u32 s20, 29
	s_cbranch_scc0 .LBB24_814
; %bb.813:
	global_load_dwordx2 v[3:4], v[0:1], off
	s_mov_b32 s21, 0
	s_mov_b32 s23, -1
	s_mov_b32 s24, 0
	s_waitcnt vmcnt(0)
	v_ffbh_u32_e32 v5, v4
	v_min_u32_e32 v5, 32, v5
	v_lshlrev_b64 v[3:4], v5, v[3:4]
	v_min_u32_e32 v3, 1, v3
	v_or_b32_e32 v3, v4, v3
	v_sub_nc_u32_e32 v4, 32, v5
	v_cvt_f32_u32_e32 v3, v3
	v_ldexp_f32 v3, v3, v4
	v_cvt_f16_f32_e32 v4, v3
	s_branch .LBB24_816
.LBB24_814:
	s_mov_b32 s21, -1
                                        ; implicit-def: $vgpr4
.LBB24_815:
	s_mov_b32 s24, 0
.LBB24_816:
	s_and_b32 vcc_lo, exec_lo, s24
	s_cbranch_vccz .LBB24_834
; %bb.817:
	s_cmp_lt_i32 s20, 27
	s_cbranch_scc1 .LBB24_820
; %bb.818:
	s_cmp_gt_i32 s20, 27
	s_cbranch_scc0 .LBB24_821
; %bb.819:
	global_load_dword v3, v[0:1], off
	s_mov_b32 s23, 0
	s_waitcnt vmcnt(0)
	v_cvt_f32_u32_e32 v3, v3
	v_cvt_f16_f32_e32 v4, v3
	s_branch .LBB24_822
.LBB24_820:
	s_mov_b32 s23, -1
                                        ; implicit-def: $vgpr4
	s_branch .LBB24_825
.LBB24_821:
	s_mov_b32 s23, -1
                                        ; implicit-def: $vgpr4
.LBB24_822:
	s_andn2_b32 vcc_lo, exec_lo, s23
	s_cbranch_vccnz .LBB24_824
; %bb.823:
	global_load_ushort v3, v[0:1], off
	s_waitcnt vmcnt(0)
	v_cvt_f16_u16_e32 v4, v3
.LBB24_824:
	s_mov_b32 s23, 0
.LBB24_825:
	s_andn2_b32 vcc_lo, exec_lo, s23
	s_cbranch_vccnz .LBB24_833
; %bb.826:
	global_load_ubyte v3, v[0:1], off
	s_mov_b32 s23, 0
	s_mov_b32 s24, exec_lo
	s_waitcnt vmcnt(0)
	v_cmpx_lt_i16_e32 0x7f, v3
	s_xor_b32 s24, exec_lo, s24
	s_cbranch_execz .LBB24_847
; %bb.827:
	s_mov_b32 s23, -1
	s_mov_b32 s25, exec_lo
	v_cmpx_eq_u16_e32 0x80, v3
; %bb.828:
	s_xor_b32 s23, exec_lo, -1
; %bb.829:
	s_or_b32 exec_lo, exec_lo, s25
	s_and_b32 s23, s23, exec_lo
	s_or_saveexec_b32 s24, s24
	v_mov_b32_e32 v4, 0x7e00
	s_xor_b32 exec_lo, exec_lo, s24
	s_cbranch_execnz .LBB24_848
.LBB24_830:
	s_or_b32 exec_lo, exec_lo, s24
	s_and_saveexec_b32 s24, s23
	s_cbranch_execz .LBB24_832
.LBB24_831:
	v_and_b32_e32 v4, 0xffff, v3
	v_lshlrev_b32_e32 v3, 24, v3
	v_and_b32_e32 v5, 7, v4
	v_bfe_u32 v8, v4, 3, 4
	v_and_b32_e32 v3, 0x80000000, v3
	v_ffbh_u32_e32 v6, v5
	v_cmp_eq_u32_e32 vcc_lo, 0, v8
	v_min_u32_e32 v6, 32, v6
	v_subrev_nc_u32_e32 v7, 28, v6
	v_sub_nc_u32_e32 v6, 29, v6
	v_lshlrev_b32_e32 v4, v7, v4
	v_cndmask_b32_e32 v6, v8, v6, vcc_lo
	v_and_b32_e32 v4, 7, v4
	v_cndmask_b32_e32 v4, v5, v4, vcc_lo
	v_lshl_add_u32 v5, v6, 23, 0x3b800000
	v_lshlrev_b32_e32 v4, 20, v4
	v_or3_b32 v3, v3, v5, v4
	v_cvt_f16_f32_e32 v4, v3
.LBB24_832:
	s_or_b32 exec_lo, exec_lo, s24
.LBB24_833:
	s_mov_b32 s23, -1
.LBB24_834:
	s_mov_b32 s24, 0
.LBB24_835:
	s_and_b32 vcc_lo, exec_lo, s24
	s_cbranch_vccz .LBB24_868
; %bb.836:
	s_cmp_gt_i32 s20, 22
	s_cbranch_scc0 .LBB24_846
; %bb.837:
	s_cmp_lt_i32 s20, 24
	s_cbranch_scc1 .LBB24_849
; %bb.838:
	s_cmp_gt_i32 s20, 24
	s_cbranch_scc0 .LBB24_850
; %bb.839:
	global_load_ubyte v3, v[0:1], off
	s_mov_b32 s23, exec_lo
	s_waitcnt vmcnt(0)
	v_cmpx_lt_i16_e32 0x7f, v3
	s_xor_b32 s23, exec_lo, s23
	s_cbranch_execz .LBB24_862
; %bb.840:
	s_mov_b32 s22, -1
	s_mov_b32 s24, exec_lo
	v_cmpx_eq_u16_e32 0x80, v3
; %bb.841:
	s_xor_b32 s22, exec_lo, -1
; %bb.842:
	s_or_b32 exec_lo, exec_lo, s24
	s_and_b32 s22, s22, exec_lo
	s_or_saveexec_b32 s23, s23
	v_mov_b32_e32 v4, 0x7e00
	s_xor_b32 exec_lo, exec_lo, s23
	s_cbranch_execnz .LBB24_863
.LBB24_843:
	s_or_b32 exec_lo, exec_lo, s23
	s_and_saveexec_b32 s23, s22
	s_cbranch_execz .LBB24_845
.LBB24_844:
	v_and_b32_e32 v4, 0xffff, v3
	v_lshlrev_b32_e32 v3, 24, v3
	v_and_b32_e32 v5, 3, v4
	v_bfe_u32 v8, v4, 2, 5
	v_and_b32_e32 v3, 0x80000000, v3
	v_ffbh_u32_e32 v6, v5
	v_cmp_eq_u32_e32 vcc_lo, 0, v8
	v_min_u32_e32 v6, 32, v6
	v_subrev_nc_u32_e32 v7, 29, v6
	v_sub_nc_u32_e32 v6, 30, v6
	v_lshlrev_b32_e32 v4, v7, v4
	v_cndmask_b32_e32 v6, v8, v6, vcc_lo
	v_and_b32_e32 v4, 3, v4
	v_cndmask_b32_e32 v4, v5, v4, vcc_lo
	v_lshl_add_u32 v5, v6, 23, 0x37800000
	v_lshlrev_b32_e32 v4, 21, v4
	v_or3_b32 v3, v3, v5, v4
	v_cvt_f16_f32_e32 v4, v3
.LBB24_845:
	s_or_b32 exec_lo, exec_lo, s23
	s_mov_b32 s22, 0
	s_branch .LBB24_851
.LBB24_846:
	s_mov_b32 s22, -1
                                        ; implicit-def: $vgpr4
	s_branch .LBB24_857
.LBB24_847:
	s_or_saveexec_b32 s24, s24
	v_mov_b32_e32 v4, 0x7e00
	s_xor_b32 exec_lo, exec_lo, s24
	s_cbranch_execz .LBB24_830
.LBB24_848:
	v_cmp_ne_u16_e32 vcc_lo, 0, v3
	v_mov_b32_e32 v4, v3
	s_andn2_b32 s23, s23, exec_lo
	s_and_b32 s25, vcc_lo, exec_lo
	s_or_b32 s23, s23, s25
	s_or_b32 exec_lo, exec_lo, s24
	s_and_saveexec_b32 s24, s23
	s_cbranch_execnz .LBB24_831
	s_branch .LBB24_832
.LBB24_849:
	s_mov_b32 s22, -1
                                        ; implicit-def: $vgpr4
	s_branch .LBB24_854
.LBB24_850:
	s_mov_b32 s22, -1
                                        ; implicit-def: $vgpr4
.LBB24_851:
	s_and_b32 vcc_lo, exec_lo, s22
	s_cbranch_vccz .LBB24_853
; %bb.852:
	global_load_ubyte v3, v[0:1], off
	s_waitcnt vmcnt(0)
	v_lshlrev_b32_e32 v3, 24, v3
	v_and_b32_e32 v4, 0x7f000000, v3
	v_ffbh_u32_e32 v5, v4
	v_add_nc_u32_e32 v7, 0x1000000, v4
	v_cmp_ne_u32_e32 vcc_lo, 0, v4
	v_min_u32_e32 v5, 32, v5
	v_sub_nc_u32_e64 v5, v5, 4 clamp
	v_lshlrev_b32_e32 v6, v5, v4
	v_lshlrev_b32_e32 v5, 23, v5
	v_lshrrev_b32_e32 v6, 4, v6
	v_sub_nc_u32_e32 v5, v6, v5
	v_ashrrev_i32_e32 v6, 8, v7
	v_add_nc_u32_e32 v5, 0x3c000000, v5
	v_and_or_b32 v5, 0x7f800000, v6, v5
	v_cndmask_b32_e32 v4, 0, v5, vcc_lo
	v_and_or_b32 v3, 0x80000000, v3, v4
	v_cvt_f16_f32_e32 v4, v3
.LBB24_853:
	s_mov_b32 s22, 0
.LBB24_854:
	s_andn2_b32 vcc_lo, exec_lo, s22
	s_cbranch_vccnz .LBB24_856
; %bb.855:
	global_load_ubyte v3, v[0:1], off
	s_waitcnt vmcnt(0)
	v_lshlrev_b32_e32 v4, 25, v3
	v_lshlrev_b16 v3, 8, v3
	v_lshrrev_b32_e32 v5, 4, v4
	v_and_or_b32 v6, 0x7f00, v3, 0.5
	v_cmp_gt_u32_e32 vcc_lo, 0x8000000, v4
	v_bfe_i32 v3, v3, 0, 16
	v_or_b32_e32 v5, 0x70000000, v5
	v_add_f32_e32 v6, -0.5, v6
	v_mul_f32_e32 v5, 0x7800000, v5
	v_cndmask_b32_e32 v4, v5, v6, vcc_lo
	v_and_or_b32 v3, 0x80000000, v3, v4
	v_cvt_f16_f32_e32 v4, v3
.LBB24_856:
	s_mov_b32 s22, 0
	s_mov_b32 s23, -1
.LBB24_857:
	s_andn2_b32 vcc_lo, exec_lo, s22
	s_mov_b32 s22, 0
	s_cbranch_vccnz .LBB24_868
; %bb.858:
	s_cmp_gt_i32 s20, 14
	s_cbranch_scc0 .LBB24_861
; %bb.859:
	s_cmp_eq_u32 s20, 15
	s_cbranch_scc0 .LBB24_864
; %bb.860:
	global_load_ushort v3, v[0:1], off
	s_mov_b32 s21, 0
	s_mov_b32 s23, -1
	s_waitcnt vmcnt(0)
	v_lshlrev_b32_e32 v3, 16, v3
	v_cvt_f16_f32_e32 v4, v3
	s_branch .LBB24_866
.LBB24_861:
	s_mov_b32 s22, -1
	s_branch .LBB24_865
.LBB24_862:
	s_or_saveexec_b32 s23, s23
	v_mov_b32_e32 v4, 0x7e00
	s_xor_b32 exec_lo, exec_lo, s23
	s_cbranch_execz .LBB24_843
.LBB24_863:
	v_cmp_ne_u16_e32 vcc_lo, 0, v3
	v_mov_b32_e32 v4, v3
	s_andn2_b32 s22, s22, exec_lo
	s_and_b32 s24, vcc_lo, exec_lo
	s_or_b32 s22, s22, s24
	s_or_b32 exec_lo, exec_lo, s23
	s_and_saveexec_b32 s23, s22
	s_cbranch_execnz .LBB24_844
	s_branch .LBB24_845
.LBB24_864:
	s_mov_b32 s21, -1
.LBB24_865:
                                        ; implicit-def: $vgpr4
.LBB24_866:
	s_and_b32 vcc_lo, exec_lo, s22
	s_mov_b32 s22, 0
	s_cbranch_vccz .LBB24_868
; %bb.867:
	s_cmp_lg_u32 s20, 11
	s_mov_b32 s22, -1
	s_cselect_b32 s20, -1, 0
	s_andn2_b32 s21, s21, exec_lo
	s_and_b32 s20, s20, exec_lo
	s_or_b32 s21, s21, s20
.LBB24_868:
	s_mov_b32 s20, 0
.LBB24_869:
	s_andn2_b32 s25, s0, exec_lo
	s_and_b32 s21, s21, exec_lo
	s_and_b32 s23, s23, exec_lo
	;; [unrolled: 1-line block ×4, first 2 shown]
	s_or_b32 s21, s25, s21
.LBB24_870:
	s_or_b32 exec_lo, exec_lo, s13
	s_andn2_b32 s0, s0, exec_lo
	s_and_b32 s13, s21, exec_lo
	s_and_b32 s23, s23, exec_lo
	;; [unrolled: 1-line block ×4, first 2 shown]
	s_or_b32 s0, s0, s13
.LBB24_871:
	s_or_b32 exec_lo, exec_lo, s19
	s_andn2_b32 s13, s17, exec_lo
	s_and_b32 s1, s1, exec_lo
	s_and_b32 s0, s0, exec_lo
	s_or_b32 s17, s13, s1
	s_andn2_b32 s13, s16, exec_lo
	s_and_b32 s20, s23, exec_lo
	s_and_b32 s19, s22, exec_lo
	;; [unrolled: 1-line block ×3, first 2 shown]
	s_or_b32 s16, s13, s0
.LBB24_872:
	s_or_b32 exec_lo, exec_lo, s18
	s_andn2_b32 s0, s12, exec_lo
	s_and_b32 s12, s17, exec_lo
	s_andn2_b32 s13, s14, exec_lo
	s_and_b32 s14, s16, exec_lo
	s_or_b32 s12, s0, s12
	s_and_b32 s0, s20, exec_lo
	s_and_b32 s17, s19, exec_lo
	;; [unrolled: 1-line block ×3, first 2 shown]
	s_or_b32 s14, s13, s14
	s_or_b32 exec_lo, exec_lo, s15
	s_mov_b32 s13, 0
	s_and_saveexec_b32 s1, s14
	s_cbranch_execz .LBB24_266
.LBB24_873:
	s_mov_b32 s13, exec_lo
	s_andn2_b32 s16, s16, exec_lo
	s_trap 2
	s_or_b32 exec_lo, exec_lo, s1
	s_and_saveexec_b32 s1, s16
	s_xor_b32 s1, exec_lo, s1
	s_cbranch_execnz .LBB24_267
.LBB24_874:
	s_or_b32 exec_lo, exec_lo, s1
	s_and_saveexec_b32 s1, s17
	s_cbranch_execz .LBB24_920
.LBB24_875:
	s_sext_i32_i16 s14, s6
	s_cmp_lt_i32 s14, 5
	s_cbranch_scc1 .LBB24_880
; %bb.876:
	s_cmp_lt_i32 s14, 8
	s_cbranch_scc1 .LBB24_881
; %bb.877:
	;; [unrolled: 3-line block ×3, first 2 shown]
	s_cmp_gt_i32 s14, 9
	s_cbranch_scc0 .LBB24_883
; %bb.879:
	global_load_dwordx2 v[3:4], v[0:1], off
	s_mov_b32 s14, 0
	s_waitcnt vmcnt(0)
	v_and_or_b32 v3, 0x1ff, v4, v3
	v_lshrrev_b32_e32 v5, 8, v4
	v_bfe_u32 v6, v4, 20, 11
	v_lshrrev_b32_e32 v4, 16, v4
	v_cmp_ne_u32_e32 vcc_lo, 0, v3
	v_sub_nc_u32_e32 v7, 0x3f1, v6
	v_add_nc_u32_e32 v6, 0xfffffc10, v6
	v_cndmask_b32_e64 v3, 0, 1, vcc_lo
	v_and_or_b32 v3, 0xffe, v5, v3
	v_med3_i32 v5, v7, 0, 13
	v_or_b32_e32 v7, 0x1000, v3
	v_lshrrev_b32_e32 v8, v5, v7
	v_lshlrev_b32_e32 v5, v5, v8
	v_cmp_ne_u32_e32 vcc_lo, v5, v7
	v_lshl_or_b32 v7, v6, 12, v3
	v_cndmask_b32_e64 v5, 0, 1, vcc_lo
	v_cmp_gt_i32_e32 vcc_lo, 1, v6
	v_or_b32_e32 v5, v8, v5
	v_cndmask_b32_e32 v5, v7, v5, vcc_lo
	v_and_b32_e32 v7, 7, v5
	v_lshrrev_b32_e32 v5, 2, v5
	v_cmp_lt_i32_e32 vcc_lo, 5, v7
	v_cndmask_b32_e64 v8, 0, 1, vcc_lo
	v_cmp_eq_u32_e32 vcc_lo, 3, v7
	v_cndmask_b32_e64 v7, 0, 1, vcc_lo
	v_cmp_ne_u32_e32 vcc_lo, 0, v3
	v_or_b32_e32 v7, v7, v8
	v_mov_b32_e32 v8, 0x7e00
	v_add_nc_u32_e32 v5, v5, v7
	v_cndmask_b32_e32 v3, 0x7c00, v8, vcc_lo
	v_cmp_gt_i32_e32 vcc_lo, 31, v6
	v_cndmask_b32_e32 v5, 0x7c00, v5, vcc_lo
	v_cmp_eq_u32_e32 vcc_lo, 0x40f, v6
	v_cndmask_b32_e32 v3, v5, v3, vcc_lo
	v_and_or_b32 v4, 0x8000, v4, v3
	s_branch .LBB24_884
.LBB24_880:
                                        ; implicit-def: $vgpr4
	s_branch .LBB24_901
.LBB24_881:
                                        ; implicit-def: $vgpr4
	s_branch .LBB24_890
.LBB24_882:
	s_mov_b32 s14, -1
                                        ; implicit-def: $vgpr4
	s_branch .LBB24_887
.LBB24_883:
	s_mov_b32 s14, -1
                                        ; implicit-def: $vgpr4
.LBB24_884:
	s_andn2_b32 vcc_lo, exec_lo, s14
	s_cbranch_vccnz .LBB24_886
; %bb.885:
	global_load_dword v3, v[0:1], off
	s_waitcnt vmcnt(0)
	v_cvt_f16_f32_e32 v4, v3
.LBB24_886:
	s_mov_b32 s14, 0
.LBB24_887:
	s_andn2_b32 vcc_lo, exec_lo, s14
	s_cbranch_vccnz .LBB24_889
; %bb.888:
	global_load_dword v4, v[0:1], off
.LBB24_889:
	s_cbranch_execnz .LBB24_900
.LBB24_890:
	s_sext_i32_i16 s14, s6
	s_cmp_lt_i32 s14, 6
	s_cbranch_scc1 .LBB24_893
; %bb.891:
	s_cmp_gt_i32 s14, 6
	s_cbranch_scc0 .LBB24_894
; %bb.892:
	global_load_dwordx2 v[3:4], v[0:1], off
	s_mov_b32 s14, 0
	s_waitcnt vmcnt(0)
	v_and_or_b32 v3, 0x1ff, v4, v3
	v_lshrrev_b32_e32 v5, 8, v4
	v_bfe_u32 v6, v4, 20, 11
	v_lshrrev_b32_e32 v4, 16, v4
	v_cmp_ne_u32_e32 vcc_lo, 0, v3
	v_sub_nc_u32_e32 v7, 0x3f1, v6
	v_add_nc_u32_e32 v6, 0xfffffc10, v6
	v_cndmask_b32_e64 v3, 0, 1, vcc_lo
	v_and_or_b32 v3, 0xffe, v5, v3
	v_med3_i32 v5, v7, 0, 13
	v_or_b32_e32 v7, 0x1000, v3
	v_lshrrev_b32_e32 v8, v5, v7
	v_lshlrev_b32_e32 v5, v5, v8
	v_cmp_ne_u32_e32 vcc_lo, v5, v7
	v_lshl_or_b32 v7, v6, 12, v3
	v_cndmask_b32_e64 v5, 0, 1, vcc_lo
	v_cmp_gt_i32_e32 vcc_lo, 1, v6
	v_or_b32_e32 v5, v8, v5
	v_cndmask_b32_e32 v5, v7, v5, vcc_lo
	v_and_b32_e32 v7, 7, v5
	v_lshrrev_b32_e32 v5, 2, v5
	v_cmp_lt_i32_e32 vcc_lo, 5, v7
	v_cndmask_b32_e64 v8, 0, 1, vcc_lo
	v_cmp_eq_u32_e32 vcc_lo, 3, v7
	v_cndmask_b32_e64 v7, 0, 1, vcc_lo
	v_cmp_ne_u32_e32 vcc_lo, 0, v3
	v_or_b32_e32 v7, v7, v8
	v_mov_b32_e32 v8, 0x7e00
	v_add_nc_u32_e32 v5, v5, v7
	v_cndmask_b32_e32 v3, 0x7c00, v8, vcc_lo
	v_cmp_gt_i32_e32 vcc_lo, 31, v6
	v_cndmask_b32_e32 v5, 0x7c00, v5, vcc_lo
	v_cmp_eq_u32_e32 vcc_lo, 0x40f, v6
	v_cndmask_b32_e32 v3, v5, v3, vcc_lo
	v_and_or_b32 v4, 0x8000, v4, v3
	s_branch .LBB24_895
.LBB24_893:
	s_mov_b32 s14, -1
                                        ; implicit-def: $vgpr4
	s_branch .LBB24_898
.LBB24_894:
	s_mov_b32 s14, -1
                                        ; implicit-def: $vgpr4
.LBB24_895:
	s_andn2_b32 vcc_lo, exec_lo, s14
	s_cbranch_vccnz .LBB24_897
; %bb.896:
	global_load_dword v3, v[0:1], off
	s_waitcnt vmcnt(0)
	v_cvt_f16_f32_e32 v4, v3
.LBB24_897:
	s_mov_b32 s14, 0
.LBB24_898:
	s_andn2_b32 vcc_lo, exec_lo, s14
	s_cbranch_vccnz .LBB24_900
; %bb.899:
	global_load_ushort v4, v[0:1], off
.LBB24_900:
	s_cbranch_execnz .LBB24_919
.LBB24_901:
	s_sext_i32_i16 s14, s6
	s_cmp_lt_i32 s14, 2
	s_cbranch_scc1 .LBB24_905
; %bb.902:
	s_cmp_lt_i32 s14, 3
	s_cbranch_scc1 .LBB24_906
; %bb.903:
	s_cmp_gt_i32 s14, 3
	s_cbranch_scc0 .LBB24_907
; %bb.904:
	global_load_dwordx2 v[3:4], v[0:1], off
	s_mov_b32 s14, 0
	s_waitcnt vmcnt(0)
	v_xor_b32_e32 v5, v3, v4
	v_ffbh_i32_e32 v6, v4
	v_ashrrev_i32_e32 v5, 31, v5
	v_add_nc_u32_e32 v6, -1, v6
	v_add_nc_u32_e32 v5, 32, v5
	v_min_u32_e32 v5, v6, v5
	v_lshlrev_b64 v[3:4], v5, v[3:4]
	v_min_u32_e32 v3, 1, v3
	v_or_b32_e32 v3, v4, v3
	v_sub_nc_u32_e32 v4, 32, v5
	v_cvt_f32_i32_e32 v3, v3
	v_ldexp_f32 v3, v3, v4
	v_cvt_f16_f32_e32 v4, v3
	s_branch .LBB24_908
.LBB24_905:
                                        ; implicit-def: $vgpr4
	s_branch .LBB24_914
.LBB24_906:
	s_mov_b32 s14, -1
                                        ; implicit-def: $vgpr4
	s_branch .LBB24_911
.LBB24_907:
	s_mov_b32 s14, -1
                                        ; implicit-def: $vgpr4
.LBB24_908:
	s_andn2_b32 vcc_lo, exec_lo, s14
	s_cbranch_vccnz .LBB24_910
; %bb.909:
	global_load_dword v3, v[0:1], off
	s_waitcnt vmcnt(0)
	v_cvt_f32_i32_e32 v3, v3
	v_cvt_f16_f32_e32 v4, v3
.LBB24_910:
	s_mov_b32 s14, 0
.LBB24_911:
	s_andn2_b32 vcc_lo, exec_lo, s14
	s_cbranch_vccnz .LBB24_913
; %bb.912:
	global_load_ushort v3, v[0:1], off
	s_waitcnt vmcnt(0)
	v_cvt_f16_i16_e32 v4, v3
.LBB24_913:
	s_cbranch_execnz .LBB24_919
.LBB24_914:
	s_sext_i32_i16 s14, s6
	s_cmp_gt_i32 s14, 0
	s_mov_b32 s14, 0
	s_cbranch_scc0 .LBB24_916
; %bb.915:
	global_load_sbyte v3, v[0:1], off
	s_waitcnt vmcnt(0)
	v_cvt_f16_i16_e32 v4, v3
	s_branch .LBB24_917
.LBB24_916:
	s_mov_b32 s14, -1
                                        ; implicit-def: $vgpr4
.LBB24_917:
	s_andn2_b32 vcc_lo, exec_lo, s14
	s_cbranch_vccnz .LBB24_919
; %bb.918:
	global_load_ubyte v0, v[0:1], off
	s_waitcnt vmcnt(0)
	v_cvt_f16_u16_e32 v4, v0
.LBB24_919:
	s_or_b32 s0, s0, exec_lo
.LBB24_920:
	s_or_b32 exec_lo, exec_lo, s1
	s_mov_b32 s16, 0
	s_mov_b32 s15, 0
                                        ; implicit-def: $sgpr1
                                        ; implicit-def: $vgpr0_vgpr1
                                        ; implicit-def: $vgpr3
	s_and_saveexec_b32 s14, s0
	s_cbranch_execz .LBB24_999
; %bb.921:
	s_waitcnt vmcnt(0)
	v_cvt_f32_f16_e32 v0, v4
                                        ; implicit-def: $vgpr4
                                        ; implicit-def: $vgpr3
	s_mov_b32 s1, exec_lo
	v_and_b32_e32 v1, 0x7fffffff, v0
	v_cmpx_ngt_f32_e64 0x48000000, |v0|
	s_xor_b32 s15, exec_lo, s1
	s_cbranch_execz .LBB24_923
; %bb.922:
	s_mov_b32 s0, 0x7fffff
	v_mov_b32_e32 v5, 0
	v_and_or_b32 v12, v1, s0, 0x800000
	v_lshrrev_b32_e32 v10, 23, v1
	v_mad_u64_u32 v[3:4], null, 0xfe5163ab, v12, 0
	v_add_nc_u32_e32 v11, 0xffffff88, v10
	v_cmp_lt_u32_e32 vcc_lo, 63, v11
	v_mad_u64_u32 v[6:7], null, 0x3c439041, v12, v[4:5]
	v_cndmask_b32_e64 v13, 0, 0xffffffc0, vcc_lo
	v_mov_b32_e32 v4, v7
	v_add_nc_u32_e32 v13, v13, v11
	v_mad_u64_u32 v[7:8], null, 0xdb629599, v12, v[4:5]
	v_cmp_lt_u32_e64 s0, 31, v13
	v_cndmask_b32_e64 v14, 0, 0xffffffe0, s0
	v_mov_b32_e32 v4, v8
	v_cndmask_b32_e32 v3, v7, v3, vcc_lo
	v_mad_u64_u32 v[8:9], null, 0xf534ddc0, v12, v[4:5]
	v_mov_b32_e32 v4, v9
	v_cndmask_b32_e32 v6, v8, v6, vcc_lo
	v_mad_u64_u32 v[9:10], null, 0xfc2757d1, v12, v[4:5]
	v_cndmask_b32_e64 v3, v6, v3, s0
	v_mov_b32_e32 v4, v10
	v_mad_u64_u32 v[10:11], null, 0x4e441529, v12, v[4:5]
	v_mov_b32_e32 v4, v11
	v_add_nc_u32_e32 v11, v14, v13
	v_cndmask_b32_e32 v13, v10, v8, vcc_lo
	v_mad_u64_u32 v[4:5], null, 0xa2f9836e, v12, v[4:5]
	v_cmp_lt_u32_e64 s1, 31, v11
	v_cndmask_b32_e64 v12, 0, 0xffffffe0, s1
	v_cndmask_b32_e32 v4, v4, v9, vcc_lo
	v_cndmask_b32_e32 v5, v5, v10, vcc_lo
	;; [unrolled: 1-line block ×3, first 2 shown]
	v_add_nc_u32_e32 v10, v12, v11
	v_cndmask_b32_e64 v8, v4, v13, s0
	v_cndmask_b32_e64 v4, v5, v4, s0
	;; [unrolled: 1-line block ×4, first 2 shown]
	v_sub_nc_u32_e32 v11, 32, v10
	v_cmp_eq_u32_e32 vcc_lo, 0, v10
	v_cndmask_b32_e64 v4, v4, v8, s1
	v_cndmask_b32_e64 v8, v8, v5, s1
	;; [unrolled: 1-line block ×4, first 2 shown]
	v_alignbit_b32 v12, v4, v8, v11
	v_alignbit_b32 v7, v8, v5, v11
	;; [unrolled: 1-line block ×3, first 2 shown]
	v_cndmask_b32_e32 v4, v12, v4, vcc_lo
	v_cndmask_b32_e32 v6, v7, v8, vcc_lo
	;; [unrolled: 1-line block ×3, first 2 shown]
	v_bfe_u32 v7, v4, 29, 1
	v_alignbit_b32 v8, v4, v6, 30
	v_alignbit_b32 v6, v6, v5, 30
	;; [unrolled: 1-line block ×3, first 2 shown]
	v_sub_nc_u32_e32 v9, 0, v7
	v_xor_b32_e32 v8, v8, v9
	v_xor_b32_e32 v5, v6, v9
	;; [unrolled: 1-line block ×3, first 2 shown]
	v_lshrrev_b32_e32 v9, 29, v4
	v_lshrrev_b32_e32 v4, 30, v4
	v_ffbh_u32_e32 v10, v8
	v_add_nc_u32_e32 v4, v7, v4
	v_min_u32_e32 v10, 32, v10
	v_sub_nc_u32_e32 v6, 31, v10
	v_lshlrev_b32_e32 v11, 23, v10
	v_alignbit_b32 v8, v8, v5, v6
	v_alignbit_b32 v3, v5, v3, v6
	v_lshlrev_b32_e32 v5, 31, v9
	v_alignbit_b32 v6, v8, v3, 9
	v_or_b32_e32 v9, 0.5, v5
	v_lshrrev_b32_e32 v8, 9, v8
	v_or_b32_e32 v5, 0x33000000, v5
	v_ffbh_u32_e32 v12, v6
	v_sub_nc_u32_e32 v9, v9, v11
	v_min_u32_e32 v11, 32, v12
	v_or_b32_e32 v8, v8, v9
	v_not_b32_e32 v9, v11
	v_mul_f32_e32 v12, 0x3fc90fda, v8
	v_add_lshl_u32 v10, v11, v10, 23
	v_alignbit_b32 v3, v6, v3, v9
	v_fma_f32 v6, 0x3fc90fda, v8, -v12
	v_sub_nc_u32_e32 v5, v5, v10
	v_lshrrev_b32_e32 v3, 9, v3
	v_fmamk_f32 v6, v8, 0x33a22168, v6
	v_or_b32_e32 v3, v5, v3
	v_fmac_f32_e32 v6, 0x3fc90fda, v3
	v_add_f32_e32 v3, v12, v6
.LBB24_923:
	s_andn2_saveexec_b32 s0, s15
; %bb.924:
	v_mul_f32_e64 v3, 0x3f22f983, |v0|
	v_rndne_f32_e32 v4, v3
	v_fma_f32 v3, 0xbfc90fda, v4, |v0|
	v_fmamk_f32 v3, v4, 0xb3a22168, v3
	v_fmamk_f32 v3, v4, 0xa7c234c4, v3
	v_cvt_i32_f32_e32 v4, v4
; %bb.925:
	s_or_b32 exec_lo, exec_lo, s0
	v_mul_f32_e32 v5, v3, v3
	s_mov_b32 s0, 0xb94c1982
	s_mov_b32 s1, 0x37d75334
	v_and_b32_e32 v8, 1, v4
	v_lshlrev_b32_e32 v4, 30, v4
	v_fmaak_f32 v6, s0, v5, 0x3c0881c4
	v_fmaak_f32 v7, s1, v5, 0xbab64f3b
	v_xor_b32_e32 v1, v1, v0
	v_cmp_eq_u32_e32 vcc_lo, 0, v8
	v_and_b32_e32 v4, 0x80000000, v4
	v_fmaak_f32 v6, v5, v6, 0xbe2aaa9d
	v_fmaak_f32 v7, v5, v7, 0x3d2aabf7
	v_mul_lo_u32 v2, v2, s2
	s_and_b32 s1, s4, 0xff
	s_mov_b32 s17, 0
	v_mul_f32_e32 v6, v5, v6
	v_fmaak_f32 v7, v5, v7, 0xbf000004
	s_mov_b32 s16, -1
	s_cmp_lt_i32 s1, 11
	s_mov_b32 s0, s12
	v_fmac_f32_e32 v3, v3, v6
	v_fma_f32 v5, v5, v7, 1.0
	v_cndmask_b32_e32 v3, v5, v3, vcc_lo
	v_cmp_class_f32_e64 vcc_lo, v0, 0x1f8
	v_xor3_b32 v1, v1, v4, v3
	v_ashrrev_i32_e32 v3, 31, v2
	v_cndmask_b32_e32 v4, 0x7fc00000, v1, vcc_lo
	v_add_co_u32 v0, vcc_lo, s8, v2
	v_add_co_ci_u32_e64 v1, null, s9, v3, vcc_lo
	v_cvt_f16_f32_e32 v3, v4
	s_cbranch_scc1 .LBB24_1003
; %bb.926:
	s_and_b32 s15, 0xffff, s1
	s_mov_b32 s0, s12
	s_cmp_gt_i32 s15, 25
	s_cbranch_scc0 .LBB24_959
; %bb.927:
	s_cmp_gt_i32 s15, 28
	s_mov_b32 s0, s12
	s_cbranch_scc0 .LBB24_943
; %bb.928:
	s_cmp_gt_i32 s15, 43
	s_mov_b32 s0, s12
	;; [unrolled: 4-line block ×3, first 2 shown]
	s_cbranch_scc0 .LBB24_933
; %bb.930:
	s_cmp_eq_u32 s15, 46
	s_mov_b32 s0, -1
	s_cbranch_scc0 .LBB24_932
; %bb.931:
	v_cvt_f32_f16_e32 v2, v3
	v_cmp_o_f16_e32 vcc_lo, v3, v3
	s_mov_b32 s0, 0
	v_bfe_u32 v4, v2, 16, 1
	v_add3_u32 v2, v2, v4, 0x7fff
	v_mov_b32_e32 v4, 0x7fc0
	v_cndmask_b32_sdwa v2, v4, v2, vcc_lo dst_sel:DWORD dst_unused:UNUSED_PAD src0_sel:DWORD src1_sel:WORD_1
	global_store_dword v[0:1], v2, off
.LBB24_932:
	s_mov_b32 s16, 0
.LBB24_933:
	s_and_b32 vcc_lo, exec_lo, s16
	s_cbranch_vccz .LBB24_938
; %bb.934:
	s_cmp_eq_u32 s15, 44
	s_mov_b32 s0, -1
	s_cbranch_scc0 .LBB24_938
; %bb.935:
	v_cvt_f32_f16_e32 v2, v3
	v_mov_b32_e32 v4, 0xff
	s_mov_b32 s16, exec_lo
	v_bfe_u32 v5, v2, 23, 8
	v_cmpx_ne_u32_e32 0xff, v5
	s_cbranch_execz .LBB24_937
; %bb.936:
	v_and_b32_e32 v4, 0x400000, v2
	v_and_or_b32 v5, 0x3fffff, v2, v5
	v_lshrrev_b32_e32 v2, 23, v2
	v_cmp_ne_u32_e32 vcc_lo, 0, v4
	v_cmp_ne_u32_e64 s0, 0, v5
	s_and_b32 s0, vcc_lo, s0
	v_cndmask_b32_e64 v4, 0, 1, s0
	v_add_nc_u32_e32 v4, v2, v4
.LBB24_937:
	s_or_b32 exec_lo, exec_lo, s16
	s_mov_b32 s0, 0
	global_store_byte v[0:1], v4, off
.LBB24_938:
	s_mov_b32 s16, 0
.LBB24_939:
	s_and_b32 vcc_lo, exec_lo, s16
	s_cbranch_vccz .LBB24_942
; %bb.940:
	s_cmp_eq_u32 s15, 29
	s_mov_b32 s0, -1
	s_cbranch_scc0 .LBB24_942
; %bb.941:
	v_cvt_f32_f16_e32 v2, v3
	v_mov_b32_e32 v5, 0
	s_mov_b32 s0, 0
	v_cvt_u32_f32_e32 v4, v2
	global_store_dwordx2 v[0:1], v[4:5], off
.LBB24_942:
	s_mov_b32 s16, 0
.LBB24_943:
	s_and_b32 vcc_lo, exec_lo, s16
	s_cbranch_vccz .LBB24_958
; %bb.944:
	s_cmp_lt_i32 s15, 27
	s_mov_b32 s16, -1
	s_cbranch_scc1 .LBB24_950
; %bb.945:
	s_cmp_gt_i32 s15, 27
	s_cbranch_scc0 .LBB24_947
; %bb.946:
	v_cvt_f32_f16_e32 v2, v3
	s_mov_b32 s16, 0
	v_cvt_u32_f32_e32 v2, v2
	global_store_dword v[0:1], v2, off
.LBB24_947:
	s_andn2_b32 vcc_lo, exec_lo, s16
	s_cbranch_vccnz .LBB24_949
; %bb.948:
	v_cvt_u16_f16_e32 v2, v3
	global_store_short v[0:1], v2, off
.LBB24_949:
	s_mov_b32 s16, 0
.LBB24_950:
	s_andn2_b32 vcc_lo, exec_lo, s16
	s_cbranch_vccnz .LBB24_958
; %bb.951:
	v_cvt_f32_f16_e32 v2, v3
	v_mov_b32_e32 v5, 0x80
	s_mov_b32 s16, exec_lo
	v_and_b32_e32 v4, 0x7fffffff, v2
	v_cmpx_gt_u32_e32 0x43800000, v4
	s_cbranch_execz .LBB24_957
; %bb.952:
	v_cmp_lt_u32_e32 vcc_lo, 0x3bffffff, v4
                                        ; implicit-def: $vgpr4
	s_and_saveexec_b32 s18, vcc_lo
	s_xor_b32 s18, exec_lo, s18
	s_cbranch_execz .LBB24_1058
; %bb.953:
	v_bfe_u32 v4, v2, 20, 1
	s_mov_b32 s17, exec_lo
	v_add3_u32 v4, v2, v4, 0x487ffff
	v_lshrrev_b32_e32 v4, 20, v4
	s_andn2_saveexec_b32 s18, s18
	s_cbranch_execnz .LBB24_1059
.LBB24_954:
	s_or_b32 exec_lo, exec_lo, s18
	v_mov_b32_e32 v5, 0
	s_and_saveexec_b32 s18, s17
.LBB24_955:
	v_lshrrev_b32_e32 v2, 24, v2
	v_and_or_b32 v5, 0x80, v2, v4
.LBB24_956:
	s_or_b32 exec_lo, exec_lo, s18
.LBB24_957:
	s_or_b32 exec_lo, exec_lo, s16
	global_store_byte v[0:1], v5, off
.LBB24_958:
	s_mov_b32 s16, 0
.LBB24_959:
	s_and_b32 vcc_lo, exec_lo, s16
	s_mov_b32 s16, 0
	s_cbranch_vccz .LBB24_1002
; %bb.960:
	s_cmp_gt_i32 s15, 22
	s_mov_b32 s17, -1
	s_cbranch_scc0 .LBB24_992
; %bb.961:
	s_cmp_lt_i32 s15, 24
	s_cbranch_scc1 .LBB24_981
; %bb.962:
	s_cmp_gt_i32 s15, 24
	s_cbranch_scc0 .LBB24_970
; %bb.963:
	v_cvt_f32_f16_e32 v2, v3
	v_mov_b32_e32 v5, 0x80
	s_mov_b32 s17, exec_lo
	v_and_b32_e32 v4, 0x7fffffff, v2
	v_cmpx_gt_u32_e32 0x47800000, v4
	s_cbranch_execz .LBB24_969
; %bb.964:
	v_cmp_lt_u32_e32 vcc_lo, 0x37ffffff, v4
	s_mov_b32 s18, 0
                                        ; implicit-def: $vgpr4
	s_and_saveexec_b32 s19, vcc_lo
	s_xor_b32 s19, exec_lo, s19
	s_cbranch_execz .LBB24_1188
; %bb.965:
	v_bfe_u32 v4, v2, 21, 1
	s_mov_b32 s18, exec_lo
	v_add3_u32 v4, v2, v4, 0x88fffff
	v_lshrrev_b32_e32 v4, 21, v4
	s_andn2_saveexec_b32 s19, s19
	s_cbranch_execnz .LBB24_1189
.LBB24_966:
	s_or_b32 exec_lo, exec_lo, s19
	v_mov_b32_e32 v5, 0
	s_and_saveexec_b32 s19, s18
.LBB24_967:
	v_lshrrev_b32_e32 v2, 24, v2
	v_and_or_b32 v5, 0x80, v2, v4
.LBB24_968:
	s_or_b32 exec_lo, exec_lo, s19
.LBB24_969:
	s_or_b32 exec_lo, exec_lo, s17
	s_mov_b32 s17, 0
	global_store_byte v[0:1], v5, off
.LBB24_970:
	s_and_b32 vcc_lo, exec_lo, s17
	s_cbranch_vccz .LBB24_980
; %bb.971:
	v_cvt_f32_f16_e32 v2, v3
	s_mov_b32 s17, exec_lo
                                        ; implicit-def: $vgpr4
	v_and_b32_e32 v5, 0x7fffffff, v2
	v_cmpx_gt_u32_e32 0x43f00000, v5
	s_xor_b32 s17, exec_lo, s17
	s_cbranch_execz .LBB24_977
; %bb.972:
	s_mov_b32 s18, exec_lo
                                        ; implicit-def: $vgpr4
	v_cmpx_lt_u32_e32 0x3c7fffff, v5
	s_xor_b32 s18, exec_lo, s18
; %bb.973:
	v_bfe_u32 v4, v2, 20, 1
	v_add3_u32 v4, v2, v4, 0x407ffff
	v_and_b32_e32 v5, 0xff00000, v4
	v_lshrrev_b32_e32 v4, 20, v4
	v_cmp_ne_u32_e32 vcc_lo, 0x7f00000, v5
	v_cndmask_b32_e32 v4, 0x7e, v4, vcc_lo
; %bb.974:
	s_andn2_saveexec_b32 s18, s18
; %bb.975:
	v_add_f32_e64 v4, 0x46800000, |v2|
; %bb.976:
	s_or_b32 exec_lo, exec_lo, s18
                                        ; implicit-def: $vgpr5
.LBB24_977:
	s_andn2_saveexec_b32 s17, s17
; %bb.978:
	v_mov_b32_e32 v4, 0x7f
	v_cmp_lt_u32_e32 vcc_lo, 0x7f800000, v5
	v_cndmask_b32_e32 v4, 0x7e, v4, vcc_lo
; %bb.979:
	s_or_b32 exec_lo, exec_lo, s17
	v_lshrrev_b32_e32 v2, 24, v2
	v_and_or_b32 v2, 0x80, v2, v4
	global_store_byte v[0:1], v2, off
.LBB24_980:
	s_mov_b32 s17, 0
.LBB24_981:
	s_andn2_b32 vcc_lo, exec_lo, s17
	s_cbranch_vccnz .LBB24_991
; %bb.982:
	v_cvt_f32_f16_e32 v2, v3
	s_mov_b32 s17, exec_lo
                                        ; implicit-def: $vgpr4
	v_and_b32_e32 v5, 0x7fffffff, v2
	v_cmpx_gt_u32_e32 0x47800000, v5
	s_xor_b32 s17, exec_lo, s17
	s_cbranch_execz .LBB24_988
; %bb.983:
	s_mov_b32 s18, exec_lo
                                        ; implicit-def: $vgpr4
	v_cmpx_lt_u32_e32 0x387fffff, v5
	s_xor_b32 s18, exec_lo, s18
; %bb.984:
	v_bfe_u32 v4, v2, 21, 1
	v_add3_u32 v4, v2, v4, 0x80fffff
	v_lshrrev_b32_e32 v4, 21, v4
; %bb.985:
	s_andn2_saveexec_b32 s18, s18
; %bb.986:
	v_add_f32_e64 v4, 0x43000000, |v2|
; %bb.987:
	s_or_b32 exec_lo, exec_lo, s18
                                        ; implicit-def: $vgpr5
.LBB24_988:
	s_andn2_saveexec_b32 s17, s17
; %bb.989:
	v_mov_b32_e32 v4, 0x7f
	v_cmp_lt_u32_e32 vcc_lo, 0x7f800000, v5
	v_cndmask_b32_e32 v4, 0x7c, v4, vcc_lo
; %bb.990:
	s_or_b32 exec_lo, exec_lo, s17
	v_lshrrev_b32_e32 v2, 24, v2
	v_and_or_b32 v2, 0x80, v2, v4
	global_store_byte v[0:1], v2, off
.LBB24_991:
	s_mov_b32 s17, 0
.LBB24_992:
	s_andn2_b32 vcc_lo, exec_lo, s17
	s_mov_b32 s17, 0
	s_cbranch_vccnz .LBB24_1003
; %bb.993:
	s_cmp_gt_i32 s15, 14
	s_mov_b32 s17, -1
	s_cbranch_scc0 .LBB24_997
; %bb.994:
	s_cmp_eq_u32 s15, 15
	s_mov_b32 s0, -1
	s_cbranch_scc0 .LBB24_996
; %bb.995:
	v_cvt_f32_f16_e32 v2, v3
	v_cmp_o_f16_e32 vcc_lo, v3, v3
	s_mov_b32 s0, 0
	v_bfe_u32 v4, v2, 16, 1
	v_add3_u32 v2, v2, v4, 0x7fff
	v_mov_b32_e32 v4, 0x7fc0
	v_cndmask_b32_sdwa v2, v4, v2, vcc_lo dst_sel:DWORD dst_unused:UNUSED_PAD src0_sel:DWORD src1_sel:WORD_1
	global_store_short v[0:1], v2, off
.LBB24_996:
	s_mov_b32 s17, 0
.LBB24_997:
	s_and_b32 vcc_lo, exec_lo, s17
	s_mov_b32 s17, 0
	s_cbranch_vccz .LBB24_1003
; %bb.998:
	s_cmp_lg_u32 s15, 11
	s_mov_b32 s17, -1
	s_cselect_b32 s15, -1, 0
	s_andn2_b32 s0, s0, exec_lo
	s_and_b32 s15, s15, exec_lo
	s_or_b32 s0, s0, s15
	s_branch .LBB24_1003
.LBB24_999:
	s_or_b32 exec_lo, exec_lo, s14
	s_and_saveexec_b32 s0, s12
	s_cbranch_execnz .LBB24_1004
.LBB24_1000:
	s_or_b32 exec_lo, exec_lo, s0
	s_and_saveexec_b32 s0, s16
	s_xor_b32 s0, exec_lo, s0
	s_cbranch_execz .LBB24_1005
.LBB24_1001:
	s_waitcnt vmcnt(0)
	v_cmp_neq_f16_e32 vcc_lo, 0, v3
	v_cndmask_b32_e64 v2, 0, 1, vcc_lo
	global_store_byte v[0:1], v2, off
	s_or_b32 exec_lo, exec_lo, s0
	s_and_saveexec_b32 s0, s15
	s_xor_b32 s0, exec_lo, s0
	s_cbranch_execz .LBB24_1043
	s_branch .LBB24_1006
.LBB24_1002:
	s_mov_b32 s17, 0
.LBB24_1003:
	s_andn2_b32 s12, s12, exec_lo
	s_and_b32 s0, s0, exec_lo
	s_and_b32 s15, s16, exec_lo
	;; [unrolled: 1-line block ×3, first 2 shown]
	s_or_b32 s12, s12, s0
	s_or_b32 exec_lo, exec_lo, s14
	s_and_saveexec_b32 s0, s12
	s_cbranch_execz .LBB24_1000
.LBB24_1004:
	s_or_b32 s13, s13, exec_lo
	s_andn2_b32 s16, s16, exec_lo
	s_trap 2
	s_or_b32 exec_lo, exec_lo, s0
	s_and_saveexec_b32 s0, s16
	s_xor_b32 s0, exec_lo, s0
	s_cbranch_execnz .LBB24_1001
.LBB24_1005:
	s_or_b32 exec_lo, exec_lo, s0
	s_and_saveexec_b32 s0, s15
	s_xor_b32 s0, exec_lo, s0
	s_cbranch_execz .LBB24_1043
.LBB24_1006:
	s_sext_i32_i16 s14, s1
	s_mov_b32 s12, -1
	s_cmp_lt_i32 s14, 5
	s_cbranch_scc1 .LBB24_1027
; %bb.1007:
	s_cmp_lt_i32 s14, 8
	s_cbranch_scc1 .LBB24_1017
; %bb.1008:
	;; [unrolled: 3-line block ×3, first 2 shown]
	s_cmp_gt_i32 s14, 9
	s_cbranch_scc0 .LBB24_1011
; %bb.1010:
	s_waitcnt vmcnt(0)
	v_cvt_f32_f16_e32 v2, v3
	v_mov_b32_e32 v6, 0
	s_mov_b32 s12, 0
	v_cvt_f64_f32_e32 v[4:5], v2
	v_mov_b32_e32 v7, v6
	global_store_dwordx4 v[0:1], v[4:7], off
.LBB24_1011:
	s_andn2_b32 vcc_lo, exec_lo, s12
	s_cbranch_vccnz .LBB24_1013
; %bb.1012:
	s_waitcnt vmcnt(0)
	v_cvt_f32_f16_e32 v4, v3
	v_mov_b32_e32 v5, 0
	global_store_dwordx2 v[0:1], v[4:5], off
.LBB24_1013:
	s_mov_b32 s12, 0
.LBB24_1014:
	s_andn2_b32 vcc_lo, exec_lo, s12
	s_cbranch_vccnz .LBB24_1016
; %bb.1015:
	s_waitcnt vmcnt(0)
	v_and_b32_e32 v2, 0xffff, v3
	global_store_dword v[0:1], v2, off
.LBB24_1016:
	s_mov_b32 s12, 0
.LBB24_1017:
	s_andn2_b32 vcc_lo, exec_lo, s12
	s_cbranch_vccnz .LBB24_1026
; %bb.1018:
	s_sext_i32_i16 s14, s1
	s_mov_b32 s12, -1
	s_cmp_lt_i32 s14, 6
	s_cbranch_scc1 .LBB24_1024
; %bb.1019:
	s_cmp_gt_i32 s14, 6
	s_cbranch_scc0 .LBB24_1021
; %bb.1020:
	s_waitcnt vmcnt(0)
	v_cvt_f32_f16_e32 v2, v3
	s_mov_b32 s12, 0
	v_cvt_f64_f32_e32 v[4:5], v2
	global_store_dwordx2 v[0:1], v[4:5], off
.LBB24_1021:
	s_andn2_b32 vcc_lo, exec_lo, s12
	s_cbranch_vccnz .LBB24_1023
; %bb.1022:
	s_waitcnt vmcnt(0)
	v_cvt_f32_f16_e32 v2, v3
	global_store_dword v[0:1], v2, off
.LBB24_1023:
	s_mov_b32 s12, 0
.LBB24_1024:
	s_andn2_b32 vcc_lo, exec_lo, s12
	s_cbranch_vccnz .LBB24_1026
; %bb.1025:
	s_waitcnt vmcnt(0)
	global_store_short v[0:1], v3, off
.LBB24_1026:
	s_mov_b32 s12, 0
.LBB24_1027:
	s_andn2_b32 vcc_lo, exec_lo, s12
	s_cbranch_vccnz .LBB24_1043
; %bb.1028:
	s_sext_i32_i16 s14, s1
	s_mov_b32 s12, -1
	s_cmp_lt_i32 s14, 2
	s_cbranch_scc1 .LBB24_1038
; %bb.1029:
	s_cmp_lt_i32 s14, 3
	s_cbranch_scc1 .LBB24_1035
; %bb.1030:
	s_cmp_gt_i32 s14, 3
	s_cbranch_scc0 .LBB24_1032
; %bb.1031:
	s_waitcnt vmcnt(0)
	v_cvt_f32_f16_e32 v2, v3
	s_mov_b32 s12, 0
	v_cvt_i32_f32_e32 v4, v2
	v_ashrrev_i32_e32 v5, 31, v4
	global_store_dwordx2 v[0:1], v[4:5], off
.LBB24_1032:
	s_andn2_b32 vcc_lo, exec_lo, s12
	s_cbranch_vccnz .LBB24_1034
; %bb.1033:
	s_waitcnt vmcnt(0)
	v_cvt_f32_f16_e32 v2, v3
	v_cvt_i32_f32_e32 v2, v2
	global_store_dword v[0:1], v2, off
.LBB24_1034:
	s_mov_b32 s12, 0
.LBB24_1035:
	s_andn2_b32 vcc_lo, exec_lo, s12
	s_cbranch_vccnz .LBB24_1037
; %bb.1036:
	s_waitcnt vmcnt(0)
	v_cvt_i16_f16_e32 v2, v3
	global_store_short v[0:1], v2, off
.LBB24_1037:
	s_mov_b32 s12, 0
.LBB24_1038:
	s_andn2_b32 vcc_lo, exec_lo, s12
	s_cbranch_vccnz .LBB24_1043
; %bb.1039:
	s_sext_i32_i16 s1, s1
	s_cmp_gt_i32 s1, 0
	s_mov_b32 s1, -1
	s_cbranch_scc0 .LBB24_1041
; %bb.1040:
	s_waitcnt vmcnt(0)
	v_cvt_i16_f16_e32 v2, v3
	s_mov_b32 s1, 0
	global_store_byte v[0:1], v2, off
.LBB24_1041:
	s_andn2_b32 vcc_lo, exec_lo, s1
	s_cbranch_vccnz .LBB24_1043
; %bb.1042:
	s_waitcnt vmcnt(0)
	v_cvt_f32_f16_e32 v2, v3
	v_cvt_i32_f32_e32 v2, v2
	global_store_byte v[0:1], v2, off
.LBB24_1043:
	s_or_b32 exec_lo, exec_lo, s0
	s_and_b32 s12, s13, exec_lo
                                        ; implicit-def: $vgpr2
.LBB24_1044:
	s_or_saveexec_b32 s7, s7
	s_mov_b32 s0, 0
                                        ; implicit-def: $sgpr1
                                        ; implicit-def: $vgpr0_vgpr1
                                        ; implicit-def: $vgpr3
	s_xor_b32 exec_lo, exec_lo, s7
	s_cbranch_execz .LBB24_2009
; %bb.1045:
	v_mul_lo_u32 v7, s3, v2
	s_and_b32 s6, 0xffff, s6
	s_cmp_lt_i32 s6, 11
	v_ashrrev_i32_e32 v1, 31, v7
	v_add_co_u32 v0, vcc_lo, s10, v7
	v_add_co_ci_u32_e64 v1, null, s11, v1, vcc_lo
	s_cbranch_scc1 .LBB24_1052
; %bb.1046:
	s_cmp_gt_i32 s6, 25
	s_mov_b32 s1, 0
	s_cbranch_scc0 .LBB24_1054
; %bb.1047:
	s_cmp_gt_i32 s6, 28
	s_cbranch_scc0 .LBB24_1055
; %bb.1048:
	s_cmp_gt_i32 s6, 43
	s_cbranch_scc0 .LBB24_1056
; %bb.1049:
	s_cmp_gt_i32 s6, 45
	s_cbranch_scc0 .LBB24_1057
; %bb.1050:
	s_cmp_eq_u32 s6, 46
	s_cbranch_scc0 .LBB24_1060
; %bb.1051:
	global_load_dword v3, v[0:1], off
	s_mov_b32 s13, -1
	s_waitcnt vmcnt(0)
	v_lshlrev_b32_e32 v3, 16, v3
	v_cvt_f16_f32_e32 v3, v3
	s_branch .LBB24_1062
.LBB24_1052:
	s_mov_b32 s13, 0
	s_mov_b32 s5, s12
                                        ; implicit-def: $vgpr3
	s_cbranch_execnz .LBB24_1125
.LBB24_1053:
	s_andn2_b32 vcc_lo, exec_lo, s13
	s_cbranch_vccz .LBB24_1170
	s_branch .LBB24_2007
.LBB24_1054:
	s_mov_b32 s13, 0
                                        ; implicit-def: $vgpr3
	s_cbranch_execnz .LBB24_1090
	s_branch .LBB24_1121
.LBB24_1055:
	s_mov_b32 s5, -1
	s_mov_b32 s13, 0
                                        ; implicit-def: $vgpr3
	s_branch .LBB24_1071
.LBB24_1056:
	s_mov_b32 s13, 0
                                        ; implicit-def: $vgpr3
	s_cbranch_execnz .LBB24_1067
	s_branch .LBB24_1070
.LBB24_1057:
	s_mov_b32 s5, -1
	s_branch .LBB24_1061
.LBB24_1058:
	s_andn2_saveexec_b32 s18, s18
	s_cbranch_execz .LBB24_954
.LBB24_1059:
	v_add_f32_e64 v4, 0x46000000, |v2|
	s_andn2_b32 s17, s17, exec_lo
	v_and_b32_e32 v4, 0xff, v4
	v_cmp_ne_u32_e32 vcc_lo, 0, v4
	s_and_b32 s19, vcc_lo, exec_lo
	s_or_b32 s17, s17, s19
	s_or_b32 exec_lo, exec_lo, s18
	v_mov_b32_e32 v5, 0
	s_and_saveexec_b32 s18, s17
	s_cbranch_execnz .LBB24_955
	s_branch .LBB24_956
.LBB24_1060:
	s_mov_b32 s0, -1
.LBB24_1061:
	s_mov_b32 s13, 0
                                        ; implicit-def: $vgpr3
.LBB24_1062:
	s_and_b32 vcc_lo, exec_lo, s5
	s_cbranch_vccz .LBB24_1065
; %bb.1063:
	s_cmp_eq_u32 s6, 44
	s_cbranch_scc0 .LBB24_1066
; %bb.1064:
	global_load_ubyte v3, v[0:1], off
	s_mov_b32 s0, 0
	s_mov_b32 s13, -1
	s_waitcnt vmcnt(0)
	v_lshlrev_b32_e32 v4, 23, v3
	v_cmp_ne_u32_e32 vcc_lo, 0xff, v3
	v_cvt_f16_f32_e32 v4, v4
	v_cndmask_b32_e32 v4, 0x7e00, v4, vcc_lo
	v_cmp_ne_u32_e32 vcc_lo, 0, v3
	v_cndmask_b32_e32 v3, 0, v4, vcc_lo
.LBB24_1065:
	s_branch .LBB24_1070
.LBB24_1066:
	s_mov_b32 s0, -1
                                        ; implicit-def: $vgpr3
	s_branch .LBB24_1070
.LBB24_1067:
	s_cmp_eq_u32 s6, 29
	s_cbranch_scc0 .LBB24_1069
; %bb.1068:
	global_load_dwordx2 v[3:4], v[0:1], off
	s_mov_b32 s0, 0
	s_mov_b32 s13, -1
	s_mov_b32 s5, 0
	s_waitcnt vmcnt(0)
	v_ffbh_u32_e32 v5, v4
	v_min_u32_e32 v5, 32, v5
	v_lshlrev_b64 v[3:4], v5, v[3:4]
	v_min_u32_e32 v3, 1, v3
	v_or_b32_e32 v3, v4, v3
	v_sub_nc_u32_e32 v4, 32, v5
	v_cvt_f32_u32_e32 v3, v3
	v_ldexp_f32 v3, v3, v4
	v_cvt_f16_f32_e32 v3, v3
	s_branch .LBB24_1071
.LBB24_1069:
	s_mov_b32 s0, -1
                                        ; implicit-def: $vgpr3
.LBB24_1070:
	s_mov_b32 s5, 0
.LBB24_1071:
	s_and_b32 vcc_lo, exec_lo, s5
	s_cbranch_vccz .LBB24_1089
; %bb.1072:
	s_cmp_lt_i32 s6, 27
	s_cbranch_scc1 .LBB24_1075
; %bb.1073:
	s_cmp_gt_i32 s6, 27
	s_cbranch_scc0 .LBB24_1076
; %bb.1074:
	global_load_dword v3, v[0:1], off
	s_mov_b32 s5, 0
	s_waitcnt vmcnt(0)
	v_cvt_f32_u32_e32 v3, v3
	v_cvt_f16_f32_e32 v3, v3
	s_branch .LBB24_1077
.LBB24_1075:
	s_mov_b32 s5, -1
                                        ; implicit-def: $vgpr3
	s_branch .LBB24_1080
.LBB24_1076:
	s_mov_b32 s5, -1
                                        ; implicit-def: $vgpr3
.LBB24_1077:
	s_andn2_b32 vcc_lo, exec_lo, s5
	s_cbranch_vccnz .LBB24_1079
; %bb.1078:
	global_load_ushort v3, v[0:1], off
	s_waitcnt vmcnt(0)
	v_cvt_f16_u16_e32 v3, v3
.LBB24_1079:
	s_mov_b32 s5, 0
.LBB24_1080:
	s_andn2_b32 vcc_lo, exec_lo, s5
	s_cbranch_vccnz .LBB24_1088
; %bb.1081:
	global_load_ubyte v4, v[0:1], off
	s_mov_b32 s5, 0
	s_mov_b32 s13, exec_lo
	s_waitcnt vmcnt(0)
	v_cmpx_lt_i16_e32 0x7f, v4
	s_xor_b32 s13, exec_lo, s13
	s_cbranch_execz .LBB24_1101
; %bb.1082:
	s_mov_b32 s5, -1
	s_mov_b32 s14, exec_lo
	v_cmpx_eq_u16_e32 0x80, v4
; %bb.1083:
	s_xor_b32 s5, exec_lo, -1
; %bb.1084:
	s_or_b32 exec_lo, exec_lo, s14
	s_and_b32 s5, s5, exec_lo
	s_or_saveexec_b32 s13, s13
	v_mov_b32_e32 v3, 0x7e00
	s_xor_b32 exec_lo, exec_lo, s13
	s_cbranch_execnz .LBB24_1102
.LBB24_1085:
	s_or_b32 exec_lo, exec_lo, s13
	s_and_saveexec_b32 s13, s5
	s_cbranch_execz .LBB24_1087
.LBB24_1086:
	v_and_b32_e32 v3, 0xffff, v4
	v_lshlrev_b32_e32 v4, 24, v4
	v_and_b32_e32 v5, 7, v3
	v_bfe_u32 v9, v3, 3, 4
	v_and_b32_e32 v4, 0x80000000, v4
	v_ffbh_u32_e32 v6, v5
	v_cmp_eq_u32_e32 vcc_lo, 0, v9
	v_min_u32_e32 v6, 32, v6
	v_subrev_nc_u32_e32 v8, 28, v6
	v_sub_nc_u32_e32 v6, 29, v6
	v_lshlrev_b32_e32 v3, v8, v3
	v_cndmask_b32_e32 v6, v9, v6, vcc_lo
	v_and_b32_e32 v3, 7, v3
	v_cndmask_b32_e32 v3, v5, v3, vcc_lo
	v_lshl_add_u32 v5, v6, 23, 0x3b800000
	v_lshlrev_b32_e32 v3, 20, v3
	v_or3_b32 v3, v4, v5, v3
	v_cvt_f16_f32_e32 v3, v3
.LBB24_1087:
	s_or_b32 exec_lo, exec_lo, s13
.LBB24_1088:
	s_mov_b32 s13, -1
.LBB24_1089:
	s_branch .LBB24_1121
.LBB24_1090:
	s_cmp_gt_i32 s6, 22
	s_cbranch_scc0 .LBB24_1100
; %bb.1091:
	s_cmp_lt_i32 s6, 24
	s_cbranch_scc1 .LBB24_1103
; %bb.1092:
	s_cmp_gt_i32 s6, 24
	s_cbranch_scc0 .LBB24_1104
; %bb.1093:
	global_load_ubyte v4, v[0:1], off
	s_mov_b32 s5, exec_lo
	s_waitcnt vmcnt(0)
	v_cmpx_lt_i16_e32 0x7f, v4
	s_xor_b32 s5, exec_lo, s5
	s_cbranch_execz .LBB24_1115
; %bb.1094:
	s_mov_b32 s1, -1
	s_mov_b32 s13, exec_lo
	v_cmpx_eq_u16_e32 0x80, v4
; %bb.1095:
	s_xor_b32 s1, exec_lo, -1
; %bb.1096:
	s_or_b32 exec_lo, exec_lo, s13
	s_and_b32 s1, s1, exec_lo
	s_or_saveexec_b32 s5, s5
	v_mov_b32_e32 v3, 0x7e00
	s_xor_b32 exec_lo, exec_lo, s5
	s_cbranch_execnz .LBB24_1116
.LBB24_1097:
	s_or_b32 exec_lo, exec_lo, s5
	s_and_saveexec_b32 s5, s1
	s_cbranch_execz .LBB24_1099
.LBB24_1098:
	v_and_b32_e32 v3, 0xffff, v4
	v_lshlrev_b32_e32 v4, 24, v4
	v_and_b32_e32 v5, 3, v3
	v_bfe_u32 v9, v3, 2, 5
	v_and_b32_e32 v4, 0x80000000, v4
	v_ffbh_u32_e32 v6, v5
	v_cmp_eq_u32_e32 vcc_lo, 0, v9
	v_min_u32_e32 v6, 32, v6
	v_subrev_nc_u32_e32 v8, 29, v6
	v_sub_nc_u32_e32 v6, 30, v6
	v_lshlrev_b32_e32 v3, v8, v3
	v_cndmask_b32_e32 v6, v9, v6, vcc_lo
	v_and_b32_e32 v3, 3, v3
	v_cndmask_b32_e32 v3, v5, v3, vcc_lo
	v_lshl_add_u32 v5, v6, 23, 0x37800000
	v_lshlrev_b32_e32 v3, 21, v3
	v_or3_b32 v3, v4, v5, v3
	v_cvt_f16_f32_e32 v3, v3
.LBB24_1099:
	s_or_b32 exec_lo, exec_lo, s5
	s_mov_b32 s1, 0
	s_branch .LBB24_1105
.LBB24_1100:
                                        ; implicit-def: $vgpr3
	s_mov_b32 s1, 0
	s_branch .LBB24_1111
.LBB24_1101:
	s_or_saveexec_b32 s13, s13
	v_mov_b32_e32 v3, 0x7e00
	s_xor_b32 exec_lo, exec_lo, s13
	s_cbranch_execz .LBB24_1085
.LBB24_1102:
	v_cmp_ne_u16_e32 vcc_lo, 0, v4
	v_mov_b32_e32 v3, v4
	s_andn2_b32 s5, s5, exec_lo
	s_and_b32 s14, vcc_lo, exec_lo
	s_or_b32 s5, s5, s14
	s_or_b32 exec_lo, exec_lo, s13
	s_and_saveexec_b32 s13, s5
	s_cbranch_execnz .LBB24_1086
	s_branch .LBB24_1087
.LBB24_1103:
	s_mov_b32 s1, -1
                                        ; implicit-def: $vgpr3
	s_branch .LBB24_1108
.LBB24_1104:
	s_mov_b32 s1, -1
                                        ; implicit-def: $vgpr3
.LBB24_1105:
	s_and_b32 vcc_lo, exec_lo, s1
	s_cbranch_vccz .LBB24_1107
; %bb.1106:
	global_load_ubyte v3, v[0:1], off
	s_waitcnt vmcnt(0)
	v_lshlrev_b32_e32 v3, 24, v3
	v_and_b32_e32 v4, 0x7f000000, v3
	v_ffbh_u32_e32 v5, v4
	v_add_nc_u32_e32 v8, 0x1000000, v4
	v_cmp_ne_u32_e32 vcc_lo, 0, v4
	v_min_u32_e32 v5, 32, v5
	v_sub_nc_u32_e64 v5, v5, 4 clamp
	v_lshlrev_b32_e32 v6, v5, v4
	v_lshlrev_b32_e32 v5, 23, v5
	v_lshrrev_b32_e32 v6, 4, v6
	v_sub_nc_u32_e32 v5, v6, v5
	v_ashrrev_i32_e32 v6, 8, v8
	v_add_nc_u32_e32 v5, 0x3c000000, v5
	v_and_or_b32 v5, 0x7f800000, v6, v5
	v_cndmask_b32_e32 v4, 0, v5, vcc_lo
	v_and_or_b32 v3, 0x80000000, v3, v4
	v_cvt_f16_f32_e32 v3, v3
.LBB24_1107:
	s_mov_b32 s1, 0
.LBB24_1108:
	s_andn2_b32 vcc_lo, exec_lo, s1
	s_cbranch_vccnz .LBB24_1110
; %bb.1109:
	global_load_ubyte v3, v[0:1], off
	s_waitcnt vmcnt(0)
	v_lshlrev_b32_e32 v4, 25, v3
	v_lshlrev_b16 v3, 8, v3
	v_lshrrev_b32_e32 v5, 4, v4
	v_and_or_b32 v6, 0x7f00, v3, 0.5
	v_cmp_gt_u32_e32 vcc_lo, 0x8000000, v4
	v_bfe_i32 v3, v3, 0, 16
	v_or_b32_e32 v5, 0x70000000, v5
	v_add_f32_e32 v6, -0.5, v6
	v_mul_f32_e32 v5, 0x7800000, v5
	v_cndmask_b32_e32 v4, v5, v6, vcc_lo
	v_and_or_b32 v3, 0x80000000, v3, v4
	v_cvt_f16_f32_e32 v3, v3
.LBB24_1110:
	s_mov_b32 s13, -1
	s_mov_b32 s1, 0
	s_cbranch_execnz .LBB24_1121
.LBB24_1111:
	s_cmp_gt_i32 s6, 14
	s_cbranch_scc0 .LBB24_1114
; %bb.1112:
	s_cmp_eq_u32 s6, 15
	s_cbranch_scc0 .LBB24_1117
; %bb.1113:
	global_load_ushort v3, v[0:1], off
	s_mov_b32 s0, 0
	s_mov_b32 s13, -1
	s_waitcnt vmcnt(0)
	v_lshlrev_b32_e32 v3, 16, v3
	v_cvt_f16_f32_e32 v3, v3
	s_branch .LBB24_1119
.LBB24_1114:
	s_mov_b32 s1, -1
	s_branch .LBB24_1118
.LBB24_1115:
	s_or_saveexec_b32 s5, s5
	v_mov_b32_e32 v3, 0x7e00
	s_xor_b32 exec_lo, exec_lo, s5
	s_cbranch_execz .LBB24_1097
.LBB24_1116:
	v_cmp_ne_u16_e32 vcc_lo, 0, v4
	v_mov_b32_e32 v3, v4
	s_andn2_b32 s1, s1, exec_lo
	s_and_b32 s13, vcc_lo, exec_lo
	s_or_b32 s1, s1, s13
	s_or_b32 exec_lo, exec_lo, s5
	s_and_saveexec_b32 s5, s1
	s_cbranch_execnz .LBB24_1098
	s_branch .LBB24_1099
.LBB24_1117:
	s_mov_b32 s0, -1
.LBB24_1118:
                                        ; implicit-def: $vgpr3
.LBB24_1119:
	s_and_b32 vcc_lo, exec_lo, s1
	s_mov_b32 s1, 0
	s_cbranch_vccz .LBB24_1121
; %bb.1120:
	s_cmp_lg_u32 s6, 11
	s_mov_b32 s1, -1
	s_cselect_b32 s0, -1, 0
.LBB24_1121:
	s_and_b32 vcc_lo, exec_lo, s0
	s_mov_b32 s5, s12
	s_cbranch_vccnz .LBB24_1186
; %bb.1122:
	s_andn2_b32 vcc_lo, exec_lo, s1
	s_cbranch_vccnz .LBB24_1124
.LBB24_1123:
	global_load_ubyte v3, v[0:1], off
	s_mov_b32 s13, -1
	s_waitcnt vmcnt(0)
	v_cmp_ne_u16_e32 vcc_lo, 0, v3
	v_cndmask_b32_e64 v3, 0, 0x3c00, vcc_lo
.LBB24_1124:
	s_branch .LBB24_1053
.LBB24_1125:
	s_cmp_lt_i32 s6, 5
	s_cbranch_scc1 .LBB24_1130
; %bb.1126:
	s_cmp_lt_i32 s6, 8
	s_cbranch_scc1 .LBB24_1131
; %bb.1127:
	;; [unrolled: 3-line block ×3, first 2 shown]
	s_cmp_gt_i32 s6, 9
	s_cbranch_scc0 .LBB24_1133
; %bb.1129:
	global_load_dwordx2 v[3:4], v[0:1], off
	s_mov_b32 s0, 0
	s_waitcnt vmcnt(0)
	v_and_or_b32 v3, 0x1ff, v4, v3
	v_lshrrev_b32_e32 v5, 8, v4
	v_bfe_u32 v6, v4, 20, 11
	v_lshrrev_b32_e32 v4, 16, v4
	v_cmp_ne_u32_e32 vcc_lo, 0, v3
	v_sub_nc_u32_e32 v8, 0x3f1, v6
	v_add_nc_u32_e32 v6, 0xfffffc10, v6
	v_cndmask_b32_e64 v3, 0, 1, vcc_lo
	v_and_or_b32 v3, 0xffe, v5, v3
	v_med3_i32 v5, v8, 0, 13
	v_or_b32_e32 v8, 0x1000, v3
	v_lshrrev_b32_e32 v9, v5, v8
	v_lshlrev_b32_e32 v5, v5, v9
	v_cmp_ne_u32_e32 vcc_lo, v5, v8
	v_lshl_or_b32 v8, v6, 12, v3
	v_cndmask_b32_e64 v5, 0, 1, vcc_lo
	v_cmp_gt_i32_e32 vcc_lo, 1, v6
	v_or_b32_e32 v5, v9, v5
	v_cndmask_b32_e32 v5, v8, v5, vcc_lo
	v_and_b32_e32 v8, 7, v5
	v_lshrrev_b32_e32 v5, 2, v5
	v_cmp_lt_i32_e32 vcc_lo, 5, v8
	v_cndmask_b32_e64 v9, 0, 1, vcc_lo
	v_cmp_eq_u32_e32 vcc_lo, 3, v8
	v_cndmask_b32_e64 v8, 0, 1, vcc_lo
	v_cmp_ne_u32_e32 vcc_lo, 0, v3
	v_or_b32_e32 v8, v8, v9
	v_mov_b32_e32 v9, 0x7e00
	v_add_nc_u32_e32 v5, v5, v8
	v_cndmask_b32_e32 v3, 0x7c00, v9, vcc_lo
	v_cmp_gt_i32_e32 vcc_lo, 31, v6
	v_cndmask_b32_e32 v5, 0x7c00, v5, vcc_lo
	v_cmp_eq_u32_e32 vcc_lo, 0x40f, v6
	v_cndmask_b32_e32 v3, v5, v3, vcc_lo
	v_and_or_b32 v3, 0x8000, v4, v3
	s_branch .LBB24_1134
.LBB24_1130:
                                        ; implicit-def: $vgpr3
	s_branch .LBB24_1151
.LBB24_1131:
                                        ; implicit-def: $vgpr3
	s_branch .LBB24_1140
.LBB24_1132:
	s_mov_b32 s0, -1
                                        ; implicit-def: $vgpr3
	s_branch .LBB24_1137
.LBB24_1133:
	s_mov_b32 s0, -1
                                        ; implicit-def: $vgpr3
.LBB24_1134:
	s_andn2_b32 vcc_lo, exec_lo, s0
	s_cbranch_vccnz .LBB24_1136
; %bb.1135:
	global_load_dword v3, v[0:1], off
	s_waitcnt vmcnt(0)
	v_cvt_f16_f32_e32 v3, v3
.LBB24_1136:
	s_mov_b32 s0, 0
.LBB24_1137:
	s_andn2_b32 vcc_lo, exec_lo, s0
	s_cbranch_vccnz .LBB24_1139
; %bb.1138:
	global_load_dword v3, v[0:1], off
.LBB24_1139:
	s_cbranch_execnz .LBB24_1150
.LBB24_1140:
	s_cmp_lt_i32 s6, 6
	s_cbranch_scc1 .LBB24_1143
; %bb.1141:
	s_cmp_gt_i32 s6, 6
	s_cbranch_scc0 .LBB24_1144
; %bb.1142:
	global_load_dwordx2 v[3:4], v[0:1], off
	s_mov_b32 s0, 0
	s_waitcnt vmcnt(0)
	v_and_or_b32 v3, 0x1ff, v4, v3
	v_lshrrev_b32_e32 v5, 8, v4
	v_bfe_u32 v6, v4, 20, 11
	v_lshrrev_b32_e32 v4, 16, v4
	v_cmp_ne_u32_e32 vcc_lo, 0, v3
	v_sub_nc_u32_e32 v8, 0x3f1, v6
	v_add_nc_u32_e32 v6, 0xfffffc10, v6
	v_cndmask_b32_e64 v3, 0, 1, vcc_lo
	v_and_or_b32 v3, 0xffe, v5, v3
	v_med3_i32 v5, v8, 0, 13
	v_or_b32_e32 v8, 0x1000, v3
	v_lshrrev_b32_e32 v9, v5, v8
	v_lshlrev_b32_e32 v5, v5, v9
	v_cmp_ne_u32_e32 vcc_lo, v5, v8
	v_lshl_or_b32 v8, v6, 12, v3
	v_cndmask_b32_e64 v5, 0, 1, vcc_lo
	v_cmp_gt_i32_e32 vcc_lo, 1, v6
	v_or_b32_e32 v5, v9, v5
	v_cndmask_b32_e32 v5, v8, v5, vcc_lo
	v_and_b32_e32 v8, 7, v5
	v_lshrrev_b32_e32 v5, 2, v5
	v_cmp_lt_i32_e32 vcc_lo, 5, v8
	v_cndmask_b32_e64 v9, 0, 1, vcc_lo
	v_cmp_eq_u32_e32 vcc_lo, 3, v8
	v_cndmask_b32_e64 v8, 0, 1, vcc_lo
	v_cmp_ne_u32_e32 vcc_lo, 0, v3
	v_or_b32_e32 v8, v8, v9
	v_mov_b32_e32 v9, 0x7e00
	v_add_nc_u32_e32 v5, v5, v8
	v_cndmask_b32_e32 v3, 0x7c00, v9, vcc_lo
	v_cmp_gt_i32_e32 vcc_lo, 31, v6
	v_cndmask_b32_e32 v5, 0x7c00, v5, vcc_lo
	v_cmp_eq_u32_e32 vcc_lo, 0x40f, v6
	v_cndmask_b32_e32 v3, v5, v3, vcc_lo
	v_and_or_b32 v3, 0x8000, v4, v3
	s_branch .LBB24_1145
.LBB24_1143:
	s_mov_b32 s0, -1
                                        ; implicit-def: $vgpr3
	s_branch .LBB24_1148
.LBB24_1144:
	s_mov_b32 s0, -1
                                        ; implicit-def: $vgpr3
.LBB24_1145:
	s_andn2_b32 vcc_lo, exec_lo, s0
	s_cbranch_vccnz .LBB24_1147
; %bb.1146:
	global_load_dword v3, v[0:1], off
	s_waitcnt vmcnt(0)
	v_cvt_f16_f32_e32 v3, v3
.LBB24_1147:
	s_mov_b32 s0, 0
.LBB24_1148:
	s_andn2_b32 vcc_lo, exec_lo, s0
	s_cbranch_vccnz .LBB24_1150
; %bb.1149:
	global_load_ushort v3, v[0:1], off
.LBB24_1150:
	s_cbranch_execnz .LBB24_1169
.LBB24_1151:
	s_cmp_lt_i32 s6, 2
	s_cbranch_scc1 .LBB24_1155
; %bb.1152:
	s_cmp_lt_i32 s6, 3
	s_cbranch_scc1 .LBB24_1156
; %bb.1153:
	s_cmp_gt_i32 s6, 3
	s_cbranch_scc0 .LBB24_1157
; %bb.1154:
	global_load_dwordx2 v[3:4], v[0:1], off
	s_mov_b32 s0, 0
	s_waitcnt vmcnt(0)
	v_xor_b32_e32 v5, v3, v4
	v_ffbh_i32_e32 v6, v4
	v_ashrrev_i32_e32 v5, 31, v5
	v_add_nc_u32_e32 v6, -1, v6
	v_add_nc_u32_e32 v5, 32, v5
	v_min_u32_e32 v5, v6, v5
	v_lshlrev_b64 v[3:4], v5, v[3:4]
	v_min_u32_e32 v3, 1, v3
	v_or_b32_e32 v3, v4, v3
	v_sub_nc_u32_e32 v4, 32, v5
	v_cvt_f32_i32_e32 v3, v3
	v_ldexp_f32 v3, v3, v4
	v_cvt_f16_f32_e32 v3, v3
	s_branch .LBB24_1158
.LBB24_1155:
                                        ; implicit-def: $vgpr3
	s_branch .LBB24_1164
.LBB24_1156:
	s_mov_b32 s0, -1
                                        ; implicit-def: $vgpr3
	s_branch .LBB24_1161
.LBB24_1157:
	s_mov_b32 s0, -1
                                        ; implicit-def: $vgpr3
.LBB24_1158:
	s_andn2_b32 vcc_lo, exec_lo, s0
	s_cbranch_vccnz .LBB24_1160
; %bb.1159:
	global_load_dword v3, v[0:1], off
	s_waitcnt vmcnt(0)
	v_cvt_f32_i32_e32 v3, v3
	v_cvt_f16_f32_e32 v3, v3
.LBB24_1160:
	s_mov_b32 s0, 0
.LBB24_1161:
	s_andn2_b32 vcc_lo, exec_lo, s0
	s_cbranch_vccnz .LBB24_1163
; %bb.1162:
	global_load_ushort v3, v[0:1], off
	s_waitcnt vmcnt(0)
	v_cvt_f16_i16_e32 v3, v3
.LBB24_1163:
	s_cbranch_execnz .LBB24_1169
.LBB24_1164:
	s_cmp_gt_i32 s6, 0
	s_mov_b32 s0, 0
	s_cbranch_scc0 .LBB24_1166
; %bb.1165:
	global_load_sbyte v3, v[0:1], off
	s_waitcnt vmcnt(0)
	v_cvt_f16_i16_e32 v3, v3
	s_branch .LBB24_1167
.LBB24_1166:
	s_mov_b32 s0, -1
                                        ; implicit-def: $vgpr3
.LBB24_1167:
	s_andn2_b32 vcc_lo, exec_lo, s0
	s_cbranch_vccnz .LBB24_1169
; %bb.1168:
	global_load_ubyte v0, v[0:1], off
	s_waitcnt vmcnt(0)
	v_cvt_f16_u16_e32 v3, v0
.LBB24_1169:
.LBB24_1170:
	s_waitcnt vmcnt(0)
	v_cvt_f32_f16_e32 v3, v3
                                        ; implicit-def: $vgpr6
                                        ; implicit-def: $vgpr5
	s_mov_b32 s1, exec_lo
	v_and_b32_e32 v4, 0x7fffffff, v3
	v_cmpx_ngt_f32_e64 0x48000000, |v3|
	s_xor_b32 s13, exec_lo, s1
	s_cbranch_execz .LBB24_1172
; %bb.1171:
	s_mov_b32 s0, 0x7fffff
	v_mov_b32_e32 v6, 0
	v_and_or_b32 v14, v4, s0, 0x800000
	v_mad_u64_u32 v[0:1], null, 0xfe5163ab, v14, 0
	v_mov_b32_e32 v5, v1
	v_lshrrev_b32_e32 v1, 23, v4
	v_mad_u64_u32 v[8:9], null, 0x3c439041, v14, v[5:6]
	v_add_nc_u32_e32 v1, 0xffffff88, v1
	v_cmp_lt_u32_e32 vcc_lo, 63, v1
	v_mov_b32_e32 v5, v9
	v_cndmask_b32_e64 v13, 0, 0xffffffc0, vcc_lo
	v_mad_u64_u32 v[9:10], null, 0xdb629599, v14, v[5:6]
	v_add_nc_u32_e32 v1, v13, v1
	v_mov_b32_e32 v5, v10
	v_cmp_lt_u32_e64 s0, 31, v1
	v_cndmask_b32_e32 v0, v9, v0, vcc_lo
	v_mad_u64_u32 v[10:11], null, 0xf534ddc0, v14, v[5:6]
	v_cndmask_b32_e64 v15, 0, 0xffffffe0, s0
	v_add_nc_u32_e32 v1, v15, v1
	v_mov_b32_e32 v5, v11
	v_cndmask_b32_e32 v8, v10, v8, vcc_lo
	v_cmp_lt_u32_e64 s1, 31, v1
	v_mad_u64_u32 v[11:12], null, 0xfc2757d1, v14, v[5:6]
	v_cndmask_b32_e64 v0, v8, v0, s0
	v_mov_b32_e32 v5, v12
	v_mad_u64_u32 v[12:13], null, 0x4e441529, v14, v[5:6]
	v_mov_b32_e32 v5, v13
	v_cndmask_b32_e64 v13, 0, 0xffffffe0, s1
	v_mad_u64_u32 v[5:6], null, 0xa2f9836e, v14, v[5:6]
	v_cndmask_b32_e32 v14, v12, v10, vcc_lo
	v_add_nc_u32_e32 v1, v13, v1
	v_cndmask_b32_e32 v5, v5, v11, vcc_lo
	v_cndmask_b32_e32 v6, v6, v12, vcc_lo
	;; [unrolled: 1-line block ×3, first 2 shown]
	v_sub_nc_u32_e32 v12, 32, v1
	v_cmp_eq_u32_e32 vcc_lo, 0, v1
	v_cndmask_b32_e64 v10, v5, v14, s0
	v_cndmask_b32_e64 v5, v6, v5, s0
	;; [unrolled: 1-line block ×8, first 2 shown]
	v_alignbit_b32 v13, v5, v10, v12
	v_alignbit_b32 v9, v10, v6, v12
	;; [unrolled: 1-line block ×3, first 2 shown]
	v_cndmask_b32_e32 v1, v13, v5, vcc_lo
	v_cndmask_b32_e32 v5, v9, v10, vcc_lo
	;; [unrolled: 1-line block ×3, first 2 shown]
	v_bfe_u32 v8, v1, 29, 1
	v_alignbit_b32 v9, v1, v5, 30
	v_alignbit_b32 v5, v5, v6, 30
	v_alignbit_b32 v0, v6, v0, 30
	v_sub_nc_u32_e32 v10, 0, v8
	v_xor_b32_e32 v9, v9, v10
	v_xor_b32_e32 v5, v5, v10
	;; [unrolled: 1-line block ×3, first 2 shown]
	v_lshrrev_b32_e32 v10, 29, v1
	v_ffbh_u32_e32 v11, v9
	v_min_u32_e32 v11, 32, v11
	v_sub_nc_u32_e32 v6, 31, v11
	v_lshlrev_b32_e32 v12, 23, v11
	v_alignbit_b32 v9, v9, v5, v6
	v_alignbit_b32 v0, v5, v0, v6
	v_lshlrev_b32_e32 v5, 31, v10
	v_alignbit_b32 v6, v9, v0, 9
	v_or_b32_e32 v10, 0.5, v5
	v_lshrrev_b32_e32 v9, 9, v9
	v_or_b32_e32 v5, 0x33000000, v5
	v_ffbh_u32_e32 v13, v6
	v_sub_nc_u32_e32 v10, v10, v12
	v_min_u32_e32 v12, 32, v13
	v_or_b32_e32 v9, v9, v10
	v_not_b32_e32 v10, v12
	v_mul_f32_e32 v13, 0x3fc90fda, v9
	v_add_lshl_u32 v11, v12, v11, 23
	v_alignbit_b32 v0, v6, v0, v10
	v_fma_f32 v6, 0x3fc90fda, v9, -v13
	v_sub_nc_u32_e32 v5, v5, v11
	v_lshrrev_b32_e32 v0, 9, v0
	v_fmamk_f32 v6, v9, 0x33a22168, v6
	v_or_b32_e32 v0, v5, v0
	v_fmac_f32_e32 v6, 0x3fc90fda, v0
	v_lshrrev_b32_e32 v0, 30, v1
	v_add_f32_e32 v5, v13, v6
	v_add_nc_u32_e32 v6, v8, v0
.LBB24_1172:
	s_andn2_saveexec_b32 s0, s13
; %bb.1173:
	v_mul_f32_e64 v0, 0x3f22f983, |v3|
	v_rndne_f32_e32 v0, v0
	v_fma_f32 v1, 0xbfc90fda, v0, |v3|
	v_cvt_i32_f32_e32 v6, v0
	v_fmamk_f32 v1, v0, 0xb3a22168, v1
	v_fmamk_f32 v5, v0, 0xa7c234c4, v1
; %bb.1174:
	s_or_b32 exec_lo, exec_lo, s0
	s_lshl_b32 s3, s3, 7
	s_cmp_lt_i32 s6, 11
	v_add_nc_u32_e32 v11, s3, v7
	v_ashrrev_i32_e32 v1, 31, v11
	v_add_co_u32 v0, vcc_lo, s10, v11
	v_add_co_ci_u32_e64 v1, null, s11, v1, vcc_lo
	s_cbranch_scc1 .LBB24_1181
; %bb.1175:
	s_cmp_gt_i32 s6, 25
	s_mov_b32 s1, 0
	s_cbranch_scc0 .LBB24_1183
; %bb.1176:
	s_cmp_gt_i32 s6, 28
	s_cbranch_scc0 .LBB24_1184
; %bb.1177:
	s_cmp_gt_i32 s6, 43
	;; [unrolled: 3-line block ×3, first 2 shown]
	s_cbranch_scc0 .LBB24_1187
; %bb.1179:
	s_cmp_eq_u32 s6, 46
	s_mov_b32 s14, 0
	s_cbranch_scc0 .LBB24_1190
; %bb.1180:
	global_load_dword v7, v[0:1], off
	s_mov_b32 s0, 0
	s_mov_b32 s13, -1
	s_waitcnt vmcnt(0)
	v_lshlrev_b32_e32 v7, 16, v7
	v_cvt_f16_f32_e32 v7, v7
	s_branch .LBB24_1192
.LBB24_1181:
	s_mov_b32 s13, 0
                                        ; implicit-def: $vgpr7
	s_cbranch_execnz .LBB24_1257
.LBB24_1182:
	s_andn2_b32 vcc_lo, exec_lo, s13
	s_cbranch_vccz .LBB24_1304
	s_branch .LBB24_2007
.LBB24_1183:
	s_mov_b32 s13, 0
	s_mov_b32 s0, 0
                                        ; implicit-def: $vgpr7
	s_cbranch_execnz .LBB24_1221
	s_branch .LBB24_1253
.LBB24_1184:
	s_mov_b32 s14, -1
	s_mov_b32 s13, 0
	s_mov_b32 s0, 0
                                        ; implicit-def: $vgpr7
	s_branch .LBB24_1202
.LBB24_1185:
	s_mov_b32 s14, -1
	s_mov_b32 s13, 0
	s_mov_b32 s0, 0
                                        ; implicit-def: $vgpr7
	s_branch .LBB24_1197
.LBB24_1186:
	s_or_b32 s5, s12, exec_lo
	s_trap 2
	s_cbranch_execz .LBB24_1123
	s_branch .LBB24_1124
.LBB24_1187:
	s_mov_b32 s14, -1
	s_mov_b32 s13, 0
	s_mov_b32 s0, 0
	s_branch .LBB24_1191
.LBB24_1188:
	s_andn2_saveexec_b32 s19, s19
	s_cbranch_execz .LBB24_966
.LBB24_1189:
	v_add_f32_e64 v4, 0x42800000, |v2|
	s_andn2_b32 s18, s18, exec_lo
	v_and_b32_e32 v4, 0xff, v4
	v_cmp_ne_u32_e32 vcc_lo, 0, v4
	s_and_b32 s20, vcc_lo, exec_lo
	s_or_b32 s18, s18, s20
	s_or_b32 exec_lo, exec_lo, s19
	v_mov_b32_e32 v5, 0
	s_and_saveexec_b32 s19, s18
	s_cbranch_execnz .LBB24_967
	s_branch .LBB24_968
.LBB24_1190:
	s_mov_b32 s0, -1
	s_mov_b32 s13, 0
.LBB24_1191:
                                        ; implicit-def: $vgpr7
.LBB24_1192:
	s_and_b32 vcc_lo, exec_lo, s14
	s_cbranch_vccz .LBB24_1196
; %bb.1193:
	s_cmp_eq_u32 s6, 44
	s_cbranch_scc0 .LBB24_1195
; %bb.1194:
	global_load_ubyte v7, v[0:1], off
	s_mov_b32 s0, 0
	s_mov_b32 s13, -1
	s_waitcnt vmcnt(0)
	v_lshlrev_b32_e32 v8, 23, v7
	v_cmp_ne_u32_e32 vcc_lo, 0xff, v7
	v_cvt_f16_f32_e32 v8, v8
	v_cndmask_b32_e32 v8, 0x7e00, v8, vcc_lo
	v_cmp_ne_u32_e32 vcc_lo, 0, v7
	v_cndmask_b32_e32 v7, 0, v8, vcc_lo
	s_branch .LBB24_1196
.LBB24_1195:
	s_mov_b32 s0, -1
                                        ; implicit-def: $vgpr7
.LBB24_1196:
	s_mov_b32 s14, 0
.LBB24_1197:
	s_and_b32 vcc_lo, exec_lo, s14
	s_cbranch_vccz .LBB24_1201
; %bb.1198:
	s_cmp_eq_u32 s6, 29
	s_cbranch_scc0 .LBB24_1200
; %bb.1199:
	global_load_dwordx2 v[7:8], v[0:1], off
	s_mov_b32 s0, 0
	s_mov_b32 s13, -1
	s_mov_b32 s14, 0
	s_waitcnt vmcnt(0)
	v_ffbh_u32_e32 v9, v8
	v_min_u32_e32 v9, 32, v9
	v_lshlrev_b64 v[7:8], v9, v[7:8]
	v_min_u32_e32 v7, 1, v7
	v_or_b32_e32 v7, v8, v7
	v_sub_nc_u32_e32 v8, 32, v9
	v_cvt_f32_u32_e32 v7, v7
	v_ldexp_f32 v7, v7, v8
	v_cvt_f16_f32_e32 v7, v7
	s_branch .LBB24_1202
.LBB24_1200:
	s_mov_b32 s0, -1
                                        ; implicit-def: $vgpr7
.LBB24_1201:
	s_mov_b32 s14, 0
.LBB24_1202:
	s_and_b32 vcc_lo, exec_lo, s14
	s_cbranch_vccz .LBB24_1220
; %bb.1203:
	s_cmp_lt_i32 s6, 27
	s_cbranch_scc1 .LBB24_1206
; %bb.1204:
	s_cmp_gt_i32 s6, 27
	s_cbranch_scc0 .LBB24_1207
; %bb.1205:
	global_load_dword v7, v[0:1], off
	s_mov_b32 s13, 0
	s_waitcnt vmcnt(0)
	v_cvt_f32_u32_e32 v7, v7
	v_cvt_f16_f32_e32 v7, v7
	s_branch .LBB24_1208
.LBB24_1206:
	s_mov_b32 s13, -1
                                        ; implicit-def: $vgpr7
	s_branch .LBB24_1211
.LBB24_1207:
	s_mov_b32 s13, -1
                                        ; implicit-def: $vgpr7
.LBB24_1208:
	s_andn2_b32 vcc_lo, exec_lo, s13
	s_cbranch_vccnz .LBB24_1210
; %bb.1209:
	global_load_ushort v7, v[0:1], off
	s_waitcnt vmcnt(0)
	v_cvt_f16_u16_e32 v7, v7
.LBB24_1210:
	s_mov_b32 s13, 0
.LBB24_1211:
	s_andn2_b32 vcc_lo, exec_lo, s13
	s_cbranch_vccnz .LBB24_1219
; %bb.1212:
	global_load_ubyte v8, v[0:1], off
	s_mov_b32 s13, 0
	s_mov_b32 s14, exec_lo
	s_waitcnt vmcnt(0)
	v_cmpx_lt_i16_e32 0x7f, v8
	s_xor_b32 s14, exec_lo, s14
	s_cbranch_execz .LBB24_1232
; %bb.1213:
	s_mov_b32 s13, -1
	s_mov_b32 s15, exec_lo
	v_cmpx_eq_u16_e32 0x80, v8
; %bb.1214:
	s_xor_b32 s13, exec_lo, -1
; %bb.1215:
	s_or_b32 exec_lo, exec_lo, s15
	s_and_b32 s13, s13, exec_lo
	s_or_saveexec_b32 s14, s14
	v_mov_b32_e32 v7, 0x7e00
	s_xor_b32 exec_lo, exec_lo, s14
	s_cbranch_execnz .LBB24_1233
.LBB24_1216:
	s_or_b32 exec_lo, exec_lo, s14
	s_and_saveexec_b32 s14, s13
	s_cbranch_execz .LBB24_1218
.LBB24_1217:
	v_and_b32_e32 v7, 0xffff, v8
	v_lshlrev_b32_e32 v8, 24, v8
	v_and_b32_e32 v9, 7, v7
	v_bfe_u32 v13, v7, 3, 4
	v_and_b32_e32 v8, 0x80000000, v8
	v_ffbh_u32_e32 v10, v9
	v_cmp_eq_u32_e32 vcc_lo, 0, v13
	v_min_u32_e32 v10, 32, v10
	v_subrev_nc_u32_e32 v12, 28, v10
	v_sub_nc_u32_e32 v10, 29, v10
	v_lshlrev_b32_e32 v7, v12, v7
	v_cndmask_b32_e32 v10, v13, v10, vcc_lo
	v_and_b32_e32 v7, 7, v7
	v_cndmask_b32_e32 v7, v9, v7, vcc_lo
	v_lshl_add_u32 v9, v10, 23, 0x3b800000
	v_lshlrev_b32_e32 v7, 20, v7
	v_or3_b32 v7, v8, v9, v7
	v_cvt_f16_f32_e32 v7, v7
.LBB24_1218:
	s_or_b32 exec_lo, exec_lo, s14
.LBB24_1219:
	s_mov_b32 s13, -1
.LBB24_1220:
	s_branch .LBB24_1253
.LBB24_1221:
	s_cmp_gt_i32 s6, 22
	s_cbranch_scc0 .LBB24_1231
; %bb.1222:
	s_cmp_lt_i32 s6, 24
	s_cbranch_scc1 .LBB24_1234
; %bb.1223:
	s_cmp_gt_i32 s6, 24
	s_cbranch_scc0 .LBB24_1235
; %bb.1224:
	global_load_ubyte v8, v[0:1], off
	s_mov_b32 s13, exec_lo
	s_waitcnt vmcnt(0)
	v_cmpx_lt_i16_e32 0x7f, v8
	s_xor_b32 s13, exec_lo, s13
	s_cbranch_execz .LBB24_1247
; %bb.1225:
	s_mov_b32 s1, -1
	s_mov_b32 s14, exec_lo
	v_cmpx_eq_u16_e32 0x80, v8
; %bb.1226:
	s_xor_b32 s1, exec_lo, -1
; %bb.1227:
	s_or_b32 exec_lo, exec_lo, s14
	s_and_b32 s1, s1, exec_lo
	s_or_saveexec_b32 s13, s13
	v_mov_b32_e32 v7, 0x7e00
	s_xor_b32 exec_lo, exec_lo, s13
	s_cbranch_execnz .LBB24_1248
.LBB24_1228:
	s_or_b32 exec_lo, exec_lo, s13
	s_and_saveexec_b32 s13, s1
	s_cbranch_execz .LBB24_1230
.LBB24_1229:
	v_and_b32_e32 v7, 0xffff, v8
	v_lshlrev_b32_e32 v8, 24, v8
	v_and_b32_e32 v9, 3, v7
	v_bfe_u32 v13, v7, 2, 5
	v_and_b32_e32 v8, 0x80000000, v8
	v_ffbh_u32_e32 v10, v9
	v_cmp_eq_u32_e32 vcc_lo, 0, v13
	v_min_u32_e32 v10, 32, v10
	v_subrev_nc_u32_e32 v12, 29, v10
	v_sub_nc_u32_e32 v10, 30, v10
	v_lshlrev_b32_e32 v7, v12, v7
	v_cndmask_b32_e32 v10, v13, v10, vcc_lo
	v_and_b32_e32 v7, 3, v7
	v_cndmask_b32_e32 v7, v9, v7, vcc_lo
	v_lshl_add_u32 v9, v10, 23, 0x37800000
	v_lshlrev_b32_e32 v7, 21, v7
	v_or3_b32 v7, v8, v9, v7
	v_cvt_f16_f32_e32 v7, v7
.LBB24_1230:
	s_or_b32 exec_lo, exec_lo, s13
	s_mov_b32 s1, 0
	s_branch .LBB24_1236
.LBB24_1231:
	s_mov_b32 s1, -1
                                        ; implicit-def: $vgpr7
	s_branch .LBB24_1242
.LBB24_1232:
	s_or_saveexec_b32 s14, s14
	v_mov_b32_e32 v7, 0x7e00
	s_xor_b32 exec_lo, exec_lo, s14
	s_cbranch_execz .LBB24_1216
.LBB24_1233:
	v_cmp_ne_u16_e32 vcc_lo, 0, v8
	v_mov_b32_e32 v7, v8
	s_andn2_b32 s13, s13, exec_lo
	s_and_b32 s15, vcc_lo, exec_lo
	s_or_b32 s13, s13, s15
	s_or_b32 exec_lo, exec_lo, s14
	s_and_saveexec_b32 s14, s13
	s_cbranch_execnz .LBB24_1217
	s_branch .LBB24_1218
.LBB24_1234:
	s_mov_b32 s1, -1
                                        ; implicit-def: $vgpr7
	s_branch .LBB24_1239
.LBB24_1235:
	s_mov_b32 s1, -1
                                        ; implicit-def: $vgpr7
.LBB24_1236:
	s_and_b32 vcc_lo, exec_lo, s1
	s_cbranch_vccz .LBB24_1238
; %bb.1237:
	global_load_ubyte v7, v[0:1], off
	s_waitcnt vmcnt(0)
	v_lshlrev_b32_e32 v7, 24, v7
	v_and_b32_e32 v8, 0x7f000000, v7
	v_ffbh_u32_e32 v9, v8
	v_add_nc_u32_e32 v12, 0x1000000, v8
	v_cmp_ne_u32_e32 vcc_lo, 0, v8
	v_min_u32_e32 v9, 32, v9
	v_sub_nc_u32_e64 v9, v9, 4 clamp
	v_lshlrev_b32_e32 v10, v9, v8
	v_lshlrev_b32_e32 v9, 23, v9
	v_lshrrev_b32_e32 v10, 4, v10
	v_sub_nc_u32_e32 v9, v10, v9
	v_ashrrev_i32_e32 v10, 8, v12
	v_add_nc_u32_e32 v9, 0x3c000000, v9
	v_and_or_b32 v9, 0x7f800000, v10, v9
	v_cndmask_b32_e32 v8, 0, v9, vcc_lo
	v_and_or_b32 v7, 0x80000000, v7, v8
	v_cvt_f16_f32_e32 v7, v7
.LBB24_1238:
	s_mov_b32 s1, 0
.LBB24_1239:
	s_andn2_b32 vcc_lo, exec_lo, s1
	s_cbranch_vccnz .LBB24_1241
; %bb.1240:
	global_load_ubyte v7, v[0:1], off
	s_waitcnt vmcnt(0)
	v_lshlrev_b32_e32 v8, 25, v7
	v_lshlrev_b16 v7, 8, v7
	v_lshrrev_b32_e32 v9, 4, v8
	v_and_or_b32 v10, 0x7f00, v7, 0.5
	v_cmp_gt_u32_e32 vcc_lo, 0x8000000, v8
	v_bfe_i32 v7, v7, 0, 16
	v_or_b32_e32 v9, 0x70000000, v9
	v_add_f32_e32 v10, -0.5, v10
	v_mul_f32_e32 v9, 0x7800000, v9
	v_cndmask_b32_e32 v8, v9, v10, vcc_lo
	v_and_or_b32 v7, 0x80000000, v7, v8
	v_cvt_f16_f32_e32 v7, v7
.LBB24_1241:
	s_mov_b32 s1, 0
	s_mov_b32 s13, -1
.LBB24_1242:
	s_andn2_b32 vcc_lo, exec_lo, s1
	s_mov_b32 s1, 0
	s_cbranch_vccnz .LBB24_1253
; %bb.1243:
	s_cmp_gt_i32 s6, 14
	s_cbranch_scc0 .LBB24_1246
; %bb.1244:
	s_cmp_eq_u32 s6, 15
	s_cbranch_scc0 .LBB24_1249
; %bb.1245:
	global_load_ushort v7, v[0:1], off
	s_mov_b32 s0, 0
	s_mov_b32 s13, -1
	s_waitcnt vmcnt(0)
	v_lshlrev_b32_e32 v7, 16, v7
	v_cvt_f16_f32_e32 v7, v7
	s_branch .LBB24_1251
.LBB24_1246:
	s_mov_b32 s1, -1
	s_branch .LBB24_1250
.LBB24_1247:
	s_or_saveexec_b32 s13, s13
	v_mov_b32_e32 v7, 0x7e00
	s_xor_b32 exec_lo, exec_lo, s13
	s_cbranch_execz .LBB24_1228
.LBB24_1248:
	v_cmp_ne_u16_e32 vcc_lo, 0, v8
	v_mov_b32_e32 v7, v8
	s_andn2_b32 s1, s1, exec_lo
	s_and_b32 s14, vcc_lo, exec_lo
	s_or_b32 s1, s1, s14
	s_or_b32 exec_lo, exec_lo, s13
	s_and_saveexec_b32 s13, s1
	s_cbranch_execnz .LBB24_1229
	s_branch .LBB24_1230
.LBB24_1249:
	s_mov_b32 s0, -1
.LBB24_1250:
                                        ; implicit-def: $vgpr7
.LBB24_1251:
	s_and_b32 vcc_lo, exec_lo, s1
	s_mov_b32 s1, 0
	s_cbranch_vccz .LBB24_1253
; %bb.1252:
	s_cmp_lg_u32 s6, 11
	s_mov_b32 s1, -1
	s_cselect_b32 s0, -1, 0
.LBB24_1253:
	s_and_b32 vcc_lo, exec_lo, s0
	s_cbranch_vccnz .LBB24_1320
; %bb.1254:
	s_andn2_b32 vcc_lo, exec_lo, s1
	s_cbranch_vccnz .LBB24_1256
.LBB24_1255:
	global_load_ubyte v7, v[0:1], off
	s_mov_b32 s13, -1
	s_waitcnt vmcnt(0)
	v_cmp_ne_u16_e32 vcc_lo, 0, v7
	v_cndmask_b32_e64 v7, 0, 0x3c00, vcc_lo
.LBB24_1256:
	s_branch .LBB24_1182
.LBB24_1257:
	s_cmp_lt_i32 s6, 5
	s_cbranch_scc1 .LBB24_1262
; %bb.1258:
	s_cmp_lt_i32 s6, 8
	s_cbranch_scc1 .LBB24_1263
; %bb.1259:
	;; [unrolled: 3-line block ×3, first 2 shown]
	s_cmp_gt_i32 s6, 9
	s_cbranch_scc0 .LBB24_1265
; %bb.1261:
	global_load_dwordx2 v[7:8], v[0:1], off
	s_mov_b32 s0, 0
	s_waitcnt vmcnt(0)
	v_and_or_b32 v7, 0x1ff, v8, v7
	v_lshrrev_b32_e32 v9, 8, v8
	v_bfe_u32 v10, v8, 20, 11
	v_lshrrev_b32_e32 v8, 16, v8
	v_cmp_ne_u32_e32 vcc_lo, 0, v7
	v_sub_nc_u32_e32 v12, 0x3f1, v10
	v_add_nc_u32_e32 v10, 0xfffffc10, v10
	v_cndmask_b32_e64 v7, 0, 1, vcc_lo
	v_and_or_b32 v7, 0xffe, v9, v7
	v_med3_i32 v9, v12, 0, 13
	v_or_b32_e32 v12, 0x1000, v7
	v_lshrrev_b32_e32 v13, v9, v12
	v_lshlrev_b32_e32 v9, v9, v13
	v_cmp_ne_u32_e32 vcc_lo, v9, v12
	v_lshl_or_b32 v12, v10, 12, v7
	v_cndmask_b32_e64 v9, 0, 1, vcc_lo
	v_cmp_gt_i32_e32 vcc_lo, 1, v10
	v_or_b32_e32 v9, v13, v9
	v_cndmask_b32_e32 v9, v12, v9, vcc_lo
	v_and_b32_e32 v12, 7, v9
	v_lshrrev_b32_e32 v9, 2, v9
	v_cmp_lt_i32_e32 vcc_lo, 5, v12
	v_cndmask_b32_e64 v13, 0, 1, vcc_lo
	v_cmp_eq_u32_e32 vcc_lo, 3, v12
	v_cndmask_b32_e64 v12, 0, 1, vcc_lo
	v_cmp_ne_u32_e32 vcc_lo, 0, v7
	v_or_b32_e32 v12, v12, v13
	v_mov_b32_e32 v13, 0x7e00
	v_add_nc_u32_e32 v9, v9, v12
	v_cndmask_b32_e32 v7, 0x7c00, v13, vcc_lo
	v_cmp_gt_i32_e32 vcc_lo, 31, v10
	v_cndmask_b32_e32 v9, 0x7c00, v9, vcc_lo
	v_cmp_eq_u32_e32 vcc_lo, 0x40f, v10
	v_cndmask_b32_e32 v7, v9, v7, vcc_lo
	v_and_or_b32 v7, 0x8000, v8, v7
	s_branch .LBB24_1266
.LBB24_1262:
                                        ; implicit-def: $vgpr7
	s_branch .LBB24_1284
.LBB24_1263:
	s_mov_b32 s0, -1
                                        ; implicit-def: $vgpr7
	s_branch .LBB24_1272
.LBB24_1264:
	s_mov_b32 s0, -1
                                        ; implicit-def: $vgpr7
	s_branch .LBB24_1269
.LBB24_1265:
	s_mov_b32 s0, -1
                                        ; implicit-def: $vgpr7
.LBB24_1266:
	s_andn2_b32 vcc_lo, exec_lo, s0
	s_cbranch_vccnz .LBB24_1268
; %bb.1267:
	global_load_dword v7, v[0:1], off
	s_waitcnt vmcnt(0)
	v_cvt_f16_f32_e32 v7, v7
.LBB24_1268:
	s_mov_b32 s0, 0
.LBB24_1269:
	s_andn2_b32 vcc_lo, exec_lo, s0
	s_cbranch_vccnz .LBB24_1271
; %bb.1270:
	global_load_dword v7, v[0:1], off
.LBB24_1271:
	s_mov_b32 s0, 0
.LBB24_1272:
	s_andn2_b32 vcc_lo, exec_lo, s0
	s_cbranch_vccnz .LBB24_1283
; %bb.1273:
	s_cmp_lt_i32 s6, 6
	s_cbranch_scc1 .LBB24_1276
; %bb.1274:
	s_cmp_gt_i32 s6, 6
	s_cbranch_scc0 .LBB24_1277
; %bb.1275:
	global_load_dwordx2 v[7:8], v[0:1], off
	s_mov_b32 s0, 0
	s_waitcnt vmcnt(0)
	v_and_or_b32 v7, 0x1ff, v8, v7
	v_lshrrev_b32_e32 v9, 8, v8
	v_bfe_u32 v10, v8, 20, 11
	v_lshrrev_b32_e32 v8, 16, v8
	v_cmp_ne_u32_e32 vcc_lo, 0, v7
	v_sub_nc_u32_e32 v12, 0x3f1, v10
	v_add_nc_u32_e32 v10, 0xfffffc10, v10
	v_cndmask_b32_e64 v7, 0, 1, vcc_lo
	v_and_or_b32 v7, 0xffe, v9, v7
	v_med3_i32 v9, v12, 0, 13
	v_or_b32_e32 v12, 0x1000, v7
	v_lshrrev_b32_e32 v13, v9, v12
	v_lshlrev_b32_e32 v9, v9, v13
	v_cmp_ne_u32_e32 vcc_lo, v9, v12
	v_lshl_or_b32 v12, v10, 12, v7
	v_cndmask_b32_e64 v9, 0, 1, vcc_lo
	v_cmp_gt_i32_e32 vcc_lo, 1, v10
	v_or_b32_e32 v9, v13, v9
	v_cndmask_b32_e32 v9, v12, v9, vcc_lo
	v_and_b32_e32 v12, 7, v9
	v_lshrrev_b32_e32 v9, 2, v9
	v_cmp_lt_i32_e32 vcc_lo, 5, v12
	v_cndmask_b32_e64 v13, 0, 1, vcc_lo
	v_cmp_eq_u32_e32 vcc_lo, 3, v12
	v_cndmask_b32_e64 v12, 0, 1, vcc_lo
	v_cmp_ne_u32_e32 vcc_lo, 0, v7
	v_or_b32_e32 v12, v12, v13
	v_mov_b32_e32 v13, 0x7e00
	v_add_nc_u32_e32 v9, v9, v12
	v_cndmask_b32_e32 v7, 0x7c00, v13, vcc_lo
	v_cmp_gt_i32_e32 vcc_lo, 31, v10
	v_cndmask_b32_e32 v9, 0x7c00, v9, vcc_lo
	v_cmp_eq_u32_e32 vcc_lo, 0x40f, v10
	v_cndmask_b32_e32 v7, v9, v7, vcc_lo
	v_and_or_b32 v7, 0x8000, v8, v7
	s_branch .LBB24_1278
.LBB24_1276:
	s_mov_b32 s0, -1
                                        ; implicit-def: $vgpr7
	s_branch .LBB24_1281
.LBB24_1277:
	s_mov_b32 s0, -1
                                        ; implicit-def: $vgpr7
.LBB24_1278:
	s_andn2_b32 vcc_lo, exec_lo, s0
	s_cbranch_vccnz .LBB24_1280
; %bb.1279:
	global_load_dword v7, v[0:1], off
	s_waitcnt vmcnt(0)
	v_cvt_f16_f32_e32 v7, v7
.LBB24_1280:
	s_mov_b32 s0, 0
.LBB24_1281:
	s_andn2_b32 vcc_lo, exec_lo, s0
	s_cbranch_vccnz .LBB24_1283
; %bb.1282:
	global_load_ushort v7, v[0:1], off
.LBB24_1283:
	s_cbranch_execnz .LBB24_1303
.LBB24_1284:
	s_cmp_lt_i32 s6, 2
	s_cbranch_scc1 .LBB24_1288
; %bb.1285:
	s_cmp_lt_i32 s6, 3
	s_cbranch_scc1 .LBB24_1289
; %bb.1286:
	s_cmp_gt_i32 s6, 3
	s_cbranch_scc0 .LBB24_1290
; %bb.1287:
	global_load_dwordx2 v[7:8], v[0:1], off
	s_mov_b32 s0, 0
	s_waitcnt vmcnt(0)
	v_xor_b32_e32 v9, v7, v8
	v_ffbh_i32_e32 v10, v8
	v_ashrrev_i32_e32 v9, 31, v9
	v_add_nc_u32_e32 v10, -1, v10
	v_add_nc_u32_e32 v9, 32, v9
	v_min_u32_e32 v9, v10, v9
	v_lshlrev_b64 v[7:8], v9, v[7:8]
	v_min_u32_e32 v7, 1, v7
	v_or_b32_e32 v7, v8, v7
	v_sub_nc_u32_e32 v8, 32, v9
	v_cvt_f32_i32_e32 v7, v7
	v_ldexp_f32 v7, v7, v8
	v_cvt_f16_f32_e32 v7, v7
	s_branch .LBB24_1291
.LBB24_1288:
	s_mov_b32 s0, -1
                                        ; implicit-def: $vgpr7
	s_branch .LBB24_1297
.LBB24_1289:
	s_mov_b32 s0, -1
                                        ; implicit-def: $vgpr7
	s_branch .LBB24_1294
.LBB24_1290:
	s_mov_b32 s0, -1
                                        ; implicit-def: $vgpr7
.LBB24_1291:
	s_andn2_b32 vcc_lo, exec_lo, s0
	s_cbranch_vccnz .LBB24_1293
; %bb.1292:
	global_load_dword v7, v[0:1], off
	s_waitcnt vmcnt(0)
	v_cvt_f32_i32_e32 v7, v7
	v_cvt_f16_f32_e32 v7, v7
.LBB24_1293:
	s_mov_b32 s0, 0
.LBB24_1294:
	s_andn2_b32 vcc_lo, exec_lo, s0
	s_cbranch_vccnz .LBB24_1296
; %bb.1295:
	global_load_ushort v7, v[0:1], off
	s_waitcnt vmcnt(0)
	v_cvt_f16_i16_e32 v7, v7
.LBB24_1296:
	s_mov_b32 s0, 0
.LBB24_1297:
	s_andn2_b32 vcc_lo, exec_lo, s0
	s_cbranch_vccnz .LBB24_1303
; %bb.1298:
	s_cmp_gt_i32 s6, 0
	s_mov_b32 s0, 0
	s_cbranch_scc0 .LBB24_1300
; %bb.1299:
	global_load_sbyte v7, v[0:1], off
	s_waitcnt vmcnt(0)
	v_cvt_f16_i16_e32 v7, v7
	s_branch .LBB24_1301
.LBB24_1300:
	s_mov_b32 s0, -1
                                        ; implicit-def: $vgpr7
.LBB24_1301:
	s_andn2_b32 vcc_lo, exec_lo, s0
	s_cbranch_vccnz .LBB24_1303
; %bb.1302:
	global_load_ubyte v0, v[0:1], off
	s_waitcnt vmcnt(0)
	v_cvt_f16_u16_e32 v7, v0
.LBB24_1303:
.LBB24_1304:
	s_waitcnt vmcnt(0)
	v_cvt_f32_f16_e32 v7, v7
                                        ; implicit-def: $vgpr10
                                        ; implicit-def: $vgpr9
	s_mov_b32 s1, exec_lo
	v_and_b32_e32 v8, 0x7fffffff, v7
	v_cmpx_ngt_f32_e64 0x48000000, |v7|
	s_xor_b32 s13, exec_lo, s1
	s_cbranch_execz .LBB24_1306
; %bb.1305:
	s_mov_b32 s0, 0x7fffff
	v_mov_b32_e32 v10, 0
	v_and_or_b32 v18, v8, s0, 0x800000
	v_mad_u64_u32 v[0:1], null, 0xfe5163ab, v18, 0
	v_mov_b32_e32 v9, v1
	v_lshrrev_b32_e32 v1, 23, v8
	v_mad_u64_u32 v[12:13], null, 0x3c439041, v18, v[9:10]
	v_add_nc_u32_e32 v1, 0xffffff88, v1
	v_cmp_lt_u32_e32 vcc_lo, 63, v1
	v_mov_b32_e32 v9, v13
	v_cndmask_b32_e64 v17, 0, 0xffffffc0, vcc_lo
	v_mad_u64_u32 v[13:14], null, 0xdb629599, v18, v[9:10]
	v_add_nc_u32_e32 v1, v17, v1
	v_mov_b32_e32 v9, v14
	v_cmp_lt_u32_e64 s0, 31, v1
	v_cndmask_b32_e32 v0, v13, v0, vcc_lo
	v_mad_u64_u32 v[14:15], null, 0xf534ddc0, v18, v[9:10]
	v_cndmask_b32_e64 v19, 0, 0xffffffe0, s0
	v_add_nc_u32_e32 v1, v19, v1
	v_mov_b32_e32 v9, v15
	v_cndmask_b32_e32 v12, v14, v12, vcc_lo
	v_cmp_lt_u32_e64 s1, 31, v1
	v_mad_u64_u32 v[15:16], null, 0xfc2757d1, v18, v[9:10]
	v_cndmask_b32_e64 v0, v12, v0, s0
	v_mov_b32_e32 v9, v16
	v_mad_u64_u32 v[16:17], null, 0x4e441529, v18, v[9:10]
	v_mov_b32_e32 v9, v17
	v_cndmask_b32_e64 v17, 0, 0xffffffe0, s1
	v_mad_u64_u32 v[9:10], null, 0xa2f9836e, v18, v[9:10]
	v_cndmask_b32_e32 v18, v16, v14, vcc_lo
	v_add_nc_u32_e32 v1, v17, v1
	v_cndmask_b32_e32 v9, v9, v15, vcc_lo
	v_cndmask_b32_e32 v10, v10, v16, vcc_lo
	;; [unrolled: 1-line block ×3, first 2 shown]
	v_sub_nc_u32_e32 v16, 32, v1
	v_cmp_eq_u32_e32 vcc_lo, 0, v1
	v_cndmask_b32_e64 v14, v9, v18, s0
	v_cndmask_b32_e64 v9, v10, v9, s0
	;; [unrolled: 1-line block ×8, first 2 shown]
	v_alignbit_b32 v17, v9, v14, v16
	v_alignbit_b32 v13, v14, v10, v16
	;; [unrolled: 1-line block ×3, first 2 shown]
	v_cndmask_b32_e32 v1, v17, v9, vcc_lo
	v_cndmask_b32_e32 v9, v13, v14, vcc_lo
	;; [unrolled: 1-line block ×3, first 2 shown]
	v_bfe_u32 v12, v1, 29, 1
	v_alignbit_b32 v13, v1, v9, 30
	v_alignbit_b32 v9, v9, v10, 30
	;; [unrolled: 1-line block ×3, first 2 shown]
	v_sub_nc_u32_e32 v14, 0, v12
	v_xor_b32_e32 v13, v13, v14
	v_xor_b32_e32 v9, v9, v14
	;; [unrolled: 1-line block ×3, first 2 shown]
	v_lshrrev_b32_e32 v14, 29, v1
	v_ffbh_u32_e32 v15, v13
	v_min_u32_e32 v15, 32, v15
	v_sub_nc_u32_e32 v10, 31, v15
	v_lshlrev_b32_e32 v16, 23, v15
	v_alignbit_b32 v13, v13, v9, v10
	v_alignbit_b32 v0, v9, v0, v10
	v_lshlrev_b32_e32 v9, 31, v14
	v_alignbit_b32 v10, v13, v0, 9
	v_or_b32_e32 v14, 0.5, v9
	v_lshrrev_b32_e32 v13, 9, v13
	v_or_b32_e32 v9, 0x33000000, v9
	v_ffbh_u32_e32 v17, v10
	v_sub_nc_u32_e32 v14, v14, v16
	v_min_u32_e32 v16, 32, v17
	v_or_b32_e32 v13, v13, v14
	v_not_b32_e32 v14, v16
	v_mul_f32_e32 v17, 0x3fc90fda, v13
	v_add_lshl_u32 v15, v16, v15, 23
	v_alignbit_b32 v0, v10, v0, v14
	v_fma_f32 v10, 0x3fc90fda, v13, -v17
	v_sub_nc_u32_e32 v9, v9, v15
	v_lshrrev_b32_e32 v0, 9, v0
	v_fmamk_f32 v10, v13, 0x33a22168, v10
	v_or_b32_e32 v0, v9, v0
	v_fmac_f32_e32 v10, 0x3fc90fda, v0
	v_lshrrev_b32_e32 v0, 30, v1
	v_add_f32_e32 v9, v17, v10
	v_add_nc_u32_e32 v10, v12, v0
.LBB24_1306:
	s_andn2_saveexec_b32 s0, s13
; %bb.1307:
	v_mul_f32_e64 v0, 0x3f22f983, |v7|
	v_rndne_f32_e32 v0, v0
	v_fma_f32 v1, 0xbfc90fda, v0, |v7|
	v_cvt_i32_f32_e32 v10, v0
	v_fmamk_f32 v1, v0, 0xb3a22168, v1
	v_fmamk_f32 v9, v0, 0xa7c234c4, v1
; %bb.1308:
	s_or_b32 exec_lo, exec_lo, s0
	v_add_nc_u32_e32 v15, s3, v11
	s_cmp_lt_i32 s6, 11
	v_ashrrev_i32_e32 v1, 31, v15
	v_add_co_u32 v0, vcc_lo, s10, v15
	v_add_co_ci_u32_e64 v1, null, s11, v1, vcc_lo
	s_cbranch_scc1 .LBB24_1315
; %bb.1309:
	s_cmp_gt_i32 s6, 25
	s_mov_b32 s1, 0
	s_cbranch_scc0 .LBB24_1317
; %bb.1310:
	s_cmp_gt_i32 s6, 28
	s_cbranch_scc0 .LBB24_1318
; %bb.1311:
	s_cmp_gt_i32 s6, 43
	;; [unrolled: 3-line block ×3, first 2 shown]
	s_cbranch_scc0 .LBB24_1321
; %bb.1313:
	s_cmp_eq_u32 s6, 46
	s_mov_b32 s14, 0
	s_cbranch_scc0 .LBB24_1322
; %bb.1314:
	global_load_dword v11, v[0:1], off
	s_mov_b32 s0, 0
	s_mov_b32 s13, -1
	s_waitcnt vmcnt(0)
	v_lshlrev_b32_e32 v11, 16, v11
	v_cvt_f16_f32_e32 v11, v11
	s_branch .LBB24_1324
.LBB24_1315:
	s_mov_b32 s13, 0
                                        ; implicit-def: $vgpr11
	s_cbranch_execnz .LBB24_1390
.LBB24_1316:
	s_andn2_b32 vcc_lo, exec_lo, s13
	s_cbranch_vccz .LBB24_1438
	s_branch .LBB24_2007
.LBB24_1317:
	s_mov_b32 s14, -1
	s_mov_b32 s13, 0
	s_mov_b32 s0, 0
                                        ; implicit-def: $vgpr11
	s_branch .LBB24_1353
.LBB24_1318:
	s_mov_b32 s14, -1
	s_mov_b32 s13, 0
	s_mov_b32 s0, 0
                                        ; implicit-def: $vgpr11
	s_branch .LBB24_1334
.LBB24_1319:
	s_mov_b32 s14, -1
	s_mov_b32 s13, 0
	s_mov_b32 s0, 0
                                        ; implicit-def: $vgpr11
	s_branch .LBB24_1329
.LBB24_1320:
	s_or_b32 s5, s5, exec_lo
	s_trap 2
	s_cbranch_execz .LBB24_1255
	s_branch .LBB24_1256
.LBB24_1321:
	s_mov_b32 s14, -1
	s_mov_b32 s13, 0
	s_mov_b32 s0, 0
	s_branch .LBB24_1323
.LBB24_1322:
	s_mov_b32 s0, -1
	s_mov_b32 s13, 0
.LBB24_1323:
                                        ; implicit-def: $vgpr11
.LBB24_1324:
	s_and_b32 vcc_lo, exec_lo, s14
	s_cbranch_vccz .LBB24_1328
; %bb.1325:
	s_cmp_eq_u32 s6, 44
	s_cbranch_scc0 .LBB24_1327
; %bb.1326:
	global_load_ubyte v11, v[0:1], off
	s_mov_b32 s0, 0
	s_mov_b32 s13, -1
	s_waitcnt vmcnt(0)
	v_lshlrev_b32_e32 v12, 23, v11
	v_cmp_ne_u32_e32 vcc_lo, 0xff, v11
	v_cvt_f16_f32_e32 v12, v12
	v_cndmask_b32_e32 v12, 0x7e00, v12, vcc_lo
	v_cmp_ne_u32_e32 vcc_lo, 0, v11
	v_cndmask_b32_e32 v11, 0, v12, vcc_lo
	s_branch .LBB24_1328
.LBB24_1327:
	s_mov_b32 s0, -1
                                        ; implicit-def: $vgpr11
.LBB24_1328:
	s_mov_b32 s14, 0
.LBB24_1329:
	s_and_b32 vcc_lo, exec_lo, s14
	s_cbranch_vccz .LBB24_1333
; %bb.1330:
	s_cmp_eq_u32 s6, 29
	s_cbranch_scc0 .LBB24_1332
; %bb.1331:
	global_load_dwordx2 v[11:12], v[0:1], off
	s_mov_b32 s0, 0
	s_mov_b32 s13, -1
	s_mov_b32 s14, 0
	s_waitcnt vmcnt(0)
	v_ffbh_u32_e32 v13, v12
	v_min_u32_e32 v13, 32, v13
	v_lshlrev_b64 v[11:12], v13, v[11:12]
	v_min_u32_e32 v11, 1, v11
	v_or_b32_e32 v11, v12, v11
	v_sub_nc_u32_e32 v12, 32, v13
	v_cvt_f32_u32_e32 v11, v11
	v_ldexp_f32 v11, v11, v12
	v_cvt_f16_f32_e32 v11, v11
	s_branch .LBB24_1334
.LBB24_1332:
	s_mov_b32 s0, -1
                                        ; implicit-def: $vgpr11
.LBB24_1333:
	s_mov_b32 s14, 0
.LBB24_1334:
	s_and_b32 vcc_lo, exec_lo, s14
	s_cbranch_vccz .LBB24_1352
; %bb.1335:
	s_cmp_lt_i32 s6, 27
	s_cbranch_scc1 .LBB24_1338
; %bb.1336:
	s_cmp_gt_i32 s6, 27
	s_cbranch_scc0 .LBB24_1339
; %bb.1337:
	global_load_dword v11, v[0:1], off
	s_mov_b32 s13, 0
	s_waitcnt vmcnt(0)
	v_cvt_f32_u32_e32 v11, v11
	v_cvt_f16_f32_e32 v11, v11
	s_branch .LBB24_1340
.LBB24_1338:
	s_mov_b32 s13, -1
                                        ; implicit-def: $vgpr11
	s_branch .LBB24_1343
.LBB24_1339:
	s_mov_b32 s13, -1
                                        ; implicit-def: $vgpr11
.LBB24_1340:
	s_andn2_b32 vcc_lo, exec_lo, s13
	s_cbranch_vccnz .LBB24_1342
; %bb.1341:
	global_load_ushort v11, v[0:1], off
	s_waitcnt vmcnt(0)
	v_cvt_f16_u16_e32 v11, v11
.LBB24_1342:
	s_mov_b32 s13, 0
.LBB24_1343:
	s_andn2_b32 vcc_lo, exec_lo, s13
	s_cbranch_vccnz .LBB24_1351
; %bb.1344:
	global_load_ubyte v12, v[0:1], off
	s_mov_b32 s13, 0
	s_mov_b32 s14, exec_lo
	s_waitcnt vmcnt(0)
	v_cmpx_lt_i16_e32 0x7f, v12
	s_xor_b32 s14, exec_lo, s14
	s_cbranch_execz .LBB24_1365
; %bb.1345:
	s_mov_b32 s13, -1
	s_mov_b32 s15, exec_lo
	v_cmpx_eq_u16_e32 0x80, v12
; %bb.1346:
	s_xor_b32 s13, exec_lo, -1
; %bb.1347:
	s_or_b32 exec_lo, exec_lo, s15
	s_and_b32 s13, s13, exec_lo
	s_or_saveexec_b32 s14, s14
	v_mov_b32_e32 v11, 0x7e00
	s_xor_b32 exec_lo, exec_lo, s14
	s_cbranch_execnz .LBB24_1366
.LBB24_1348:
	s_or_b32 exec_lo, exec_lo, s14
	s_and_saveexec_b32 s14, s13
	s_cbranch_execz .LBB24_1350
.LBB24_1349:
	v_and_b32_e32 v11, 0xffff, v12
	v_lshlrev_b32_e32 v12, 24, v12
	v_and_b32_e32 v13, 7, v11
	v_bfe_u32 v17, v11, 3, 4
	v_and_b32_e32 v12, 0x80000000, v12
	v_ffbh_u32_e32 v14, v13
	v_cmp_eq_u32_e32 vcc_lo, 0, v17
	v_min_u32_e32 v14, 32, v14
	v_subrev_nc_u32_e32 v16, 28, v14
	v_sub_nc_u32_e32 v14, 29, v14
	v_lshlrev_b32_e32 v11, v16, v11
	v_cndmask_b32_e32 v14, v17, v14, vcc_lo
	v_and_b32_e32 v11, 7, v11
	v_cndmask_b32_e32 v11, v13, v11, vcc_lo
	v_lshl_add_u32 v13, v14, 23, 0x3b800000
	v_lshlrev_b32_e32 v11, 20, v11
	v_or3_b32 v11, v12, v13, v11
	v_cvt_f16_f32_e32 v11, v11
.LBB24_1350:
	s_or_b32 exec_lo, exec_lo, s14
.LBB24_1351:
	s_mov_b32 s13, -1
.LBB24_1352:
	s_mov_b32 s14, 0
.LBB24_1353:
	s_and_b32 vcc_lo, exec_lo, s14
	s_cbranch_vccz .LBB24_1386
; %bb.1354:
	s_cmp_gt_i32 s6, 22
	s_cbranch_scc0 .LBB24_1364
; %bb.1355:
	s_cmp_lt_i32 s6, 24
	s_cbranch_scc1 .LBB24_1367
; %bb.1356:
	s_cmp_gt_i32 s6, 24
	s_cbranch_scc0 .LBB24_1368
; %bb.1357:
	global_load_ubyte v12, v[0:1], off
	s_mov_b32 s13, exec_lo
	s_waitcnt vmcnt(0)
	v_cmpx_lt_i16_e32 0x7f, v12
	s_xor_b32 s13, exec_lo, s13
	s_cbranch_execz .LBB24_1380
; %bb.1358:
	s_mov_b32 s1, -1
	s_mov_b32 s14, exec_lo
	v_cmpx_eq_u16_e32 0x80, v12
; %bb.1359:
	s_xor_b32 s1, exec_lo, -1
; %bb.1360:
	s_or_b32 exec_lo, exec_lo, s14
	s_and_b32 s1, s1, exec_lo
	s_or_saveexec_b32 s13, s13
	v_mov_b32_e32 v11, 0x7e00
	s_xor_b32 exec_lo, exec_lo, s13
	s_cbranch_execnz .LBB24_1381
.LBB24_1361:
	s_or_b32 exec_lo, exec_lo, s13
	s_and_saveexec_b32 s13, s1
	s_cbranch_execz .LBB24_1363
.LBB24_1362:
	v_and_b32_e32 v11, 0xffff, v12
	v_lshlrev_b32_e32 v12, 24, v12
	v_and_b32_e32 v13, 3, v11
	v_bfe_u32 v17, v11, 2, 5
	v_and_b32_e32 v12, 0x80000000, v12
	v_ffbh_u32_e32 v14, v13
	v_cmp_eq_u32_e32 vcc_lo, 0, v17
	v_min_u32_e32 v14, 32, v14
	v_subrev_nc_u32_e32 v16, 29, v14
	v_sub_nc_u32_e32 v14, 30, v14
	v_lshlrev_b32_e32 v11, v16, v11
	v_cndmask_b32_e32 v14, v17, v14, vcc_lo
	v_and_b32_e32 v11, 3, v11
	v_cndmask_b32_e32 v11, v13, v11, vcc_lo
	v_lshl_add_u32 v13, v14, 23, 0x37800000
	v_lshlrev_b32_e32 v11, 21, v11
	v_or3_b32 v11, v12, v13, v11
	v_cvt_f16_f32_e32 v11, v11
.LBB24_1363:
	s_or_b32 exec_lo, exec_lo, s13
	s_mov_b32 s1, 0
	s_branch .LBB24_1369
.LBB24_1364:
	s_mov_b32 s1, -1
                                        ; implicit-def: $vgpr11
	s_branch .LBB24_1375
.LBB24_1365:
	s_or_saveexec_b32 s14, s14
	v_mov_b32_e32 v11, 0x7e00
	s_xor_b32 exec_lo, exec_lo, s14
	s_cbranch_execz .LBB24_1348
.LBB24_1366:
	v_cmp_ne_u16_e32 vcc_lo, 0, v12
	v_mov_b32_e32 v11, v12
	s_andn2_b32 s13, s13, exec_lo
	s_and_b32 s15, vcc_lo, exec_lo
	s_or_b32 s13, s13, s15
	s_or_b32 exec_lo, exec_lo, s14
	s_and_saveexec_b32 s14, s13
	s_cbranch_execnz .LBB24_1349
	s_branch .LBB24_1350
.LBB24_1367:
	s_mov_b32 s1, -1
                                        ; implicit-def: $vgpr11
	s_branch .LBB24_1372
.LBB24_1368:
	s_mov_b32 s1, -1
                                        ; implicit-def: $vgpr11
.LBB24_1369:
	s_and_b32 vcc_lo, exec_lo, s1
	s_cbranch_vccz .LBB24_1371
; %bb.1370:
	global_load_ubyte v11, v[0:1], off
	s_waitcnt vmcnt(0)
	v_lshlrev_b32_e32 v11, 24, v11
	v_and_b32_e32 v12, 0x7f000000, v11
	v_ffbh_u32_e32 v13, v12
	v_add_nc_u32_e32 v16, 0x1000000, v12
	v_cmp_ne_u32_e32 vcc_lo, 0, v12
	v_min_u32_e32 v13, 32, v13
	v_sub_nc_u32_e64 v13, v13, 4 clamp
	v_lshlrev_b32_e32 v14, v13, v12
	v_lshlrev_b32_e32 v13, 23, v13
	v_lshrrev_b32_e32 v14, 4, v14
	v_sub_nc_u32_e32 v13, v14, v13
	v_ashrrev_i32_e32 v14, 8, v16
	v_add_nc_u32_e32 v13, 0x3c000000, v13
	v_and_or_b32 v13, 0x7f800000, v14, v13
	v_cndmask_b32_e32 v12, 0, v13, vcc_lo
	v_and_or_b32 v11, 0x80000000, v11, v12
	v_cvt_f16_f32_e32 v11, v11
.LBB24_1371:
	s_mov_b32 s1, 0
.LBB24_1372:
	s_andn2_b32 vcc_lo, exec_lo, s1
	s_cbranch_vccnz .LBB24_1374
; %bb.1373:
	global_load_ubyte v11, v[0:1], off
	s_waitcnt vmcnt(0)
	v_lshlrev_b32_e32 v12, 25, v11
	v_lshlrev_b16 v11, 8, v11
	v_lshrrev_b32_e32 v13, 4, v12
	v_and_or_b32 v14, 0x7f00, v11, 0.5
	v_cmp_gt_u32_e32 vcc_lo, 0x8000000, v12
	v_bfe_i32 v11, v11, 0, 16
	v_or_b32_e32 v13, 0x70000000, v13
	v_add_f32_e32 v14, -0.5, v14
	v_mul_f32_e32 v13, 0x7800000, v13
	v_cndmask_b32_e32 v12, v13, v14, vcc_lo
	v_and_or_b32 v11, 0x80000000, v11, v12
	v_cvt_f16_f32_e32 v11, v11
.LBB24_1374:
	s_mov_b32 s1, 0
	s_mov_b32 s13, -1
.LBB24_1375:
	s_andn2_b32 vcc_lo, exec_lo, s1
	s_mov_b32 s1, 0
	s_cbranch_vccnz .LBB24_1386
; %bb.1376:
	s_cmp_gt_i32 s6, 14
	s_cbranch_scc0 .LBB24_1379
; %bb.1377:
	s_cmp_eq_u32 s6, 15
	s_cbranch_scc0 .LBB24_1382
; %bb.1378:
	global_load_ushort v11, v[0:1], off
	s_mov_b32 s0, 0
	s_mov_b32 s13, -1
	s_waitcnt vmcnt(0)
	v_lshlrev_b32_e32 v11, 16, v11
	v_cvt_f16_f32_e32 v11, v11
	s_branch .LBB24_1384
.LBB24_1379:
	s_mov_b32 s1, -1
	s_branch .LBB24_1383
.LBB24_1380:
	s_or_saveexec_b32 s13, s13
	v_mov_b32_e32 v11, 0x7e00
	s_xor_b32 exec_lo, exec_lo, s13
	s_cbranch_execz .LBB24_1361
.LBB24_1381:
	v_cmp_ne_u16_e32 vcc_lo, 0, v12
	v_mov_b32_e32 v11, v12
	s_andn2_b32 s1, s1, exec_lo
	s_and_b32 s14, vcc_lo, exec_lo
	s_or_b32 s1, s1, s14
	s_or_b32 exec_lo, exec_lo, s13
	s_and_saveexec_b32 s13, s1
	s_cbranch_execnz .LBB24_1362
	s_branch .LBB24_1363
.LBB24_1382:
	s_mov_b32 s0, -1
.LBB24_1383:
                                        ; implicit-def: $vgpr11
.LBB24_1384:
	s_and_b32 vcc_lo, exec_lo, s1
	s_mov_b32 s1, 0
	s_cbranch_vccz .LBB24_1386
; %bb.1385:
	s_cmp_lg_u32 s6, 11
	s_mov_b32 s1, -1
	s_cselect_b32 s0, -1, 0
.LBB24_1386:
	s_and_b32 vcc_lo, exec_lo, s0
	s_cbranch_vccnz .LBB24_1453
; %bb.1387:
	s_andn2_b32 vcc_lo, exec_lo, s1
	s_cbranch_vccnz .LBB24_1389
.LBB24_1388:
	global_load_ubyte v11, v[0:1], off
	s_mov_b32 s13, -1
	s_waitcnt vmcnt(0)
	v_cmp_ne_u16_e32 vcc_lo, 0, v11
	v_cndmask_b32_e64 v11, 0, 0x3c00, vcc_lo
.LBB24_1389:
	s_branch .LBB24_1316
.LBB24_1390:
	s_cmp_lt_i32 s6, 5
	s_cbranch_scc1 .LBB24_1395
; %bb.1391:
	s_cmp_lt_i32 s6, 8
	s_cbranch_scc1 .LBB24_1396
; %bb.1392:
	;; [unrolled: 3-line block ×3, first 2 shown]
	s_cmp_gt_i32 s6, 9
	s_cbranch_scc0 .LBB24_1398
; %bb.1394:
	global_load_dwordx2 v[11:12], v[0:1], off
	s_mov_b32 s0, 0
	s_waitcnt vmcnt(0)
	v_and_or_b32 v11, 0x1ff, v12, v11
	v_lshrrev_b32_e32 v13, 8, v12
	v_bfe_u32 v14, v12, 20, 11
	v_lshrrev_b32_e32 v12, 16, v12
	v_cmp_ne_u32_e32 vcc_lo, 0, v11
	v_sub_nc_u32_e32 v16, 0x3f1, v14
	v_add_nc_u32_e32 v14, 0xfffffc10, v14
	v_cndmask_b32_e64 v11, 0, 1, vcc_lo
	v_and_or_b32 v11, 0xffe, v13, v11
	v_med3_i32 v13, v16, 0, 13
	v_or_b32_e32 v16, 0x1000, v11
	v_lshrrev_b32_e32 v17, v13, v16
	v_lshlrev_b32_e32 v13, v13, v17
	v_cmp_ne_u32_e32 vcc_lo, v13, v16
	v_lshl_or_b32 v16, v14, 12, v11
	v_cndmask_b32_e64 v13, 0, 1, vcc_lo
	v_cmp_gt_i32_e32 vcc_lo, 1, v14
	v_or_b32_e32 v13, v17, v13
	v_cndmask_b32_e32 v13, v16, v13, vcc_lo
	v_and_b32_e32 v16, 7, v13
	v_lshrrev_b32_e32 v13, 2, v13
	v_cmp_lt_i32_e32 vcc_lo, 5, v16
	v_cndmask_b32_e64 v17, 0, 1, vcc_lo
	v_cmp_eq_u32_e32 vcc_lo, 3, v16
	v_cndmask_b32_e64 v16, 0, 1, vcc_lo
	v_cmp_ne_u32_e32 vcc_lo, 0, v11
	v_or_b32_e32 v16, v16, v17
	v_mov_b32_e32 v17, 0x7e00
	v_add_nc_u32_e32 v13, v13, v16
	v_cndmask_b32_e32 v11, 0x7c00, v17, vcc_lo
	v_cmp_gt_i32_e32 vcc_lo, 31, v14
	v_cndmask_b32_e32 v13, 0x7c00, v13, vcc_lo
	v_cmp_eq_u32_e32 vcc_lo, 0x40f, v14
	v_cndmask_b32_e32 v11, v13, v11, vcc_lo
	v_and_or_b32 v11, 0x8000, v12, v11
	s_branch .LBB24_1399
.LBB24_1395:
	s_mov_b32 s0, -1
                                        ; implicit-def: $vgpr11
	s_branch .LBB24_1417
.LBB24_1396:
	s_mov_b32 s0, -1
                                        ; implicit-def: $vgpr11
	s_branch .LBB24_1405
.LBB24_1397:
	s_mov_b32 s0, -1
                                        ; implicit-def: $vgpr11
	s_branch .LBB24_1402
.LBB24_1398:
	s_mov_b32 s0, -1
                                        ; implicit-def: $vgpr11
.LBB24_1399:
	s_andn2_b32 vcc_lo, exec_lo, s0
	s_cbranch_vccnz .LBB24_1401
; %bb.1400:
	global_load_dword v11, v[0:1], off
	s_waitcnt vmcnt(0)
	v_cvt_f16_f32_e32 v11, v11
.LBB24_1401:
	s_mov_b32 s0, 0
.LBB24_1402:
	s_andn2_b32 vcc_lo, exec_lo, s0
	s_cbranch_vccnz .LBB24_1404
; %bb.1403:
	global_load_dword v11, v[0:1], off
.LBB24_1404:
	s_mov_b32 s0, 0
.LBB24_1405:
	s_andn2_b32 vcc_lo, exec_lo, s0
	s_cbranch_vccnz .LBB24_1416
; %bb.1406:
	s_cmp_lt_i32 s6, 6
	s_cbranch_scc1 .LBB24_1409
; %bb.1407:
	s_cmp_gt_i32 s6, 6
	s_cbranch_scc0 .LBB24_1410
; %bb.1408:
	global_load_dwordx2 v[11:12], v[0:1], off
	s_mov_b32 s0, 0
	s_waitcnt vmcnt(0)
	v_and_or_b32 v11, 0x1ff, v12, v11
	v_lshrrev_b32_e32 v13, 8, v12
	v_bfe_u32 v14, v12, 20, 11
	v_lshrrev_b32_e32 v12, 16, v12
	v_cmp_ne_u32_e32 vcc_lo, 0, v11
	v_sub_nc_u32_e32 v16, 0x3f1, v14
	v_add_nc_u32_e32 v14, 0xfffffc10, v14
	v_cndmask_b32_e64 v11, 0, 1, vcc_lo
	v_and_or_b32 v11, 0xffe, v13, v11
	v_med3_i32 v13, v16, 0, 13
	v_or_b32_e32 v16, 0x1000, v11
	v_lshrrev_b32_e32 v17, v13, v16
	v_lshlrev_b32_e32 v13, v13, v17
	v_cmp_ne_u32_e32 vcc_lo, v13, v16
	v_lshl_or_b32 v16, v14, 12, v11
	v_cndmask_b32_e64 v13, 0, 1, vcc_lo
	v_cmp_gt_i32_e32 vcc_lo, 1, v14
	v_or_b32_e32 v13, v17, v13
	v_cndmask_b32_e32 v13, v16, v13, vcc_lo
	v_and_b32_e32 v16, 7, v13
	v_lshrrev_b32_e32 v13, 2, v13
	v_cmp_lt_i32_e32 vcc_lo, 5, v16
	v_cndmask_b32_e64 v17, 0, 1, vcc_lo
	v_cmp_eq_u32_e32 vcc_lo, 3, v16
	v_cndmask_b32_e64 v16, 0, 1, vcc_lo
	v_cmp_ne_u32_e32 vcc_lo, 0, v11
	v_or_b32_e32 v16, v16, v17
	v_mov_b32_e32 v17, 0x7e00
	v_add_nc_u32_e32 v13, v13, v16
	v_cndmask_b32_e32 v11, 0x7c00, v17, vcc_lo
	v_cmp_gt_i32_e32 vcc_lo, 31, v14
	v_cndmask_b32_e32 v13, 0x7c00, v13, vcc_lo
	v_cmp_eq_u32_e32 vcc_lo, 0x40f, v14
	v_cndmask_b32_e32 v11, v13, v11, vcc_lo
	v_and_or_b32 v11, 0x8000, v12, v11
	s_branch .LBB24_1411
.LBB24_1409:
	s_mov_b32 s0, -1
                                        ; implicit-def: $vgpr11
	s_branch .LBB24_1414
.LBB24_1410:
	s_mov_b32 s0, -1
                                        ; implicit-def: $vgpr11
.LBB24_1411:
	s_andn2_b32 vcc_lo, exec_lo, s0
	s_cbranch_vccnz .LBB24_1413
; %bb.1412:
	global_load_dword v11, v[0:1], off
	s_waitcnt vmcnt(0)
	v_cvt_f16_f32_e32 v11, v11
.LBB24_1413:
	s_mov_b32 s0, 0
.LBB24_1414:
	s_andn2_b32 vcc_lo, exec_lo, s0
	s_cbranch_vccnz .LBB24_1416
; %bb.1415:
	global_load_ushort v11, v[0:1], off
.LBB24_1416:
	s_mov_b32 s0, 0
.LBB24_1417:
	s_andn2_b32 vcc_lo, exec_lo, s0
	s_cbranch_vccnz .LBB24_1437
; %bb.1418:
	s_cmp_lt_i32 s6, 2
	s_cbranch_scc1 .LBB24_1422
; %bb.1419:
	s_cmp_lt_i32 s6, 3
	s_cbranch_scc1 .LBB24_1423
; %bb.1420:
	s_cmp_gt_i32 s6, 3
	s_cbranch_scc0 .LBB24_1424
; %bb.1421:
	global_load_dwordx2 v[11:12], v[0:1], off
	s_mov_b32 s0, 0
	s_waitcnt vmcnt(0)
	v_xor_b32_e32 v13, v11, v12
	v_ffbh_i32_e32 v14, v12
	v_ashrrev_i32_e32 v13, 31, v13
	v_add_nc_u32_e32 v14, -1, v14
	v_add_nc_u32_e32 v13, 32, v13
	v_min_u32_e32 v13, v14, v13
	v_lshlrev_b64 v[11:12], v13, v[11:12]
	v_min_u32_e32 v11, 1, v11
	v_or_b32_e32 v11, v12, v11
	v_sub_nc_u32_e32 v12, 32, v13
	v_cvt_f32_i32_e32 v11, v11
	v_ldexp_f32 v11, v11, v12
	v_cvt_f16_f32_e32 v11, v11
	s_branch .LBB24_1425
.LBB24_1422:
	s_mov_b32 s0, -1
                                        ; implicit-def: $vgpr11
	s_branch .LBB24_1431
.LBB24_1423:
	s_mov_b32 s0, -1
                                        ; implicit-def: $vgpr11
	s_branch .LBB24_1428
.LBB24_1424:
	s_mov_b32 s0, -1
                                        ; implicit-def: $vgpr11
.LBB24_1425:
	s_andn2_b32 vcc_lo, exec_lo, s0
	s_cbranch_vccnz .LBB24_1427
; %bb.1426:
	global_load_dword v11, v[0:1], off
	s_waitcnt vmcnt(0)
	v_cvt_f32_i32_e32 v11, v11
	v_cvt_f16_f32_e32 v11, v11
.LBB24_1427:
	s_mov_b32 s0, 0
.LBB24_1428:
	s_andn2_b32 vcc_lo, exec_lo, s0
	s_cbranch_vccnz .LBB24_1430
; %bb.1429:
	global_load_ushort v11, v[0:1], off
	s_waitcnt vmcnt(0)
	v_cvt_f16_i16_e32 v11, v11
.LBB24_1430:
	s_mov_b32 s0, 0
.LBB24_1431:
	s_andn2_b32 vcc_lo, exec_lo, s0
	s_cbranch_vccnz .LBB24_1437
; %bb.1432:
	s_cmp_gt_i32 s6, 0
	s_mov_b32 s0, 0
	s_cbranch_scc0 .LBB24_1434
; %bb.1433:
	global_load_sbyte v11, v[0:1], off
	s_waitcnt vmcnt(0)
	v_cvt_f16_i16_e32 v11, v11
	s_branch .LBB24_1435
.LBB24_1434:
	s_mov_b32 s0, -1
                                        ; implicit-def: $vgpr11
.LBB24_1435:
	s_andn2_b32 vcc_lo, exec_lo, s0
	s_cbranch_vccnz .LBB24_1437
; %bb.1436:
	global_load_ubyte v0, v[0:1], off
	s_waitcnt vmcnt(0)
	v_cvt_f16_u16_e32 v11, v0
.LBB24_1437:
.LBB24_1438:
	s_waitcnt vmcnt(0)
	v_cvt_f32_f16_e32 v11, v11
                                        ; implicit-def: $vgpr14
                                        ; implicit-def: $vgpr13
	s_mov_b32 s1, exec_lo
	v_and_b32_e32 v12, 0x7fffffff, v11
	v_cmpx_ngt_f32_e64 0x48000000, |v11|
	s_xor_b32 s13, exec_lo, s1
	s_cbranch_execz .LBB24_1440
; %bb.1439:
	s_mov_b32 s0, 0x7fffff
	v_mov_b32_e32 v14, 0
	v_and_or_b32 v22, v12, s0, 0x800000
	v_mad_u64_u32 v[0:1], null, 0xfe5163ab, v22, 0
	v_mov_b32_e32 v13, v1
	v_lshrrev_b32_e32 v1, 23, v12
	v_mad_u64_u32 v[16:17], null, 0x3c439041, v22, v[13:14]
	v_add_nc_u32_e32 v1, 0xffffff88, v1
	v_cmp_lt_u32_e32 vcc_lo, 63, v1
	v_mov_b32_e32 v13, v17
	v_cndmask_b32_e64 v21, 0, 0xffffffc0, vcc_lo
	v_mad_u64_u32 v[17:18], null, 0xdb629599, v22, v[13:14]
	v_add_nc_u32_e32 v1, v21, v1
	v_mov_b32_e32 v13, v18
	v_cmp_lt_u32_e64 s0, 31, v1
	v_cndmask_b32_e32 v0, v17, v0, vcc_lo
	v_mad_u64_u32 v[18:19], null, 0xf534ddc0, v22, v[13:14]
	v_cndmask_b32_e64 v23, 0, 0xffffffe0, s0
	v_add_nc_u32_e32 v1, v23, v1
	v_mov_b32_e32 v13, v19
	v_cndmask_b32_e32 v16, v18, v16, vcc_lo
	v_cmp_lt_u32_e64 s1, 31, v1
	v_mad_u64_u32 v[19:20], null, 0xfc2757d1, v22, v[13:14]
	v_cndmask_b32_e64 v0, v16, v0, s0
	v_mov_b32_e32 v13, v20
	v_mad_u64_u32 v[20:21], null, 0x4e441529, v22, v[13:14]
	v_mov_b32_e32 v13, v21
	v_cndmask_b32_e64 v21, 0, 0xffffffe0, s1
	v_mad_u64_u32 v[13:14], null, 0xa2f9836e, v22, v[13:14]
	v_cndmask_b32_e32 v22, v20, v18, vcc_lo
	v_add_nc_u32_e32 v1, v21, v1
	v_cndmask_b32_e32 v13, v13, v19, vcc_lo
	v_cndmask_b32_e32 v14, v14, v20, vcc_lo
	;; [unrolled: 1-line block ×3, first 2 shown]
	v_sub_nc_u32_e32 v20, 32, v1
	v_cmp_eq_u32_e32 vcc_lo, 0, v1
	v_cndmask_b32_e64 v18, v13, v22, s0
	v_cndmask_b32_e64 v13, v14, v13, s0
	;; [unrolled: 1-line block ×8, first 2 shown]
	v_alignbit_b32 v21, v13, v18, v20
	v_alignbit_b32 v17, v18, v14, v20
	;; [unrolled: 1-line block ×3, first 2 shown]
	v_cndmask_b32_e32 v1, v21, v13, vcc_lo
	v_cndmask_b32_e32 v13, v17, v18, vcc_lo
	;; [unrolled: 1-line block ×3, first 2 shown]
	v_bfe_u32 v16, v1, 29, 1
	v_alignbit_b32 v17, v1, v13, 30
	v_alignbit_b32 v13, v13, v14, 30
	;; [unrolled: 1-line block ×3, first 2 shown]
	v_sub_nc_u32_e32 v18, 0, v16
	v_xor_b32_e32 v17, v17, v18
	v_xor_b32_e32 v13, v13, v18
	;; [unrolled: 1-line block ×3, first 2 shown]
	v_lshrrev_b32_e32 v18, 29, v1
	v_ffbh_u32_e32 v19, v17
	v_min_u32_e32 v19, 32, v19
	v_sub_nc_u32_e32 v14, 31, v19
	v_lshlrev_b32_e32 v20, 23, v19
	v_alignbit_b32 v17, v17, v13, v14
	v_alignbit_b32 v0, v13, v0, v14
	v_lshlrev_b32_e32 v13, 31, v18
	v_alignbit_b32 v14, v17, v0, 9
	v_or_b32_e32 v18, 0.5, v13
	v_lshrrev_b32_e32 v17, 9, v17
	v_or_b32_e32 v13, 0x33000000, v13
	v_ffbh_u32_e32 v21, v14
	v_sub_nc_u32_e32 v18, v18, v20
	v_min_u32_e32 v20, 32, v21
	v_or_b32_e32 v17, v17, v18
	v_not_b32_e32 v18, v20
	v_mul_f32_e32 v21, 0x3fc90fda, v17
	v_add_lshl_u32 v19, v20, v19, 23
	v_alignbit_b32 v0, v14, v0, v18
	v_fma_f32 v14, 0x3fc90fda, v17, -v21
	v_sub_nc_u32_e32 v13, v13, v19
	v_lshrrev_b32_e32 v0, 9, v0
	v_fmamk_f32 v14, v17, 0x33a22168, v14
	v_or_b32_e32 v0, v13, v0
	v_fmac_f32_e32 v14, 0x3fc90fda, v0
	v_lshrrev_b32_e32 v0, 30, v1
	v_add_f32_e32 v13, v21, v14
	v_add_nc_u32_e32 v14, v16, v0
.LBB24_1440:
	s_andn2_saveexec_b32 s0, s13
; %bb.1441:
	v_mul_f32_e64 v0, 0x3f22f983, |v11|
	v_rndne_f32_e32 v0, v0
	v_fma_f32 v1, 0xbfc90fda, v0, |v11|
	v_cvt_i32_f32_e32 v14, v0
	v_fmamk_f32 v1, v0, 0xb3a22168, v1
	v_fmamk_f32 v13, v0, 0xa7c234c4, v1
; %bb.1442:
	s_or_b32 exec_lo, exec_lo, s0
	v_add_nc_u32_e32 v0, s3, v15
	s_cmp_lt_i32 s6, 11
	v_ashrrev_i32_e32 v1, 31, v0
	v_add_co_u32 v0, vcc_lo, s10, v0
	v_add_co_ci_u32_e64 v1, null, s11, v1, vcc_lo
	s_cbranch_scc1 .LBB24_1449
; %bb.1443:
	s_cmp_gt_i32 s6, 25
	s_mov_b32 s1, 0
	s_cbranch_scc0 .LBB24_1450
; %bb.1444:
	s_cmp_gt_i32 s6, 28
	s_cbranch_scc0 .LBB24_1451
; %bb.1445:
	s_cmp_gt_i32 s6, 43
	;; [unrolled: 3-line block ×3, first 2 shown]
	s_cbranch_scc0 .LBB24_1454
; %bb.1447:
	s_cmp_eq_u32 s6, 46
	s_mov_b32 s10, 0
	s_cbranch_scc0 .LBB24_1455
; %bb.1448:
	global_load_dword v15, v[0:1], off
	s_mov_b32 s0, 0
	s_mov_b32 s3, -1
	s_waitcnt vmcnt(0)
	v_lshlrev_b32_e32 v15, 16, v15
	v_cvt_f16_f32_e32 v15, v15
	s_branch .LBB24_1457
.LBB24_1449:
	s_mov_b32 s0, -1
	s_mov_b32 s3, 0
                                        ; implicit-def: $vgpr15
	s_branch .LBB24_1523
.LBB24_1450:
	s_mov_b32 s10, -1
	s_mov_b32 s3, 0
	s_mov_b32 s0, 0
                                        ; implicit-def: $vgpr15
	s_branch .LBB24_1486
.LBB24_1451:
	s_mov_b32 s10, -1
	s_mov_b32 s3, 0
	s_mov_b32 s0, 0
                                        ; implicit-def: $vgpr15
	s_branch .LBB24_1467
.LBB24_1452:
	s_mov_b32 s10, -1
	s_mov_b32 s3, 0
	s_mov_b32 s0, 0
                                        ; implicit-def: $vgpr15
	s_branch .LBB24_1462
.LBB24_1453:
	s_or_b32 s5, s5, exec_lo
	s_trap 2
	s_cbranch_execz .LBB24_1388
	s_branch .LBB24_1389
.LBB24_1454:
	s_mov_b32 s10, -1
	s_mov_b32 s3, 0
	s_mov_b32 s0, 0
	s_branch .LBB24_1456
.LBB24_1455:
	s_mov_b32 s0, -1
	s_mov_b32 s3, 0
.LBB24_1456:
                                        ; implicit-def: $vgpr15
.LBB24_1457:
	s_and_b32 vcc_lo, exec_lo, s10
	s_cbranch_vccz .LBB24_1461
; %bb.1458:
	s_cmp_eq_u32 s6, 44
	s_cbranch_scc0 .LBB24_1460
; %bb.1459:
	global_load_ubyte v15, v[0:1], off
	s_mov_b32 s0, 0
	s_mov_b32 s3, -1
	s_waitcnt vmcnt(0)
	v_lshlrev_b32_e32 v16, 23, v15
	v_cmp_ne_u32_e32 vcc_lo, 0xff, v15
	v_cvt_f16_f32_e32 v16, v16
	v_cndmask_b32_e32 v16, 0x7e00, v16, vcc_lo
	v_cmp_ne_u32_e32 vcc_lo, 0, v15
	v_cndmask_b32_e32 v15, 0, v16, vcc_lo
	s_branch .LBB24_1461
.LBB24_1460:
	s_mov_b32 s0, -1
                                        ; implicit-def: $vgpr15
.LBB24_1461:
	s_mov_b32 s10, 0
.LBB24_1462:
	s_and_b32 vcc_lo, exec_lo, s10
	s_cbranch_vccz .LBB24_1466
; %bb.1463:
	s_cmp_eq_u32 s6, 29
	s_cbranch_scc0 .LBB24_1465
; %bb.1464:
	global_load_dwordx2 v[15:16], v[0:1], off
	s_mov_b32 s0, 0
	s_mov_b32 s3, -1
	s_mov_b32 s10, 0
	s_waitcnt vmcnt(0)
	v_ffbh_u32_e32 v17, v16
	v_min_u32_e32 v17, 32, v17
	v_lshlrev_b64 v[15:16], v17, v[15:16]
	v_min_u32_e32 v15, 1, v15
	v_or_b32_e32 v15, v16, v15
	v_sub_nc_u32_e32 v16, 32, v17
	v_cvt_f32_u32_e32 v15, v15
	v_ldexp_f32 v15, v15, v16
	v_cvt_f16_f32_e32 v15, v15
	s_branch .LBB24_1467
.LBB24_1465:
	s_mov_b32 s0, -1
                                        ; implicit-def: $vgpr15
.LBB24_1466:
	s_mov_b32 s10, 0
.LBB24_1467:
	s_and_b32 vcc_lo, exec_lo, s10
	s_cbranch_vccz .LBB24_1485
; %bb.1468:
	s_cmp_lt_i32 s6, 27
	s_cbranch_scc1 .LBB24_1471
; %bb.1469:
	s_cmp_gt_i32 s6, 27
	s_cbranch_scc0 .LBB24_1472
; %bb.1470:
	global_load_dword v15, v[0:1], off
	s_mov_b32 s3, 0
	s_waitcnt vmcnt(0)
	v_cvt_f32_u32_e32 v15, v15
	v_cvt_f16_f32_e32 v15, v15
	s_branch .LBB24_1473
.LBB24_1471:
	s_mov_b32 s3, -1
                                        ; implicit-def: $vgpr15
	s_branch .LBB24_1476
.LBB24_1472:
	s_mov_b32 s3, -1
                                        ; implicit-def: $vgpr15
.LBB24_1473:
	s_andn2_b32 vcc_lo, exec_lo, s3
	s_cbranch_vccnz .LBB24_1475
; %bb.1474:
	global_load_ushort v15, v[0:1], off
	s_waitcnt vmcnt(0)
	v_cvt_f16_u16_e32 v15, v15
.LBB24_1475:
	s_mov_b32 s3, 0
.LBB24_1476:
	s_andn2_b32 vcc_lo, exec_lo, s3
	s_cbranch_vccnz .LBB24_1484
; %bb.1477:
	global_load_ubyte v16, v[0:1], off
	s_mov_b32 s3, 0
	s_mov_b32 s10, exec_lo
	s_waitcnt vmcnt(0)
	v_cmpx_lt_i16_e32 0x7f, v16
	s_xor_b32 s10, exec_lo, s10
	s_cbranch_execz .LBB24_1498
; %bb.1478:
	s_mov_b32 s3, -1
	s_mov_b32 s11, exec_lo
	v_cmpx_eq_u16_e32 0x80, v16
; %bb.1479:
	s_xor_b32 s3, exec_lo, -1
; %bb.1480:
	s_or_b32 exec_lo, exec_lo, s11
	s_and_b32 s3, s3, exec_lo
	s_or_saveexec_b32 s10, s10
	v_mov_b32_e32 v15, 0x7e00
	s_xor_b32 exec_lo, exec_lo, s10
	s_cbranch_execnz .LBB24_1499
.LBB24_1481:
	s_or_b32 exec_lo, exec_lo, s10
	s_and_saveexec_b32 s10, s3
	s_cbranch_execz .LBB24_1483
.LBB24_1482:
	v_and_b32_e32 v15, 0xffff, v16
	v_lshlrev_b32_e32 v16, 24, v16
	v_and_b32_e32 v17, 7, v15
	v_bfe_u32 v20, v15, 3, 4
	v_and_b32_e32 v16, 0x80000000, v16
	v_ffbh_u32_e32 v18, v17
	v_cmp_eq_u32_e32 vcc_lo, 0, v20
	v_min_u32_e32 v18, 32, v18
	v_subrev_nc_u32_e32 v19, 28, v18
	v_sub_nc_u32_e32 v18, 29, v18
	v_lshlrev_b32_e32 v15, v19, v15
	v_cndmask_b32_e32 v18, v20, v18, vcc_lo
	v_and_b32_e32 v15, 7, v15
	v_cndmask_b32_e32 v15, v17, v15, vcc_lo
	v_lshl_add_u32 v17, v18, 23, 0x3b800000
	v_lshlrev_b32_e32 v15, 20, v15
	v_or3_b32 v15, v16, v17, v15
	v_cvt_f16_f32_e32 v15, v15
.LBB24_1483:
	s_or_b32 exec_lo, exec_lo, s10
.LBB24_1484:
	s_mov_b32 s3, -1
.LBB24_1485:
	s_mov_b32 s10, 0
.LBB24_1486:
	s_and_b32 vcc_lo, exec_lo, s10
	s_cbranch_vccz .LBB24_1519
; %bb.1487:
	s_cmp_gt_i32 s6, 22
	s_cbranch_scc0 .LBB24_1497
; %bb.1488:
	s_cmp_lt_i32 s6, 24
	s_cbranch_scc1 .LBB24_1500
; %bb.1489:
	s_cmp_gt_i32 s6, 24
	s_cbranch_scc0 .LBB24_1501
; %bb.1490:
	global_load_ubyte v16, v[0:1], off
	s_mov_b32 s3, exec_lo
	s_waitcnt vmcnt(0)
	v_cmpx_lt_i16_e32 0x7f, v16
	s_xor_b32 s3, exec_lo, s3
	s_cbranch_execz .LBB24_1513
; %bb.1491:
	s_mov_b32 s1, -1
	s_mov_b32 s10, exec_lo
	v_cmpx_eq_u16_e32 0x80, v16
; %bb.1492:
	s_xor_b32 s1, exec_lo, -1
; %bb.1493:
	s_or_b32 exec_lo, exec_lo, s10
	s_and_b32 s1, s1, exec_lo
	s_or_saveexec_b32 s3, s3
	v_mov_b32_e32 v15, 0x7e00
	s_xor_b32 exec_lo, exec_lo, s3
	s_cbranch_execnz .LBB24_1514
.LBB24_1494:
	s_or_b32 exec_lo, exec_lo, s3
	s_and_saveexec_b32 s3, s1
	s_cbranch_execz .LBB24_1496
.LBB24_1495:
	v_and_b32_e32 v15, 0xffff, v16
	v_lshlrev_b32_e32 v16, 24, v16
	v_and_b32_e32 v17, 3, v15
	v_bfe_u32 v20, v15, 2, 5
	v_and_b32_e32 v16, 0x80000000, v16
	v_ffbh_u32_e32 v18, v17
	v_cmp_eq_u32_e32 vcc_lo, 0, v20
	v_min_u32_e32 v18, 32, v18
	v_subrev_nc_u32_e32 v19, 29, v18
	v_sub_nc_u32_e32 v18, 30, v18
	v_lshlrev_b32_e32 v15, v19, v15
	v_cndmask_b32_e32 v18, v20, v18, vcc_lo
	v_and_b32_e32 v15, 3, v15
	v_cndmask_b32_e32 v15, v17, v15, vcc_lo
	v_lshl_add_u32 v17, v18, 23, 0x37800000
	v_lshlrev_b32_e32 v15, 21, v15
	v_or3_b32 v15, v16, v17, v15
	v_cvt_f16_f32_e32 v15, v15
.LBB24_1496:
	s_or_b32 exec_lo, exec_lo, s3
	s_mov_b32 s1, 0
	s_branch .LBB24_1502
.LBB24_1497:
	s_mov_b32 s1, -1
                                        ; implicit-def: $vgpr15
	s_branch .LBB24_1508
.LBB24_1498:
	s_or_saveexec_b32 s10, s10
	v_mov_b32_e32 v15, 0x7e00
	s_xor_b32 exec_lo, exec_lo, s10
	s_cbranch_execz .LBB24_1481
.LBB24_1499:
	v_cmp_ne_u16_e32 vcc_lo, 0, v16
	v_mov_b32_e32 v15, v16
	s_andn2_b32 s3, s3, exec_lo
	s_and_b32 s11, vcc_lo, exec_lo
	s_or_b32 s3, s3, s11
	s_or_b32 exec_lo, exec_lo, s10
	s_and_saveexec_b32 s10, s3
	s_cbranch_execnz .LBB24_1482
	s_branch .LBB24_1483
.LBB24_1500:
	s_mov_b32 s1, -1
                                        ; implicit-def: $vgpr15
	s_branch .LBB24_1505
.LBB24_1501:
	s_mov_b32 s1, -1
                                        ; implicit-def: $vgpr15
.LBB24_1502:
	s_and_b32 vcc_lo, exec_lo, s1
	s_cbranch_vccz .LBB24_1504
; %bb.1503:
	global_load_ubyte v15, v[0:1], off
	s_waitcnt vmcnt(0)
	v_lshlrev_b32_e32 v15, 24, v15
	v_and_b32_e32 v16, 0x7f000000, v15
	v_ffbh_u32_e32 v17, v16
	v_add_nc_u32_e32 v19, 0x1000000, v16
	v_cmp_ne_u32_e32 vcc_lo, 0, v16
	v_min_u32_e32 v17, 32, v17
	v_sub_nc_u32_e64 v17, v17, 4 clamp
	v_lshlrev_b32_e32 v18, v17, v16
	v_lshlrev_b32_e32 v17, 23, v17
	v_lshrrev_b32_e32 v18, 4, v18
	v_sub_nc_u32_e32 v17, v18, v17
	v_ashrrev_i32_e32 v18, 8, v19
	v_add_nc_u32_e32 v17, 0x3c000000, v17
	v_and_or_b32 v17, 0x7f800000, v18, v17
	v_cndmask_b32_e32 v16, 0, v17, vcc_lo
	v_and_or_b32 v15, 0x80000000, v15, v16
	v_cvt_f16_f32_e32 v15, v15
.LBB24_1504:
	s_mov_b32 s1, 0
.LBB24_1505:
	s_andn2_b32 vcc_lo, exec_lo, s1
	s_cbranch_vccnz .LBB24_1507
; %bb.1506:
	global_load_ubyte v15, v[0:1], off
	s_waitcnt vmcnt(0)
	v_lshlrev_b32_e32 v16, 25, v15
	v_lshlrev_b16 v15, 8, v15
	v_lshrrev_b32_e32 v17, 4, v16
	v_and_or_b32 v18, 0x7f00, v15, 0.5
	v_cmp_gt_u32_e32 vcc_lo, 0x8000000, v16
	v_bfe_i32 v15, v15, 0, 16
	v_or_b32_e32 v17, 0x70000000, v17
	v_add_f32_e32 v18, -0.5, v18
	v_mul_f32_e32 v17, 0x7800000, v17
	v_cndmask_b32_e32 v16, v17, v18, vcc_lo
	v_and_or_b32 v15, 0x80000000, v15, v16
	v_cvt_f16_f32_e32 v15, v15
.LBB24_1507:
	s_mov_b32 s1, 0
	s_mov_b32 s3, -1
.LBB24_1508:
	s_andn2_b32 vcc_lo, exec_lo, s1
	s_mov_b32 s1, 0
	s_cbranch_vccnz .LBB24_1519
; %bb.1509:
	s_cmp_gt_i32 s6, 14
	s_cbranch_scc0 .LBB24_1512
; %bb.1510:
	s_cmp_eq_u32 s6, 15
	s_cbranch_scc0 .LBB24_1515
; %bb.1511:
	global_load_ushort v15, v[0:1], off
	s_mov_b32 s0, 0
	s_mov_b32 s3, -1
	s_waitcnt vmcnt(0)
	v_lshlrev_b32_e32 v15, 16, v15
	v_cvt_f16_f32_e32 v15, v15
	s_branch .LBB24_1517
.LBB24_1512:
	s_mov_b32 s1, -1
	s_branch .LBB24_1516
.LBB24_1513:
	s_or_saveexec_b32 s3, s3
	v_mov_b32_e32 v15, 0x7e00
	s_xor_b32 exec_lo, exec_lo, s3
	s_cbranch_execz .LBB24_1494
.LBB24_1514:
	v_cmp_ne_u16_e32 vcc_lo, 0, v16
	v_mov_b32_e32 v15, v16
	s_andn2_b32 s1, s1, exec_lo
	s_and_b32 s10, vcc_lo, exec_lo
	s_or_b32 s1, s1, s10
	s_or_b32 exec_lo, exec_lo, s3
	s_and_saveexec_b32 s3, s1
	s_cbranch_execnz .LBB24_1495
	s_branch .LBB24_1496
.LBB24_1515:
	s_mov_b32 s0, -1
.LBB24_1516:
                                        ; implicit-def: $vgpr15
.LBB24_1517:
	s_and_b32 vcc_lo, exec_lo, s1
	s_mov_b32 s1, 0
	s_cbranch_vccz .LBB24_1519
; %bb.1518:
	s_cmp_lg_u32 s6, 11
	s_mov_b32 s1, -1
	s_cselect_b32 s0, -1, 0
.LBB24_1519:
	s_and_b32 vcc_lo, exec_lo, s0
	s_cbranch_vccnz .LBB24_2052
; %bb.1520:
	s_andn2_b32 vcc_lo, exec_lo, s1
	s_cbranch_vccnz .LBB24_1522
.LBB24_1521:
	global_load_ubyte v15, v[0:1], off
	s_mov_b32 s3, -1
	s_waitcnt vmcnt(0)
	v_cmp_ne_u16_e32 vcc_lo, 0, v15
	v_cndmask_b32_e64 v15, 0, 0x3c00, vcc_lo
.LBB24_1522:
	s_mov_b32 s0, 0
.LBB24_1523:
	s_and_b32 vcc_lo, exec_lo, s0
	s_cbranch_vccz .LBB24_1572
; %bb.1524:
	s_cmp_lt_i32 s6, 5
	s_cbranch_scc1 .LBB24_1529
; %bb.1525:
	s_cmp_lt_i32 s6, 8
	s_cbranch_scc1 .LBB24_1530
	;; [unrolled: 3-line block ×3, first 2 shown]
; %bb.1527:
	s_cmp_gt_i32 s6, 9
	s_cbranch_scc0 .LBB24_1532
; %bb.1528:
	global_load_dwordx2 v[15:16], v[0:1], off
	s_mov_b32 s0, 0
	s_waitcnt vmcnt(0)
	v_and_or_b32 v15, 0x1ff, v16, v15
	v_lshrrev_b32_e32 v17, 8, v16
	v_bfe_u32 v18, v16, 20, 11
	v_lshrrev_b32_e32 v16, 16, v16
	v_cmp_ne_u32_e32 vcc_lo, 0, v15
	v_sub_nc_u32_e32 v19, 0x3f1, v18
	v_add_nc_u32_e32 v18, 0xfffffc10, v18
	v_cndmask_b32_e64 v15, 0, 1, vcc_lo
	v_and_or_b32 v15, 0xffe, v17, v15
	v_med3_i32 v17, v19, 0, 13
	v_or_b32_e32 v19, 0x1000, v15
	v_lshrrev_b32_e32 v20, v17, v19
	v_lshlrev_b32_e32 v17, v17, v20
	v_cmp_ne_u32_e32 vcc_lo, v17, v19
	v_lshl_or_b32 v19, v18, 12, v15
	v_cndmask_b32_e64 v17, 0, 1, vcc_lo
	v_cmp_gt_i32_e32 vcc_lo, 1, v18
	v_or_b32_e32 v17, v20, v17
	v_cndmask_b32_e32 v17, v19, v17, vcc_lo
	v_and_b32_e32 v19, 7, v17
	v_lshrrev_b32_e32 v17, 2, v17
	v_cmp_lt_i32_e32 vcc_lo, 5, v19
	v_cndmask_b32_e64 v20, 0, 1, vcc_lo
	v_cmp_eq_u32_e32 vcc_lo, 3, v19
	v_cndmask_b32_e64 v19, 0, 1, vcc_lo
	v_cmp_ne_u32_e32 vcc_lo, 0, v15
	v_or_b32_e32 v19, v19, v20
	v_mov_b32_e32 v20, 0x7e00
	v_add_nc_u32_e32 v17, v17, v19
	v_cndmask_b32_e32 v15, 0x7c00, v20, vcc_lo
	v_cmp_gt_i32_e32 vcc_lo, 31, v18
	v_cndmask_b32_e32 v17, 0x7c00, v17, vcc_lo
	v_cmp_eq_u32_e32 vcc_lo, 0x40f, v18
	v_cndmask_b32_e32 v15, v17, v15, vcc_lo
	v_and_or_b32 v15, 0x8000, v16, v15
	s_branch .LBB24_1533
.LBB24_1529:
	s_mov_b32 s0, -1
                                        ; implicit-def: $vgpr15
	s_branch .LBB24_1551
.LBB24_1530:
	s_mov_b32 s0, -1
                                        ; implicit-def: $vgpr15
	s_branch .LBB24_1539
.LBB24_1531:
	s_mov_b32 s0, -1
                                        ; implicit-def: $vgpr15
	s_branch .LBB24_1536
.LBB24_1532:
	s_mov_b32 s0, -1
                                        ; implicit-def: $vgpr15
.LBB24_1533:
	s_andn2_b32 vcc_lo, exec_lo, s0
	s_cbranch_vccnz .LBB24_1535
; %bb.1534:
	global_load_dword v15, v[0:1], off
	s_waitcnt vmcnt(0)
	v_cvt_f16_f32_e32 v15, v15
.LBB24_1535:
	s_mov_b32 s0, 0
.LBB24_1536:
	s_andn2_b32 vcc_lo, exec_lo, s0
	s_cbranch_vccnz .LBB24_1538
; %bb.1537:
	global_load_dword v15, v[0:1], off
.LBB24_1538:
	s_mov_b32 s0, 0
.LBB24_1539:
	s_andn2_b32 vcc_lo, exec_lo, s0
	s_cbranch_vccnz .LBB24_1550
; %bb.1540:
	s_cmp_lt_i32 s6, 6
	s_cbranch_scc1 .LBB24_1543
; %bb.1541:
	s_cmp_gt_i32 s6, 6
	s_cbranch_scc0 .LBB24_1544
; %bb.1542:
	global_load_dwordx2 v[15:16], v[0:1], off
	s_mov_b32 s0, 0
	s_waitcnt vmcnt(0)
	v_and_or_b32 v15, 0x1ff, v16, v15
	v_lshrrev_b32_e32 v17, 8, v16
	v_bfe_u32 v18, v16, 20, 11
	v_lshrrev_b32_e32 v16, 16, v16
	v_cmp_ne_u32_e32 vcc_lo, 0, v15
	v_sub_nc_u32_e32 v19, 0x3f1, v18
	v_add_nc_u32_e32 v18, 0xfffffc10, v18
	v_cndmask_b32_e64 v15, 0, 1, vcc_lo
	v_and_or_b32 v15, 0xffe, v17, v15
	v_med3_i32 v17, v19, 0, 13
	v_or_b32_e32 v19, 0x1000, v15
	v_lshrrev_b32_e32 v20, v17, v19
	v_lshlrev_b32_e32 v17, v17, v20
	v_cmp_ne_u32_e32 vcc_lo, v17, v19
	v_lshl_or_b32 v19, v18, 12, v15
	v_cndmask_b32_e64 v17, 0, 1, vcc_lo
	v_cmp_gt_i32_e32 vcc_lo, 1, v18
	v_or_b32_e32 v17, v20, v17
	v_cndmask_b32_e32 v17, v19, v17, vcc_lo
	v_and_b32_e32 v19, 7, v17
	v_lshrrev_b32_e32 v17, 2, v17
	v_cmp_lt_i32_e32 vcc_lo, 5, v19
	v_cndmask_b32_e64 v20, 0, 1, vcc_lo
	v_cmp_eq_u32_e32 vcc_lo, 3, v19
	v_cndmask_b32_e64 v19, 0, 1, vcc_lo
	v_cmp_ne_u32_e32 vcc_lo, 0, v15
	v_or_b32_e32 v19, v19, v20
	v_mov_b32_e32 v20, 0x7e00
	v_add_nc_u32_e32 v17, v17, v19
	v_cndmask_b32_e32 v15, 0x7c00, v20, vcc_lo
	v_cmp_gt_i32_e32 vcc_lo, 31, v18
	v_cndmask_b32_e32 v17, 0x7c00, v17, vcc_lo
	v_cmp_eq_u32_e32 vcc_lo, 0x40f, v18
	v_cndmask_b32_e32 v15, v17, v15, vcc_lo
	v_and_or_b32 v15, 0x8000, v16, v15
	s_branch .LBB24_1545
.LBB24_1543:
	s_mov_b32 s0, -1
                                        ; implicit-def: $vgpr15
	s_branch .LBB24_1548
.LBB24_1544:
	s_mov_b32 s0, -1
                                        ; implicit-def: $vgpr15
.LBB24_1545:
	s_andn2_b32 vcc_lo, exec_lo, s0
	s_cbranch_vccnz .LBB24_1547
; %bb.1546:
	global_load_dword v15, v[0:1], off
	s_waitcnt vmcnt(0)
	v_cvt_f16_f32_e32 v15, v15
.LBB24_1547:
	s_mov_b32 s0, 0
.LBB24_1548:
	s_andn2_b32 vcc_lo, exec_lo, s0
	s_cbranch_vccnz .LBB24_1550
; %bb.1549:
	global_load_ushort v15, v[0:1], off
.LBB24_1550:
	s_mov_b32 s0, 0
.LBB24_1551:
	s_andn2_b32 vcc_lo, exec_lo, s0
	s_cbranch_vccnz .LBB24_1571
; %bb.1552:
	s_cmp_lt_i32 s6, 2
	s_cbranch_scc1 .LBB24_1556
; %bb.1553:
	s_cmp_lt_i32 s6, 3
	s_cbranch_scc1 .LBB24_1557
; %bb.1554:
	s_cmp_gt_i32 s6, 3
	s_cbranch_scc0 .LBB24_1558
; %bb.1555:
	global_load_dwordx2 v[15:16], v[0:1], off
	s_mov_b32 s0, 0
	s_waitcnt vmcnt(0)
	v_xor_b32_e32 v17, v15, v16
	v_ffbh_i32_e32 v18, v16
	v_ashrrev_i32_e32 v17, 31, v17
	v_add_nc_u32_e32 v18, -1, v18
	v_add_nc_u32_e32 v17, 32, v17
	v_min_u32_e32 v17, v18, v17
	v_lshlrev_b64 v[15:16], v17, v[15:16]
	v_min_u32_e32 v15, 1, v15
	v_or_b32_e32 v15, v16, v15
	v_sub_nc_u32_e32 v16, 32, v17
	v_cvt_f32_i32_e32 v15, v15
	v_ldexp_f32 v15, v15, v16
	v_cvt_f16_f32_e32 v15, v15
	s_branch .LBB24_1559
.LBB24_1556:
	s_mov_b32 s0, -1
                                        ; implicit-def: $vgpr15
	s_branch .LBB24_1565
.LBB24_1557:
	s_mov_b32 s0, -1
                                        ; implicit-def: $vgpr15
	s_branch .LBB24_1562
.LBB24_1558:
	s_mov_b32 s0, -1
                                        ; implicit-def: $vgpr15
.LBB24_1559:
	s_andn2_b32 vcc_lo, exec_lo, s0
	s_cbranch_vccnz .LBB24_1561
; %bb.1560:
	global_load_dword v15, v[0:1], off
	s_waitcnt vmcnt(0)
	v_cvt_f32_i32_e32 v15, v15
	v_cvt_f16_f32_e32 v15, v15
.LBB24_1561:
	s_mov_b32 s0, 0
.LBB24_1562:
	s_andn2_b32 vcc_lo, exec_lo, s0
	s_cbranch_vccnz .LBB24_1564
; %bb.1563:
	global_load_ushort v15, v[0:1], off
	s_waitcnt vmcnt(0)
	v_cvt_f16_i16_e32 v15, v15
.LBB24_1564:
	s_mov_b32 s0, 0
.LBB24_1565:
	s_andn2_b32 vcc_lo, exec_lo, s0
	s_cbranch_vccnz .LBB24_1571
; %bb.1566:
	s_cmp_gt_i32 s6, 0
	s_mov_b32 s0, 0
	s_cbranch_scc0 .LBB24_1568
; %bb.1567:
	global_load_sbyte v15, v[0:1], off
	s_waitcnt vmcnt(0)
	v_cvt_f16_i16_e32 v15, v15
	s_branch .LBB24_1569
.LBB24_1568:
	s_mov_b32 s0, -1
                                        ; implicit-def: $vgpr15
.LBB24_1569:
	s_andn2_b32 vcc_lo, exec_lo, s0
	s_cbranch_vccnz .LBB24_1571
; %bb.1570:
	global_load_ubyte v0, v[0:1], off
	s_waitcnt vmcnt(0)
	v_cvt_f16_u16_e32 v15, v0
.LBB24_1571:
	s_mov_b32 s3, -1
.LBB24_1572:
	s_andn2_b32 vcc_lo, exec_lo, s3
	s_cbranch_vccnz .LBB24_2007
; %bb.1573:
	s_waitcnt vmcnt(0)
	v_cvt_f32_f16_e32 v15, v15
                                        ; implicit-def: $vgpr18
                                        ; implicit-def: $vgpr17
	s_mov_b32 s1, exec_lo
	v_and_b32_e32 v16, 0x7fffffff, v15
	v_cmpx_ngt_f32_e64 0x48000000, |v15|
	s_xor_b32 s3, exec_lo, s1
	s_cbranch_execz .LBB24_1575
; %bb.1574:
	s_mov_b32 s0, 0x7fffff
	v_mov_b32_e32 v18, 0
	v_and_or_b32 v25, v16, s0, 0x800000
	v_mad_u64_u32 v[0:1], null, 0xfe5163ab, v25, 0
	v_mov_b32_e32 v17, v1
	v_lshrrev_b32_e32 v1, 23, v16
	v_mad_u64_u32 v[19:20], null, 0x3c439041, v25, v[17:18]
	v_add_nc_u32_e32 v1, 0xffffff88, v1
	v_cmp_lt_u32_e32 vcc_lo, 63, v1
	v_mov_b32_e32 v17, v20
	v_cndmask_b32_e64 v24, 0, 0xffffffc0, vcc_lo
	v_mad_u64_u32 v[20:21], null, 0xdb629599, v25, v[17:18]
	v_add_nc_u32_e32 v1, v24, v1
	v_mov_b32_e32 v17, v21
	v_cmp_lt_u32_e64 s0, 31, v1
	v_cndmask_b32_e32 v0, v20, v0, vcc_lo
	v_mad_u64_u32 v[21:22], null, 0xf534ddc0, v25, v[17:18]
	v_cndmask_b32_e64 v26, 0, 0xffffffe0, s0
	v_add_nc_u32_e32 v1, v26, v1
	v_mov_b32_e32 v17, v22
	v_cndmask_b32_e32 v19, v21, v19, vcc_lo
	v_cmp_lt_u32_e64 s1, 31, v1
	v_mad_u64_u32 v[22:23], null, 0xfc2757d1, v25, v[17:18]
	v_cndmask_b32_e64 v0, v19, v0, s0
	v_mov_b32_e32 v17, v23
	v_mad_u64_u32 v[23:24], null, 0x4e441529, v25, v[17:18]
	v_mov_b32_e32 v17, v24
	v_cndmask_b32_e64 v24, 0, 0xffffffe0, s1
	v_mad_u64_u32 v[17:18], null, 0xa2f9836e, v25, v[17:18]
	v_cndmask_b32_e32 v25, v23, v21, vcc_lo
	v_add_nc_u32_e32 v1, v24, v1
	v_cndmask_b32_e32 v17, v17, v22, vcc_lo
	v_cndmask_b32_e32 v18, v18, v23, vcc_lo
	;; [unrolled: 1-line block ×3, first 2 shown]
	v_sub_nc_u32_e32 v23, 32, v1
	v_cmp_eq_u32_e32 vcc_lo, 0, v1
	v_cndmask_b32_e64 v21, v17, v25, s0
	v_cndmask_b32_e64 v17, v18, v17, s0
	;; [unrolled: 1-line block ×8, first 2 shown]
	v_alignbit_b32 v24, v17, v21, v23
	v_alignbit_b32 v20, v21, v18, v23
	;; [unrolled: 1-line block ×3, first 2 shown]
	v_cndmask_b32_e32 v1, v24, v17, vcc_lo
	v_cndmask_b32_e32 v17, v20, v21, vcc_lo
	;; [unrolled: 1-line block ×3, first 2 shown]
	v_bfe_u32 v19, v1, 29, 1
	v_alignbit_b32 v20, v1, v17, 30
	v_alignbit_b32 v17, v17, v18, 30
	;; [unrolled: 1-line block ×3, first 2 shown]
	v_sub_nc_u32_e32 v21, 0, v19
	v_xor_b32_e32 v20, v20, v21
	v_xor_b32_e32 v17, v17, v21
	;; [unrolled: 1-line block ×3, first 2 shown]
	v_lshrrev_b32_e32 v21, 29, v1
	v_ffbh_u32_e32 v22, v20
	v_min_u32_e32 v22, 32, v22
	v_sub_nc_u32_e32 v18, 31, v22
	v_lshlrev_b32_e32 v23, 23, v22
	v_alignbit_b32 v20, v20, v17, v18
	v_alignbit_b32 v0, v17, v0, v18
	v_lshlrev_b32_e32 v17, 31, v21
	v_alignbit_b32 v18, v20, v0, 9
	v_or_b32_e32 v21, 0.5, v17
	v_lshrrev_b32_e32 v20, 9, v20
	v_or_b32_e32 v17, 0x33000000, v17
	v_ffbh_u32_e32 v24, v18
	v_sub_nc_u32_e32 v21, v21, v23
	v_min_u32_e32 v23, 32, v24
	v_or_b32_e32 v20, v20, v21
	v_not_b32_e32 v21, v23
	v_mul_f32_e32 v24, 0x3fc90fda, v20
	v_add_lshl_u32 v22, v23, v22, 23
	v_alignbit_b32 v0, v18, v0, v21
	v_fma_f32 v18, 0x3fc90fda, v20, -v24
	v_sub_nc_u32_e32 v17, v17, v22
	v_lshrrev_b32_e32 v0, 9, v0
	v_fmamk_f32 v18, v20, 0x33a22168, v18
	v_or_b32_e32 v0, v17, v0
	v_fmac_f32_e32 v18, 0x3fc90fda, v0
	v_lshrrev_b32_e32 v0, 30, v1
	v_add_f32_e32 v17, v24, v18
	v_add_nc_u32_e32 v18, v19, v0
.LBB24_1575:
	s_andn2_saveexec_b32 s0, s3
; %bb.1576:
	v_mul_f32_e64 v0, 0x3f22f983, |v15|
	v_rndne_f32_e32 v0, v0
	v_fma_f32 v1, 0xbfc90fda, v0, |v15|
	v_cvt_i32_f32_e32 v18, v0
	v_fmamk_f32 v1, v0, 0xb3a22168, v1
	v_fmamk_f32 v17, v0, 0xa7c234c4, v1
; %bb.1577:
	s_or_b32 exec_lo, exec_lo, s0
	v_mul_f32_e32 v0, v5, v5
	s_mov_b32 s0, 0xb94c1982
	s_mov_b32 s1, 0x37d75334
	v_and_b32_e32 v20, 1, v6
	v_lshlrev_b32_e32 v6, 30, v6
	v_fmaak_f32 v1, s0, v0, 0x3c0881c4
	v_fmaak_f32 v19, s1, v0, 0xbab64f3b
	v_mul_lo_u32 v2, s2, v2
	v_cmp_eq_u32_e32 vcc_lo, 0, v20
	s_and_b32 s1, s4, 0xff
	v_fmaak_f32 v1, v0, v1, 0xbe2aaa9d
	v_fmaak_f32 v19, v0, v19, 0x3d2aabf7
	s_mov_b32 s6, 0
	s_cmp_lt_i32 s1, 11
	s_mov_b32 s0, -1
	v_mul_f32_e32 v1, v0, v1
	v_fmaak_f32 v19, v0, v19, 0xbf000004
	v_fmac_f32_e32 v5, v5, v1
	v_fma_f32 v0, v0, v19, 1.0
	v_xor_b32_e32 v1, v4, v3
	v_and_b32_e32 v4, 0x80000000, v6
	v_cndmask_b32_e32 v0, v0, v5, vcc_lo
	v_cmp_class_f32_e64 vcc_lo, v3, 0x1f8
	v_xor3_b32 v0, v1, v4, v0
	v_ashrrev_i32_e32 v1, 31, v2
	v_cndmask_b32_e32 v3, 0x7fc00000, v0, vcc_lo
	v_add_co_u32 v0, vcc_lo, s8, v2
	v_add_co_ci_u32_e64 v1, null, s9, v1, vcc_lo
	v_cvt_f16_f32_e32 v3, v3
	s_cbranch_scc1 .LBB24_1656
; %bb.1578:
	s_and_b32 s3, 0xffff, s1
	s_mov_b32 s10, -1
	s_mov_b32 s4, 0
	s_cmp_gt_i32 s3, 25
	s_mov_b32 s0, 0
	s_cbranch_scc0 .LBB24_1611
; %bb.1579:
	s_cmp_gt_i32 s3, 28
	s_cbranch_scc0 .LBB24_1594
; %bb.1580:
	s_cmp_gt_i32 s3, 43
	;; [unrolled: 3-line block ×3, first 2 shown]
	s_cbranch_scc0 .LBB24_1584
; %bb.1582:
	s_mov_b32 s0, -1
	s_mov_b32 s10, 0
	s_cmp_eq_u32 s3, 46
	s_cbranch_scc0 .LBB24_1584
; %bb.1583:
	v_cvt_f32_f16_e32 v4, v3
	v_cmp_o_f16_e32 vcc_lo, v3, v3
	s_mov_b32 s0, 0
	s_mov_b32 s6, -1
	v_bfe_u32 v5, v4, 16, 1
	v_add3_u32 v4, v4, v5, 0x7fff
	v_mov_b32_e32 v5, 0x7fc0
	v_cndmask_b32_sdwa v4, v5, v4, vcc_lo dst_sel:DWORD dst_unused:UNUSED_PAD src0_sel:DWORD src1_sel:WORD_1
	global_store_dword v[0:1], v4, off
.LBB24_1584:
	s_and_b32 vcc_lo, exec_lo, s10
	s_cbranch_vccz .LBB24_1589
; %bb.1585:
	s_cmp_eq_u32 s3, 44
	s_mov_b32 s0, -1
	s_cbranch_scc0 .LBB24_1589
; %bb.1586:
	v_cvt_f32_f16_e32 v4, v3
	v_mov_b32_e32 v5, 0xff
	s_mov_b32 s6, exec_lo
	v_bfe_u32 v6, v4, 23, 8
	v_cmpx_ne_u32_e32 0xff, v6
	s_cbranch_execz .LBB24_1588
; %bb.1587:
	v_and_b32_e32 v5, 0x400000, v4
	v_and_or_b32 v6, 0x3fffff, v4, v6
	v_lshrrev_b32_e32 v4, 23, v4
	v_cmp_ne_u32_e32 vcc_lo, 0, v5
	v_cmp_ne_u32_e64 s0, 0, v6
	s_and_b32 s0, vcc_lo, s0
	v_cndmask_b32_e64 v5, 0, 1, s0
	v_add_nc_u32_e32 v5, v4, v5
.LBB24_1588:
	s_or_b32 exec_lo, exec_lo, s6
	s_mov_b32 s0, 0
	s_mov_b32 s6, -1
	global_store_byte v[0:1], v5, off
.LBB24_1589:
	s_mov_b32 s10, 0
.LBB24_1590:
	s_and_b32 vcc_lo, exec_lo, s10
	s_cbranch_vccz .LBB24_1593
; %bb.1591:
	s_cmp_eq_u32 s3, 29
	s_mov_b32 s0, -1
	s_cbranch_scc0 .LBB24_1593
; %bb.1592:
	v_cvt_f32_f16_e32 v4, v3
	v_mov_b32_e32 v5, 0
	s_mov_b32 s0, 0
	s_mov_b32 s6, -1
	v_cvt_u32_f32_e32 v4, v4
	global_store_dwordx2 v[0:1], v[4:5], off
.LBB24_1593:
	s_mov_b32 s10, 0
.LBB24_1594:
	s_and_b32 vcc_lo, exec_lo, s10
	s_cbranch_vccz .LBB24_1610
; %bb.1595:
	s_cmp_lt_i32 s3, 27
	s_mov_b32 s6, -1
	s_cbranch_scc1 .LBB24_1601
; %bb.1596:
	s_cmp_gt_i32 s3, 27
	s_cbranch_scc0 .LBB24_1598
; %bb.1597:
	v_cvt_f32_f16_e32 v4, v3
	s_mov_b32 s6, 0
	v_cvt_u32_f32_e32 v4, v4
	global_store_dword v[0:1], v4, off
.LBB24_1598:
	s_andn2_b32 vcc_lo, exec_lo, s6
	s_cbranch_vccnz .LBB24_1600
; %bb.1599:
	v_cvt_u16_f16_e32 v4, v3
	global_store_short v[0:1], v4, off
.LBB24_1600:
	s_mov_b32 s6, 0
.LBB24_1601:
	s_andn2_b32 vcc_lo, exec_lo, s6
	s_cbranch_vccnz .LBB24_1609
; %bb.1602:
	v_cvt_f32_f16_e32 v4, v3
	v_mov_b32_e32 v6, 0x80
	s_mov_b32 s6, exec_lo
	v_and_b32_e32 v5, 0x7fffffff, v4
	v_cmpx_gt_u32_e32 0x43800000, v5
	s_cbranch_execz .LBB24_1608
; %bb.1603:
	v_cmp_lt_u32_e32 vcc_lo, 0x3bffffff, v5
	s_mov_b32 s10, 0
                                        ; implicit-def: $vgpr5
	s_and_saveexec_b32 s11, vcc_lo
	s_xor_b32 s11, exec_lo, s11
	s_cbranch_execz .LBB24_2053
; %bb.1604:
	v_bfe_u32 v5, v4, 20, 1
	s_mov_b32 s10, exec_lo
	v_add3_u32 v5, v4, v5, 0x487ffff
	v_lshrrev_b32_e32 v5, 20, v5
	s_andn2_saveexec_b32 s11, s11
	s_cbranch_execnz .LBB24_2054
.LBB24_1605:
	s_or_b32 exec_lo, exec_lo, s11
	v_mov_b32_e32 v6, 0
	s_and_saveexec_b32 s11, s10
.LBB24_1606:
	v_lshrrev_b32_e32 v4, 24, v4
	v_and_or_b32 v6, 0x80, v4, v5
.LBB24_1607:
	s_or_b32 exec_lo, exec_lo, s11
.LBB24_1608:
	s_or_b32 exec_lo, exec_lo, s6
	global_store_byte v[0:1], v6, off
.LBB24_1609:
	s_mov_b32 s6, -1
.LBB24_1610:
	s_mov_b32 s10, 0
.LBB24_1611:
	s_and_b32 vcc_lo, exec_lo, s10
	s_cbranch_vccz .LBB24_1651
; %bb.1612:
	s_cmp_gt_i32 s3, 22
	s_mov_b32 s4, -1
	s_cbranch_scc0 .LBB24_1644
; %bb.1613:
	s_cmp_lt_i32 s3, 24
	s_cbranch_scc1 .LBB24_1633
; %bb.1614:
	s_cmp_gt_i32 s3, 24
	s_cbranch_scc0 .LBB24_1622
; %bb.1615:
	v_cvt_f32_f16_e32 v4, v3
	v_mov_b32_e32 v6, 0x80
	s_mov_b32 s4, exec_lo
	v_and_b32_e32 v5, 0x7fffffff, v4
	v_cmpx_gt_u32_e32 0x47800000, v5
	s_cbranch_execz .LBB24_1621
; %bb.1616:
	v_cmp_lt_u32_e32 vcc_lo, 0x37ffffff, v5
	s_mov_b32 s6, 0
                                        ; implicit-def: $vgpr5
	s_and_saveexec_b32 s10, vcc_lo
	s_xor_b32 s10, exec_lo, s10
	s_cbranch_execz .LBB24_2056
; %bb.1617:
	v_bfe_u32 v5, v4, 21, 1
	s_mov_b32 s6, exec_lo
	v_add3_u32 v5, v4, v5, 0x88fffff
	v_lshrrev_b32_e32 v5, 21, v5
	s_andn2_saveexec_b32 s10, s10
	s_cbranch_execnz .LBB24_2057
.LBB24_1618:
	s_or_b32 exec_lo, exec_lo, s10
	v_mov_b32_e32 v6, 0
	s_and_saveexec_b32 s10, s6
.LBB24_1619:
	v_lshrrev_b32_e32 v4, 24, v4
	v_and_or_b32 v6, 0x80, v4, v5
.LBB24_1620:
	s_or_b32 exec_lo, exec_lo, s10
.LBB24_1621:
	s_or_b32 exec_lo, exec_lo, s4
	s_mov_b32 s4, 0
	global_store_byte v[0:1], v6, off
.LBB24_1622:
	s_and_b32 vcc_lo, exec_lo, s4
	s_cbranch_vccz .LBB24_1632
; %bb.1623:
	v_cvt_f32_f16_e32 v4, v3
	s_mov_b32 s4, exec_lo
                                        ; implicit-def: $vgpr5
	v_and_b32_e32 v6, 0x7fffffff, v4
	v_cmpx_gt_u32_e32 0x43f00000, v6
	s_xor_b32 s4, exec_lo, s4
	s_cbranch_execz .LBB24_1629
; %bb.1624:
	s_mov_b32 s6, exec_lo
                                        ; implicit-def: $vgpr5
	v_cmpx_lt_u32_e32 0x3c7fffff, v6
	s_xor_b32 s6, exec_lo, s6
; %bb.1625:
	v_bfe_u32 v5, v4, 20, 1
	v_add3_u32 v5, v4, v5, 0x407ffff
	v_and_b32_e32 v6, 0xff00000, v5
	v_lshrrev_b32_e32 v5, 20, v5
	v_cmp_ne_u32_e32 vcc_lo, 0x7f00000, v6
	v_cndmask_b32_e32 v5, 0x7e, v5, vcc_lo
; %bb.1626:
	s_andn2_saveexec_b32 s6, s6
; %bb.1627:
	v_add_f32_e64 v5, 0x46800000, |v4|
; %bb.1628:
	s_or_b32 exec_lo, exec_lo, s6
                                        ; implicit-def: $vgpr6
.LBB24_1629:
	s_andn2_saveexec_b32 s4, s4
; %bb.1630:
	v_mov_b32_e32 v5, 0x7f
	v_cmp_lt_u32_e32 vcc_lo, 0x7f800000, v6
	v_cndmask_b32_e32 v5, 0x7e, v5, vcc_lo
; %bb.1631:
	s_or_b32 exec_lo, exec_lo, s4
	v_lshrrev_b32_e32 v4, 24, v4
	v_and_or_b32 v4, 0x80, v4, v5
	global_store_byte v[0:1], v4, off
.LBB24_1632:
	s_mov_b32 s4, 0
.LBB24_1633:
	s_andn2_b32 vcc_lo, exec_lo, s4
	s_cbranch_vccnz .LBB24_1643
; %bb.1634:
	v_cvt_f32_f16_e32 v4, v3
	s_mov_b32 s4, exec_lo
                                        ; implicit-def: $vgpr5
	v_and_b32_e32 v6, 0x7fffffff, v4
	v_cmpx_gt_u32_e32 0x47800000, v6
	s_xor_b32 s4, exec_lo, s4
	s_cbranch_execz .LBB24_1640
; %bb.1635:
	s_mov_b32 s6, exec_lo
                                        ; implicit-def: $vgpr5
	v_cmpx_lt_u32_e32 0x387fffff, v6
	s_xor_b32 s6, exec_lo, s6
; %bb.1636:
	v_bfe_u32 v5, v4, 21, 1
	v_add3_u32 v5, v4, v5, 0x80fffff
	v_lshrrev_b32_e32 v5, 21, v5
; %bb.1637:
	s_andn2_saveexec_b32 s6, s6
; %bb.1638:
	v_add_f32_e64 v5, 0x43000000, |v4|
; %bb.1639:
	s_or_b32 exec_lo, exec_lo, s6
                                        ; implicit-def: $vgpr6
.LBB24_1640:
	s_andn2_saveexec_b32 s4, s4
; %bb.1641:
	v_mov_b32_e32 v5, 0x7f
	v_cmp_lt_u32_e32 vcc_lo, 0x7f800000, v6
	v_cndmask_b32_e32 v5, 0x7c, v5, vcc_lo
; %bb.1642:
	s_or_b32 exec_lo, exec_lo, s4
	v_lshrrev_b32_e32 v4, 24, v4
	v_and_or_b32 v4, 0x80, v4, v5
	global_store_byte v[0:1], v4, off
.LBB24_1643:
	s_mov_b32 s4, 0
	s_mov_b32 s6, -1
.LBB24_1644:
	s_andn2_b32 vcc_lo, exec_lo, s4
	s_mov_b32 s4, 0
	s_cbranch_vccnz .LBB24_1651
; %bb.1645:
	s_cmp_gt_i32 s3, 14
	s_mov_b32 s4, -1
	s_cbranch_scc0 .LBB24_1649
; %bb.1646:
	s_cmp_eq_u32 s3, 15
	s_mov_b32 s0, -1
	s_cbranch_scc0 .LBB24_1648
; %bb.1647:
	v_cvt_f32_f16_e32 v4, v3
	v_cmp_o_f16_e32 vcc_lo, v3, v3
	s_mov_b32 s0, 0
	s_mov_b32 s6, -1
	v_bfe_u32 v5, v4, 16, 1
	v_add3_u32 v4, v4, v5, 0x7fff
	v_mov_b32_e32 v5, 0x7fc0
	v_cndmask_b32_sdwa v4, v5, v4, vcc_lo dst_sel:DWORD dst_unused:UNUSED_PAD src0_sel:DWORD src1_sel:WORD_1
	global_store_short v[0:1], v4, off
.LBB24_1648:
	s_mov_b32 s4, 0
.LBB24_1649:
	s_and_b32 vcc_lo, exec_lo, s4
	s_mov_b32 s4, 0
	s_cbranch_vccz .LBB24_1651
; %bb.1650:
	s_cmp_lg_u32 s3, 11
	s_mov_b32 s4, -1
	s_cselect_b32 s0, -1, 0
.LBB24_1651:
	s_and_b32 vcc_lo, exec_lo, s0
	s_cbranch_vccnz .LBB24_2055
; %bb.1652:
	s_andn2_b32 vcc_lo, exec_lo, s4
	s_cbranch_vccnz .LBB24_1654
.LBB24_1653:
	v_cmp_neq_f16_e32 vcc_lo, 0, v3
	s_mov_b32 s6, -1
	v_cndmask_b32_e64 v4, 0, 1, vcc_lo
	global_store_byte v[0:1], v4, off
.LBB24_1654:
.LBB24_1655:
	s_andn2_b32 vcc_lo, exec_lo, s6
	s_cbranch_vccz .LBB24_1695
	s_branch .LBB24_2007
.LBB24_1656:
	s_and_b32 vcc_lo, exec_lo, s0
	s_cbranch_vccz .LBB24_1655
; %bb.1657:
	s_and_b32 s0, 0xffff, s1
	s_mov_b32 s3, -1
	s_cmp_lt_i32 s0, 5
	s_cbranch_scc1 .LBB24_1678
; %bb.1658:
	s_cmp_lt_i32 s0, 8
	s_cbranch_scc1 .LBB24_1668
; %bb.1659:
	;; [unrolled: 3-line block ×3, first 2 shown]
	s_cmp_gt_i32 s0, 9
	s_cbranch_scc0 .LBB24_1662
; %bb.1661:
	v_cvt_f32_f16_e32 v4, v3
	v_mov_b32_e32 v21, 0
	s_mov_b32 s3, 0
	v_cvt_f64_f32_e32 v[19:20], v4
	v_mov_b32_e32 v22, v21
	global_store_dwordx4 v[0:1], v[19:22], off
.LBB24_1662:
	s_andn2_b32 vcc_lo, exec_lo, s3
	s_cbranch_vccnz .LBB24_1664
; %bb.1663:
	v_cvt_f32_f16_e32 v4, v3
	v_mov_b32_e32 v5, 0
	global_store_dwordx2 v[0:1], v[4:5], off
.LBB24_1664:
	s_mov_b32 s3, 0
.LBB24_1665:
	s_andn2_b32 vcc_lo, exec_lo, s3
	s_cbranch_vccnz .LBB24_1667
; %bb.1666:
	v_and_b32_e32 v4, 0xffff, v3
	global_store_dword v[0:1], v4, off
.LBB24_1667:
	s_mov_b32 s3, 0
.LBB24_1668:
	s_andn2_b32 vcc_lo, exec_lo, s3
	s_cbranch_vccnz .LBB24_1677
; %bb.1669:
	s_cmp_lt_i32 s0, 6
	s_mov_b32 s3, -1
	s_cbranch_scc1 .LBB24_1675
; %bb.1670:
	s_cmp_gt_i32 s0, 6
	s_cbranch_scc0 .LBB24_1672
; %bb.1671:
	v_cvt_f32_f16_e32 v4, v3
	s_mov_b32 s3, 0
	v_cvt_f64_f32_e32 v[4:5], v4
	global_store_dwordx2 v[0:1], v[4:5], off
.LBB24_1672:
	s_andn2_b32 vcc_lo, exec_lo, s3
	s_cbranch_vccnz .LBB24_1674
; %bb.1673:
	v_cvt_f32_f16_e32 v4, v3
	global_store_dword v[0:1], v4, off
.LBB24_1674:
	s_mov_b32 s3, 0
.LBB24_1675:
	s_andn2_b32 vcc_lo, exec_lo, s3
	s_cbranch_vccnz .LBB24_1677
; %bb.1676:
	global_store_short v[0:1], v3, off
.LBB24_1677:
	s_mov_b32 s3, 0
.LBB24_1678:
	s_andn2_b32 vcc_lo, exec_lo, s3
	s_cbranch_vccnz .LBB24_1694
; %bb.1679:
	s_cmp_lt_i32 s0, 2
	s_mov_b32 s3, -1
	s_cbranch_scc1 .LBB24_1689
; %bb.1680:
	s_cmp_lt_i32 s0, 3
	s_cbranch_scc1 .LBB24_1686
; %bb.1681:
	s_cmp_gt_i32 s0, 3
	s_cbranch_scc0 .LBB24_1683
; %bb.1682:
	v_cvt_f32_f16_e32 v4, v3
	s_mov_b32 s3, 0
	v_cvt_i32_f32_e32 v4, v4
	v_ashrrev_i32_e32 v5, 31, v4
	global_store_dwordx2 v[0:1], v[4:5], off
.LBB24_1683:
	s_andn2_b32 vcc_lo, exec_lo, s3
	s_cbranch_vccnz .LBB24_1685
; %bb.1684:
	v_cvt_f32_f16_e32 v4, v3
	v_cvt_i32_f32_e32 v4, v4
	global_store_dword v[0:1], v4, off
.LBB24_1685:
	s_mov_b32 s3, 0
.LBB24_1686:
	s_andn2_b32 vcc_lo, exec_lo, s3
	s_cbranch_vccnz .LBB24_1688
; %bb.1687:
	v_cvt_i16_f16_e32 v4, v3
	global_store_short v[0:1], v4, off
.LBB24_1688:
	s_mov_b32 s3, 0
.LBB24_1689:
	s_andn2_b32 vcc_lo, exec_lo, s3
	s_cbranch_vccnz .LBB24_1694
; %bb.1690:
	s_cmp_gt_i32 s0, 0
	s_mov_b32 s0, -1
	s_cbranch_scc0 .LBB24_1692
; %bb.1691:
	v_cvt_i16_f16_e32 v4, v3
	s_mov_b32 s0, 0
	global_store_byte v[0:1], v4, off
.LBB24_1692:
	s_andn2_b32 vcc_lo, exec_lo, s0
	s_cbranch_vccnz .LBB24_1694
; %bb.1693:
	v_cvt_f32_f16_e32 v3, v3
	v_cvt_i32_f32_e32 v3, v3
	global_store_byte v[0:1], v3, off
.LBB24_1694:
.LBB24_1695:
	v_mul_f32_e32 v0, v9, v9
	s_mov_b32 s0, 0xb94c1982
	s_mov_b32 s3, 0x37d75334
	v_and_b32_e32 v4, 1, v10
	v_lshlrev_b32_e32 v5, 30, v10
	v_fmaak_f32 v1, s0, v0, 0x3c0881c4
	v_fmaak_f32 v3, s3, v0, 0xbab64f3b
	s_lshl_b32 s2, s2, 7
	v_cmp_eq_u32_e32 vcc_lo, 0, v4
	v_add_nc_u32_e32 v2, s2, v2
	v_fmaak_f32 v1, v0, v1, 0xbe2aaa9d
	v_fmaak_f32 v3, v0, v3, 0x3d2aabf7
	s_mov_b32 s6, 0
	s_cmp_lt_i32 s1, 11
	s_mov_b32 s0, -1
	v_mul_f32_e32 v1, v0, v1
	v_fmaak_f32 v3, v0, v3, 0xbf000004
	v_fmac_f32_e32 v9, v9, v1
	v_fma_f32 v0, v0, v3, 1.0
	v_xor_b32_e32 v1, v8, v7
	v_and_b32_e32 v3, 0x80000000, v5
	v_cndmask_b32_e32 v0, v0, v9, vcc_lo
	v_cmp_class_f32_e64 vcc_lo, v7, 0x1f8
	v_xor3_b32 v0, v1, v3, v0
	v_ashrrev_i32_e32 v1, 31, v2
	v_cndmask_b32_e32 v0, 0x7fc00000, v0, vcc_lo
	v_cvt_f16_f32_e32 v3, v0
	v_add_co_u32 v0, vcc_lo, s8, v2
	v_add_co_ci_u32_e64 v1, null, s9, v1, vcc_lo
	s_cbranch_scc1 .LBB24_1774
; %bb.1696:
	s_and_b32 s3, 0xffff, s1
	s_mov_b32 s10, -1
	s_mov_b32 s4, 0
	s_cmp_gt_i32 s3, 25
	s_mov_b32 s0, 0
	s_cbranch_scc0 .LBB24_1729
; %bb.1697:
	s_cmp_gt_i32 s3, 28
	s_cbranch_scc0 .LBB24_1712
; %bb.1698:
	s_cmp_gt_i32 s3, 43
	;; [unrolled: 3-line block ×3, first 2 shown]
	s_cbranch_scc0 .LBB24_1702
; %bb.1700:
	s_mov_b32 s0, -1
	s_mov_b32 s10, 0
	s_cmp_eq_u32 s3, 46
	s_cbranch_scc0 .LBB24_1702
; %bb.1701:
	v_cvt_f32_f16_e32 v4, v3
	v_cmp_o_f16_e32 vcc_lo, v3, v3
	s_mov_b32 s0, 0
	s_mov_b32 s6, -1
	v_bfe_u32 v5, v4, 16, 1
	v_add3_u32 v4, v4, v5, 0x7fff
	v_mov_b32_e32 v5, 0x7fc0
	v_cndmask_b32_sdwa v4, v5, v4, vcc_lo dst_sel:DWORD dst_unused:UNUSED_PAD src0_sel:DWORD src1_sel:WORD_1
	global_store_dword v[0:1], v4, off
.LBB24_1702:
	s_and_b32 vcc_lo, exec_lo, s10
	s_cbranch_vccz .LBB24_1707
; %bb.1703:
	s_cmp_eq_u32 s3, 44
	s_mov_b32 s0, -1
	s_cbranch_scc0 .LBB24_1707
; %bb.1704:
	v_cvt_f32_f16_e32 v4, v3
	v_mov_b32_e32 v5, 0xff
	s_mov_b32 s6, exec_lo
	v_bfe_u32 v6, v4, 23, 8
	v_cmpx_ne_u32_e32 0xff, v6
	s_cbranch_execz .LBB24_1706
; %bb.1705:
	v_and_b32_e32 v5, 0x400000, v4
	v_and_or_b32 v6, 0x3fffff, v4, v6
	v_lshrrev_b32_e32 v4, 23, v4
	v_cmp_ne_u32_e32 vcc_lo, 0, v5
	v_cmp_ne_u32_e64 s0, 0, v6
	s_and_b32 s0, vcc_lo, s0
	v_cndmask_b32_e64 v5, 0, 1, s0
	v_add_nc_u32_e32 v5, v4, v5
.LBB24_1706:
	s_or_b32 exec_lo, exec_lo, s6
	s_mov_b32 s0, 0
	s_mov_b32 s6, -1
	global_store_byte v[0:1], v5, off
.LBB24_1707:
	s_mov_b32 s10, 0
.LBB24_1708:
	s_and_b32 vcc_lo, exec_lo, s10
	s_cbranch_vccz .LBB24_1711
; %bb.1709:
	s_cmp_eq_u32 s3, 29
	s_mov_b32 s0, -1
	s_cbranch_scc0 .LBB24_1711
; %bb.1710:
	v_cvt_f32_f16_e32 v4, v3
	v_mov_b32_e32 v5, 0
	s_mov_b32 s0, 0
	s_mov_b32 s6, -1
	v_cvt_u32_f32_e32 v4, v4
	global_store_dwordx2 v[0:1], v[4:5], off
.LBB24_1711:
	s_mov_b32 s10, 0
.LBB24_1712:
	s_and_b32 vcc_lo, exec_lo, s10
	s_cbranch_vccz .LBB24_1728
; %bb.1713:
	s_cmp_lt_i32 s3, 27
	s_mov_b32 s6, -1
	s_cbranch_scc1 .LBB24_1719
; %bb.1714:
	s_cmp_gt_i32 s3, 27
	s_cbranch_scc0 .LBB24_1716
; %bb.1715:
	v_cvt_f32_f16_e32 v4, v3
	s_mov_b32 s6, 0
	v_cvt_u32_f32_e32 v4, v4
	global_store_dword v[0:1], v4, off
.LBB24_1716:
	s_andn2_b32 vcc_lo, exec_lo, s6
	s_cbranch_vccnz .LBB24_1718
; %bb.1717:
	v_cvt_u16_f16_e32 v4, v3
	global_store_short v[0:1], v4, off
.LBB24_1718:
	s_mov_b32 s6, 0
.LBB24_1719:
	s_andn2_b32 vcc_lo, exec_lo, s6
	s_cbranch_vccnz .LBB24_1727
; %bb.1720:
	v_cvt_f32_f16_e32 v4, v3
	v_mov_b32_e32 v6, 0x80
	s_mov_b32 s6, exec_lo
	v_and_b32_e32 v5, 0x7fffffff, v4
	v_cmpx_gt_u32_e32 0x43800000, v5
	s_cbranch_execz .LBB24_1726
; %bb.1721:
	v_cmp_lt_u32_e32 vcc_lo, 0x3bffffff, v5
	s_mov_b32 s10, 0
                                        ; implicit-def: $vgpr5
	s_and_saveexec_b32 s11, vcc_lo
	s_xor_b32 s11, exec_lo, s11
	s_cbranch_execz .LBB24_2058
; %bb.1722:
	v_bfe_u32 v5, v4, 20, 1
	s_mov_b32 s10, exec_lo
	v_add3_u32 v5, v4, v5, 0x487ffff
	v_lshrrev_b32_e32 v5, 20, v5
	s_andn2_saveexec_b32 s11, s11
	s_cbranch_execnz .LBB24_2059
.LBB24_1723:
	s_or_b32 exec_lo, exec_lo, s11
	v_mov_b32_e32 v6, 0
	s_and_saveexec_b32 s11, s10
.LBB24_1724:
	v_lshrrev_b32_e32 v4, 24, v4
	v_and_or_b32 v6, 0x80, v4, v5
.LBB24_1725:
	s_or_b32 exec_lo, exec_lo, s11
.LBB24_1726:
	s_or_b32 exec_lo, exec_lo, s6
	global_store_byte v[0:1], v6, off
.LBB24_1727:
	s_mov_b32 s6, -1
.LBB24_1728:
	s_mov_b32 s10, 0
.LBB24_1729:
	s_and_b32 vcc_lo, exec_lo, s10
	s_cbranch_vccz .LBB24_1769
; %bb.1730:
	s_cmp_gt_i32 s3, 22
	s_mov_b32 s4, -1
	s_cbranch_scc0 .LBB24_1762
; %bb.1731:
	s_cmp_lt_i32 s3, 24
	s_cbranch_scc1 .LBB24_1751
; %bb.1732:
	s_cmp_gt_i32 s3, 24
	s_cbranch_scc0 .LBB24_1740
; %bb.1733:
	v_cvt_f32_f16_e32 v4, v3
	v_mov_b32_e32 v6, 0x80
	s_mov_b32 s4, exec_lo
	v_and_b32_e32 v5, 0x7fffffff, v4
	v_cmpx_gt_u32_e32 0x47800000, v5
	s_cbranch_execz .LBB24_1739
; %bb.1734:
	v_cmp_lt_u32_e32 vcc_lo, 0x37ffffff, v5
	s_mov_b32 s6, 0
                                        ; implicit-def: $vgpr5
	s_and_saveexec_b32 s10, vcc_lo
	s_xor_b32 s10, exec_lo, s10
	s_cbranch_execz .LBB24_2061
; %bb.1735:
	v_bfe_u32 v5, v4, 21, 1
	s_mov_b32 s6, exec_lo
	v_add3_u32 v5, v4, v5, 0x88fffff
	v_lshrrev_b32_e32 v5, 21, v5
	s_andn2_saveexec_b32 s10, s10
	s_cbranch_execnz .LBB24_2062
.LBB24_1736:
	s_or_b32 exec_lo, exec_lo, s10
	v_mov_b32_e32 v6, 0
	s_and_saveexec_b32 s10, s6
.LBB24_1737:
	v_lshrrev_b32_e32 v4, 24, v4
	v_and_or_b32 v6, 0x80, v4, v5
.LBB24_1738:
	s_or_b32 exec_lo, exec_lo, s10
.LBB24_1739:
	s_or_b32 exec_lo, exec_lo, s4
	s_mov_b32 s4, 0
	global_store_byte v[0:1], v6, off
.LBB24_1740:
	s_and_b32 vcc_lo, exec_lo, s4
	s_cbranch_vccz .LBB24_1750
; %bb.1741:
	v_cvt_f32_f16_e32 v4, v3
	s_mov_b32 s4, exec_lo
                                        ; implicit-def: $vgpr5
	v_and_b32_e32 v6, 0x7fffffff, v4
	v_cmpx_gt_u32_e32 0x43f00000, v6
	s_xor_b32 s4, exec_lo, s4
	s_cbranch_execz .LBB24_1747
; %bb.1742:
	s_mov_b32 s6, exec_lo
                                        ; implicit-def: $vgpr5
	v_cmpx_lt_u32_e32 0x3c7fffff, v6
	s_xor_b32 s6, exec_lo, s6
; %bb.1743:
	v_bfe_u32 v5, v4, 20, 1
	v_add3_u32 v5, v4, v5, 0x407ffff
	v_and_b32_e32 v6, 0xff00000, v5
	v_lshrrev_b32_e32 v5, 20, v5
	v_cmp_ne_u32_e32 vcc_lo, 0x7f00000, v6
	v_cndmask_b32_e32 v5, 0x7e, v5, vcc_lo
; %bb.1744:
	s_andn2_saveexec_b32 s6, s6
; %bb.1745:
	v_add_f32_e64 v5, 0x46800000, |v4|
; %bb.1746:
	s_or_b32 exec_lo, exec_lo, s6
                                        ; implicit-def: $vgpr6
.LBB24_1747:
	s_andn2_saveexec_b32 s4, s4
; %bb.1748:
	v_mov_b32_e32 v5, 0x7f
	v_cmp_lt_u32_e32 vcc_lo, 0x7f800000, v6
	v_cndmask_b32_e32 v5, 0x7e, v5, vcc_lo
; %bb.1749:
	s_or_b32 exec_lo, exec_lo, s4
	v_lshrrev_b32_e32 v4, 24, v4
	v_and_or_b32 v4, 0x80, v4, v5
	global_store_byte v[0:1], v4, off
.LBB24_1750:
	s_mov_b32 s4, 0
.LBB24_1751:
	s_andn2_b32 vcc_lo, exec_lo, s4
	s_cbranch_vccnz .LBB24_1761
; %bb.1752:
	v_cvt_f32_f16_e32 v4, v3
	s_mov_b32 s4, exec_lo
                                        ; implicit-def: $vgpr5
	v_and_b32_e32 v6, 0x7fffffff, v4
	v_cmpx_gt_u32_e32 0x47800000, v6
	s_xor_b32 s4, exec_lo, s4
	s_cbranch_execz .LBB24_1758
; %bb.1753:
	s_mov_b32 s6, exec_lo
                                        ; implicit-def: $vgpr5
	v_cmpx_lt_u32_e32 0x387fffff, v6
	s_xor_b32 s6, exec_lo, s6
; %bb.1754:
	v_bfe_u32 v5, v4, 21, 1
	v_add3_u32 v5, v4, v5, 0x80fffff
	v_lshrrev_b32_e32 v5, 21, v5
; %bb.1755:
	s_andn2_saveexec_b32 s6, s6
; %bb.1756:
	v_add_f32_e64 v5, 0x43000000, |v4|
; %bb.1757:
	s_or_b32 exec_lo, exec_lo, s6
                                        ; implicit-def: $vgpr6
.LBB24_1758:
	s_andn2_saveexec_b32 s4, s4
; %bb.1759:
	v_mov_b32_e32 v5, 0x7f
	v_cmp_lt_u32_e32 vcc_lo, 0x7f800000, v6
	v_cndmask_b32_e32 v5, 0x7c, v5, vcc_lo
; %bb.1760:
	s_or_b32 exec_lo, exec_lo, s4
	v_lshrrev_b32_e32 v4, 24, v4
	v_and_or_b32 v4, 0x80, v4, v5
	global_store_byte v[0:1], v4, off
.LBB24_1761:
	s_mov_b32 s4, 0
	s_mov_b32 s6, -1
.LBB24_1762:
	s_andn2_b32 vcc_lo, exec_lo, s4
	s_mov_b32 s4, 0
	s_cbranch_vccnz .LBB24_1769
; %bb.1763:
	s_cmp_gt_i32 s3, 14
	s_mov_b32 s4, -1
	s_cbranch_scc0 .LBB24_1767
; %bb.1764:
	s_cmp_eq_u32 s3, 15
	s_mov_b32 s0, -1
	s_cbranch_scc0 .LBB24_1766
; %bb.1765:
	v_cvt_f32_f16_e32 v4, v3
	v_cmp_o_f16_e32 vcc_lo, v3, v3
	s_mov_b32 s0, 0
	s_mov_b32 s6, -1
	v_bfe_u32 v5, v4, 16, 1
	v_add3_u32 v4, v4, v5, 0x7fff
	v_mov_b32_e32 v5, 0x7fc0
	v_cndmask_b32_sdwa v4, v5, v4, vcc_lo dst_sel:DWORD dst_unused:UNUSED_PAD src0_sel:DWORD src1_sel:WORD_1
	global_store_short v[0:1], v4, off
.LBB24_1766:
	s_mov_b32 s4, 0
.LBB24_1767:
	s_and_b32 vcc_lo, exec_lo, s4
	s_mov_b32 s4, 0
	s_cbranch_vccz .LBB24_1769
; %bb.1768:
	s_cmp_lg_u32 s3, 11
	s_mov_b32 s4, -1
	s_cselect_b32 s0, -1, 0
.LBB24_1769:
	s_and_b32 vcc_lo, exec_lo, s0
	s_cbranch_vccnz .LBB24_2060
; %bb.1770:
	s_andn2_b32 vcc_lo, exec_lo, s4
	s_cbranch_vccnz .LBB24_1772
.LBB24_1771:
	v_cmp_neq_f16_e32 vcc_lo, 0, v3
	s_mov_b32 s6, -1
	v_cndmask_b32_e64 v4, 0, 1, vcc_lo
	global_store_byte v[0:1], v4, off
.LBB24_1772:
.LBB24_1773:
	s_andn2_b32 vcc_lo, exec_lo, s6
	s_cbranch_vccz .LBB24_1813
	s_branch .LBB24_2007
.LBB24_1774:
	s_and_b32 vcc_lo, exec_lo, s0
	s_cbranch_vccz .LBB24_1773
; %bb.1775:
	s_and_b32 s0, 0xffff, s1
	s_mov_b32 s3, -1
	s_cmp_lt_i32 s0, 5
	s_cbranch_scc1 .LBB24_1796
; %bb.1776:
	s_cmp_lt_i32 s0, 8
	s_cbranch_scc1 .LBB24_1786
; %bb.1777:
	s_cmp_lt_i32 s0, 9
	s_cbranch_scc1 .LBB24_1783
; %bb.1778:
	s_cmp_gt_i32 s0, 9
	s_cbranch_scc0 .LBB24_1780
; %bb.1779:
	v_cvt_f32_f16_e32 v4, v3
	v_mov_b32_e32 v6, 0
	s_mov_b32 s3, 0
	v_cvt_f64_f32_e32 v[4:5], v4
	v_mov_b32_e32 v7, v6
	global_store_dwordx4 v[0:1], v[4:7], off
.LBB24_1780:
	s_andn2_b32 vcc_lo, exec_lo, s3
	s_cbranch_vccnz .LBB24_1782
; %bb.1781:
	v_cvt_f32_f16_e32 v4, v3
	v_mov_b32_e32 v5, 0
	global_store_dwordx2 v[0:1], v[4:5], off
.LBB24_1782:
	s_mov_b32 s3, 0
.LBB24_1783:
	s_andn2_b32 vcc_lo, exec_lo, s3
	s_cbranch_vccnz .LBB24_1785
; %bb.1784:
	v_and_b32_e32 v4, 0xffff, v3
	global_store_dword v[0:1], v4, off
.LBB24_1785:
	s_mov_b32 s3, 0
.LBB24_1786:
	s_andn2_b32 vcc_lo, exec_lo, s3
	s_cbranch_vccnz .LBB24_1795
; %bb.1787:
	s_cmp_lt_i32 s0, 6
	s_mov_b32 s3, -1
	s_cbranch_scc1 .LBB24_1793
; %bb.1788:
	s_cmp_gt_i32 s0, 6
	s_cbranch_scc0 .LBB24_1790
; %bb.1789:
	v_cvt_f32_f16_e32 v4, v3
	s_mov_b32 s3, 0
	v_cvt_f64_f32_e32 v[4:5], v4
	global_store_dwordx2 v[0:1], v[4:5], off
.LBB24_1790:
	s_andn2_b32 vcc_lo, exec_lo, s3
	s_cbranch_vccnz .LBB24_1792
; %bb.1791:
	v_cvt_f32_f16_e32 v4, v3
	global_store_dword v[0:1], v4, off
.LBB24_1792:
	s_mov_b32 s3, 0
.LBB24_1793:
	s_andn2_b32 vcc_lo, exec_lo, s3
	s_cbranch_vccnz .LBB24_1795
; %bb.1794:
	global_store_short v[0:1], v3, off
.LBB24_1795:
	s_mov_b32 s3, 0
.LBB24_1796:
	s_andn2_b32 vcc_lo, exec_lo, s3
	s_cbranch_vccnz .LBB24_1812
; %bb.1797:
	s_cmp_lt_i32 s0, 2
	s_mov_b32 s3, -1
	s_cbranch_scc1 .LBB24_1807
; %bb.1798:
	s_cmp_lt_i32 s0, 3
	s_cbranch_scc1 .LBB24_1804
; %bb.1799:
	s_cmp_gt_i32 s0, 3
	s_cbranch_scc0 .LBB24_1801
; %bb.1800:
	v_cvt_f32_f16_e32 v4, v3
	s_mov_b32 s3, 0
	v_cvt_i32_f32_e32 v4, v4
	v_ashrrev_i32_e32 v5, 31, v4
	global_store_dwordx2 v[0:1], v[4:5], off
.LBB24_1801:
	s_andn2_b32 vcc_lo, exec_lo, s3
	s_cbranch_vccnz .LBB24_1803
; %bb.1802:
	v_cvt_f32_f16_e32 v4, v3
	v_cvt_i32_f32_e32 v4, v4
	global_store_dword v[0:1], v4, off
.LBB24_1803:
	s_mov_b32 s3, 0
.LBB24_1804:
	s_andn2_b32 vcc_lo, exec_lo, s3
	s_cbranch_vccnz .LBB24_1806
; %bb.1805:
	v_cvt_i16_f16_e32 v4, v3
	global_store_short v[0:1], v4, off
.LBB24_1806:
	s_mov_b32 s3, 0
.LBB24_1807:
	s_andn2_b32 vcc_lo, exec_lo, s3
	s_cbranch_vccnz .LBB24_1812
; %bb.1808:
	s_cmp_gt_i32 s0, 0
	s_mov_b32 s0, -1
	s_cbranch_scc0 .LBB24_1810
; %bb.1809:
	v_cvt_i16_f16_e32 v4, v3
	s_mov_b32 s0, 0
	global_store_byte v[0:1], v4, off
.LBB24_1810:
	s_andn2_b32 vcc_lo, exec_lo, s0
	s_cbranch_vccnz .LBB24_1812
; %bb.1811:
	v_cvt_f32_f16_e32 v3, v3
	v_cvt_i32_f32_e32 v3, v3
	global_store_byte v[0:1], v3, off
.LBB24_1812:
.LBB24_1813:
	v_mul_f32_e32 v0, v13, v13
	s_mov_b32 s0, 0xb94c1982
	s_mov_b32 s3, 0x37d75334
	v_and_b32_e32 v4, 1, v14
	v_lshlrev_b32_e32 v5, 30, v14
	v_fmaak_f32 v1, s0, v0, 0x3c0881c4
	v_fmaak_f32 v3, s3, v0, 0xbab64f3b
	v_add_nc_u32_e32 v2, s2, v2
	v_cmp_eq_u32_e32 vcc_lo, 0, v4
	s_mov_b32 s6, 0
	v_fmaak_f32 v1, v0, v1, 0xbe2aaa9d
	v_fmaak_f32 v3, v0, v3, 0x3d2aabf7
	s_cmp_lt_i32 s1, 11
	s_mov_b32 s0, -1
	v_mul_f32_e32 v1, v0, v1
	v_fmaak_f32 v3, v0, v3, 0xbf000004
	v_fmac_f32_e32 v13, v13, v1
	v_fma_f32 v0, v0, v3, 1.0
	v_xor_b32_e32 v1, v12, v11
	v_and_b32_e32 v3, 0x80000000, v5
	v_cndmask_b32_e32 v0, v0, v13, vcc_lo
	v_cmp_class_f32_e64 vcc_lo, v11, 0x1f8
	v_xor3_b32 v0, v1, v3, v0
	v_ashrrev_i32_e32 v1, 31, v2
	v_cndmask_b32_e32 v0, 0x7fc00000, v0, vcc_lo
	v_cvt_f16_f32_e32 v3, v0
	v_add_co_u32 v0, vcc_lo, s8, v2
	v_add_co_ci_u32_e64 v1, null, s9, v1, vcc_lo
	s_cbranch_scc1 .LBB24_1968
; %bb.1814:
	s_and_b32 s3, 0xffff, s1
	s_mov_b32 s10, -1
	s_mov_b32 s4, 0
	s_cmp_gt_i32 s3, 25
	s_mov_b32 s0, 0
	s_cbranch_scc0 .LBB24_1847
; %bb.1815:
	s_cmp_gt_i32 s3, 28
	s_cbranch_scc0 .LBB24_1830
; %bb.1816:
	s_cmp_gt_i32 s3, 43
	;; [unrolled: 3-line block ×3, first 2 shown]
	s_cbranch_scc0 .LBB24_1820
; %bb.1818:
	s_mov_b32 s0, -1
	s_mov_b32 s10, 0
	s_cmp_eq_u32 s3, 46
	s_cbranch_scc0 .LBB24_1820
; %bb.1819:
	v_cvt_f32_f16_e32 v4, v3
	v_cmp_o_f16_e32 vcc_lo, v3, v3
	s_mov_b32 s0, 0
	s_mov_b32 s6, -1
	v_bfe_u32 v5, v4, 16, 1
	v_add3_u32 v4, v4, v5, 0x7fff
	v_mov_b32_e32 v5, 0x7fc0
	v_cndmask_b32_sdwa v4, v5, v4, vcc_lo dst_sel:DWORD dst_unused:UNUSED_PAD src0_sel:DWORD src1_sel:WORD_1
	global_store_dword v[0:1], v4, off
.LBB24_1820:
	s_and_b32 vcc_lo, exec_lo, s10
	s_cbranch_vccz .LBB24_1825
; %bb.1821:
	s_cmp_eq_u32 s3, 44
	s_mov_b32 s0, -1
	s_cbranch_scc0 .LBB24_1825
; %bb.1822:
	v_cvt_f32_f16_e32 v4, v3
	v_mov_b32_e32 v5, 0xff
	s_mov_b32 s6, exec_lo
	v_bfe_u32 v6, v4, 23, 8
	v_cmpx_ne_u32_e32 0xff, v6
	s_cbranch_execz .LBB24_1824
; %bb.1823:
	v_and_b32_e32 v5, 0x400000, v4
	v_and_or_b32 v6, 0x3fffff, v4, v6
	v_lshrrev_b32_e32 v4, 23, v4
	v_cmp_ne_u32_e32 vcc_lo, 0, v5
	v_cmp_ne_u32_e64 s0, 0, v6
	s_and_b32 s0, vcc_lo, s0
	v_cndmask_b32_e64 v5, 0, 1, s0
	v_add_nc_u32_e32 v5, v4, v5
.LBB24_1824:
	s_or_b32 exec_lo, exec_lo, s6
	s_mov_b32 s0, 0
	s_mov_b32 s6, -1
	global_store_byte v[0:1], v5, off
.LBB24_1825:
	s_mov_b32 s10, 0
.LBB24_1826:
	s_and_b32 vcc_lo, exec_lo, s10
	s_cbranch_vccz .LBB24_1829
; %bb.1827:
	s_cmp_eq_u32 s3, 29
	s_mov_b32 s0, -1
	s_cbranch_scc0 .LBB24_1829
; %bb.1828:
	v_cvt_f32_f16_e32 v4, v3
	v_mov_b32_e32 v5, 0
	s_mov_b32 s0, 0
	s_mov_b32 s6, -1
	v_cvt_u32_f32_e32 v4, v4
	global_store_dwordx2 v[0:1], v[4:5], off
.LBB24_1829:
	s_mov_b32 s10, 0
.LBB24_1830:
	s_and_b32 vcc_lo, exec_lo, s10
	s_cbranch_vccz .LBB24_1846
; %bb.1831:
	s_cmp_lt_i32 s3, 27
	s_mov_b32 s6, -1
	s_cbranch_scc1 .LBB24_1837
; %bb.1832:
	s_cmp_gt_i32 s3, 27
	s_cbranch_scc0 .LBB24_1834
; %bb.1833:
	v_cvt_f32_f16_e32 v4, v3
	s_mov_b32 s6, 0
	v_cvt_u32_f32_e32 v4, v4
	global_store_dword v[0:1], v4, off
.LBB24_1834:
	s_andn2_b32 vcc_lo, exec_lo, s6
	s_cbranch_vccnz .LBB24_1836
; %bb.1835:
	v_cvt_u16_f16_e32 v4, v3
	global_store_short v[0:1], v4, off
.LBB24_1836:
	s_mov_b32 s6, 0
.LBB24_1837:
	s_andn2_b32 vcc_lo, exec_lo, s6
	s_cbranch_vccnz .LBB24_1845
; %bb.1838:
	v_cvt_f32_f16_e32 v4, v3
	v_mov_b32_e32 v6, 0x80
	s_mov_b32 s6, exec_lo
	v_and_b32_e32 v5, 0x7fffffff, v4
	v_cmpx_gt_u32_e32 0x43800000, v5
	s_cbranch_execz .LBB24_1844
; %bb.1839:
	v_cmp_lt_u32_e32 vcc_lo, 0x3bffffff, v5
	s_mov_b32 s10, 0
                                        ; implicit-def: $vgpr5
	s_and_saveexec_b32 s11, vcc_lo
	s_xor_b32 s11, exec_lo, s11
	s_cbranch_execz .LBB24_2063
; %bb.1840:
	v_bfe_u32 v5, v4, 20, 1
	s_mov_b32 s10, exec_lo
	v_add3_u32 v5, v4, v5, 0x487ffff
	v_lshrrev_b32_e32 v5, 20, v5
	s_andn2_saveexec_b32 s11, s11
	s_cbranch_execnz .LBB24_2064
.LBB24_1841:
	s_or_b32 exec_lo, exec_lo, s11
	v_mov_b32_e32 v6, 0
	s_and_saveexec_b32 s11, s10
.LBB24_1842:
	v_lshrrev_b32_e32 v4, 24, v4
	v_and_or_b32 v6, 0x80, v4, v5
.LBB24_1843:
	s_or_b32 exec_lo, exec_lo, s11
.LBB24_1844:
	s_or_b32 exec_lo, exec_lo, s6
	global_store_byte v[0:1], v6, off
.LBB24_1845:
	s_mov_b32 s6, -1
.LBB24_1846:
	s_mov_b32 s10, 0
.LBB24_1847:
	s_and_b32 vcc_lo, exec_lo, s10
	s_cbranch_vccz .LBB24_1887
; %bb.1848:
	s_cmp_gt_i32 s3, 22
	s_mov_b32 s4, -1
	s_cbranch_scc0 .LBB24_1880
; %bb.1849:
	s_cmp_lt_i32 s3, 24
	s_cbranch_scc1 .LBB24_1869
; %bb.1850:
	s_cmp_gt_i32 s3, 24
	s_cbranch_scc0 .LBB24_1858
; %bb.1851:
	v_cvt_f32_f16_e32 v4, v3
	v_mov_b32_e32 v6, 0x80
	s_mov_b32 s4, exec_lo
	v_and_b32_e32 v5, 0x7fffffff, v4
	v_cmpx_gt_u32_e32 0x47800000, v5
	s_cbranch_execz .LBB24_1857
; %bb.1852:
	v_cmp_lt_u32_e32 vcc_lo, 0x37ffffff, v5
	s_mov_b32 s6, 0
                                        ; implicit-def: $vgpr5
	s_and_saveexec_b32 s10, vcc_lo
	s_xor_b32 s10, exec_lo, s10
	s_cbranch_execz .LBB24_2066
; %bb.1853:
	v_bfe_u32 v5, v4, 21, 1
	s_mov_b32 s6, exec_lo
	v_add3_u32 v5, v4, v5, 0x88fffff
	v_lshrrev_b32_e32 v5, 21, v5
	s_andn2_saveexec_b32 s10, s10
	s_cbranch_execnz .LBB24_2067
.LBB24_1854:
	s_or_b32 exec_lo, exec_lo, s10
	v_mov_b32_e32 v6, 0
	s_and_saveexec_b32 s10, s6
.LBB24_1855:
	v_lshrrev_b32_e32 v4, 24, v4
	v_and_or_b32 v6, 0x80, v4, v5
.LBB24_1856:
	s_or_b32 exec_lo, exec_lo, s10
.LBB24_1857:
	s_or_b32 exec_lo, exec_lo, s4
	s_mov_b32 s4, 0
	global_store_byte v[0:1], v6, off
.LBB24_1858:
	s_and_b32 vcc_lo, exec_lo, s4
	s_cbranch_vccz .LBB24_1868
; %bb.1859:
	v_cvt_f32_f16_e32 v4, v3
	s_mov_b32 s4, exec_lo
                                        ; implicit-def: $vgpr5
	v_and_b32_e32 v6, 0x7fffffff, v4
	v_cmpx_gt_u32_e32 0x43f00000, v6
	s_xor_b32 s4, exec_lo, s4
	s_cbranch_execz .LBB24_1865
; %bb.1860:
	s_mov_b32 s6, exec_lo
                                        ; implicit-def: $vgpr5
	v_cmpx_lt_u32_e32 0x3c7fffff, v6
	s_xor_b32 s6, exec_lo, s6
; %bb.1861:
	v_bfe_u32 v5, v4, 20, 1
	v_add3_u32 v5, v4, v5, 0x407ffff
	v_and_b32_e32 v6, 0xff00000, v5
	v_lshrrev_b32_e32 v5, 20, v5
	v_cmp_ne_u32_e32 vcc_lo, 0x7f00000, v6
	v_cndmask_b32_e32 v5, 0x7e, v5, vcc_lo
; %bb.1862:
	s_andn2_saveexec_b32 s6, s6
; %bb.1863:
	v_add_f32_e64 v5, 0x46800000, |v4|
; %bb.1864:
	s_or_b32 exec_lo, exec_lo, s6
                                        ; implicit-def: $vgpr6
.LBB24_1865:
	s_andn2_saveexec_b32 s4, s4
; %bb.1866:
	v_mov_b32_e32 v5, 0x7f
	v_cmp_lt_u32_e32 vcc_lo, 0x7f800000, v6
	v_cndmask_b32_e32 v5, 0x7e, v5, vcc_lo
; %bb.1867:
	s_or_b32 exec_lo, exec_lo, s4
	v_lshrrev_b32_e32 v4, 24, v4
	v_and_or_b32 v4, 0x80, v4, v5
	global_store_byte v[0:1], v4, off
.LBB24_1868:
	s_mov_b32 s4, 0
.LBB24_1869:
	s_andn2_b32 vcc_lo, exec_lo, s4
	s_cbranch_vccnz .LBB24_1879
; %bb.1870:
	v_cvt_f32_f16_e32 v4, v3
	s_mov_b32 s4, exec_lo
                                        ; implicit-def: $vgpr5
	v_and_b32_e32 v6, 0x7fffffff, v4
	v_cmpx_gt_u32_e32 0x47800000, v6
	s_xor_b32 s4, exec_lo, s4
	s_cbranch_execz .LBB24_1876
; %bb.1871:
	s_mov_b32 s6, exec_lo
                                        ; implicit-def: $vgpr5
	v_cmpx_lt_u32_e32 0x387fffff, v6
	s_xor_b32 s6, exec_lo, s6
; %bb.1872:
	v_bfe_u32 v5, v4, 21, 1
	v_add3_u32 v5, v4, v5, 0x80fffff
	v_lshrrev_b32_e32 v5, 21, v5
; %bb.1873:
	s_andn2_saveexec_b32 s6, s6
; %bb.1874:
	v_add_f32_e64 v5, 0x43000000, |v4|
; %bb.1875:
	s_or_b32 exec_lo, exec_lo, s6
                                        ; implicit-def: $vgpr6
.LBB24_1876:
	s_andn2_saveexec_b32 s4, s4
; %bb.1877:
	v_mov_b32_e32 v5, 0x7f
	v_cmp_lt_u32_e32 vcc_lo, 0x7f800000, v6
	v_cndmask_b32_e32 v5, 0x7c, v5, vcc_lo
; %bb.1878:
	s_or_b32 exec_lo, exec_lo, s4
	v_lshrrev_b32_e32 v4, 24, v4
	v_and_or_b32 v4, 0x80, v4, v5
	global_store_byte v[0:1], v4, off
.LBB24_1879:
	s_mov_b32 s4, 0
	s_mov_b32 s6, -1
.LBB24_1880:
	s_andn2_b32 vcc_lo, exec_lo, s4
	s_mov_b32 s4, 0
	s_cbranch_vccnz .LBB24_1887
; %bb.1881:
	s_cmp_gt_i32 s3, 14
	s_mov_b32 s4, -1
	s_cbranch_scc0 .LBB24_1885
; %bb.1882:
	s_cmp_eq_u32 s3, 15
	s_mov_b32 s0, -1
	s_cbranch_scc0 .LBB24_1884
; %bb.1883:
	v_cvt_f32_f16_e32 v4, v3
	v_cmp_o_f16_e32 vcc_lo, v3, v3
	s_mov_b32 s0, 0
	s_mov_b32 s6, -1
	v_bfe_u32 v5, v4, 16, 1
	v_add3_u32 v4, v4, v5, 0x7fff
	v_mov_b32_e32 v5, 0x7fc0
	v_cndmask_b32_sdwa v4, v5, v4, vcc_lo dst_sel:DWORD dst_unused:UNUSED_PAD src0_sel:DWORD src1_sel:WORD_1
	global_store_short v[0:1], v4, off
.LBB24_1884:
	s_mov_b32 s4, 0
.LBB24_1885:
	s_and_b32 vcc_lo, exec_lo, s4
	s_mov_b32 s4, 0
	s_cbranch_vccz .LBB24_1887
; %bb.1886:
	s_cmp_lg_u32 s3, 11
	s_mov_b32 s4, -1
	s_cselect_b32 s0, -1, 0
.LBB24_1887:
	s_and_b32 vcc_lo, exec_lo, s0
	s_cbranch_vccnz .LBB24_2065
; %bb.1888:
	s_andn2_b32 vcc_lo, exec_lo, s4
	s_cbranch_vccnz .LBB24_1890
.LBB24_1889:
	v_cmp_neq_f16_e32 vcc_lo, 0, v3
	s_mov_b32 s6, -1
	v_cndmask_b32_e64 v4, 0, 1, vcc_lo
	global_store_byte v[0:1], v4, off
.LBB24_1890:
.LBB24_1891:
	s_andn2_b32 vcc_lo, exec_lo, s6
	s_cbranch_vccnz .LBB24_2007
.LBB24_1892:
	v_mul_f32_e32 v0, v17, v17
	s_mov_b32 s0, 0xb94c1982
	s_mov_b32 s3, 0x37d75334
	v_and_b32_e32 v4, 1, v18
	v_lshlrev_b32_e32 v5, 30, v18
	v_fmaak_f32 v1, s0, v0, 0x3c0881c4
	v_fmaak_f32 v3, s3, v0, 0xbab64f3b
	s_mov_b32 s3, 0
	v_cmp_eq_u32_e32 vcc_lo, 0, v4
	s_cmp_lt_i32 s1, 11
	v_fmaak_f32 v1, v0, v1, 0xbe2aaa9d
	v_fmaak_f32 v3, v0, v3, 0x3d2aabf7
	s_mov_b32 s0, -1
	v_mul_f32_e32 v1, v0, v1
	v_fmaak_f32 v3, v0, v3, 0xbf000004
	v_fmac_f32_e32 v17, v17, v1
	v_fma_f32 v0, v0, v3, 1.0
	v_xor_b32_e32 v1, v16, v15
	v_and_b32_e32 v3, 0x80000000, v5
	v_cndmask_b32_e32 v0, v0, v17, vcc_lo
	v_cmp_class_f32_e64 vcc_lo, v15, 0x1f8
	v_xor3_b32 v0, v1, v3, v0
	v_add_nc_u32_e32 v1, s2, v2
	v_cndmask_b32_e32 v0, 0x7fc00000, v0, vcc_lo
	v_ashrrev_i32_e32 v2, 31, v1
	v_cvt_f16_f32_e32 v3, v0
	v_add_co_u32 v0, vcc_lo, s8, v1
	v_add_co_ci_u32_e64 v1, null, s9, v2, vcc_lo
	s_cbranch_scc1 .LBB24_2008
; %bb.1893:
	s_and_b32 s2, 0xffff, s1
	s_mov_b32 s4, -1
	s_cmp_gt_i32 s2, 25
	s_mov_b32 s0, 0
	s_cbranch_scc0 .LBB24_1926
; %bb.1894:
	s_cmp_gt_i32 s2, 28
	s_cbranch_scc0 .LBB24_1910
; %bb.1895:
	s_cmp_gt_i32 s2, 43
	;; [unrolled: 3-line block ×3, first 2 shown]
	s_cbranch_scc0 .LBB24_1900
; %bb.1897:
	s_cmp_eq_u32 s2, 46
	s_mov_b32 s0, -1
	s_cbranch_scc0 .LBB24_1899
; %bb.1898:
	v_cvt_f32_f16_e32 v2, v3
	v_cmp_o_f16_e32 vcc_lo, v3, v3
	s_mov_b32 s0, 0
	v_bfe_u32 v4, v2, 16, 1
	v_add3_u32 v2, v2, v4, 0x7fff
	v_mov_b32_e32 v4, 0x7fc0
	v_cndmask_b32_sdwa v2, v4, v2, vcc_lo dst_sel:DWORD dst_unused:UNUSED_PAD src0_sel:DWORD src1_sel:WORD_1
	global_store_dword v[0:1], v2, off
.LBB24_1899:
	s_mov_b32 s4, 0
.LBB24_1900:
	s_and_b32 vcc_lo, exec_lo, s4
	s_cbranch_vccz .LBB24_1905
; %bb.1901:
	s_cmp_eq_u32 s2, 44
	s_mov_b32 s0, -1
	s_cbranch_scc0 .LBB24_1905
; %bb.1902:
	v_cvt_f32_f16_e32 v2, v3
	v_mov_b32_e32 v4, 0xff
	s_mov_b32 s4, exec_lo
	v_bfe_u32 v5, v2, 23, 8
	v_cmpx_ne_u32_e32 0xff, v5
	s_cbranch_execz .LBB24_1904
; %bb.1903:
	v_and_b32_e32 v4, 0x400000, v2
	v_and_or_b32 v5, 0x3fffff, v2, v5
	v_lshrrev_b32_e32 v2, 23, v2
	v_cmp_ne_u32_e32 vcc_lo, 0, v4
	v_cmp_ne_u32_e64 s0, 0, v5
	s_and_b32 s0, vcc_lo, s0
	v_cndmask_b32_e64 v4, 0, 1, s0
	v_add_nc_u32_e32 v4, v2, v4
.LBB24_1904:
	s_or_b32 exec_lo, exec_lo, s4
	s_mov_b32 s0, 0
	global_store_byte v[0:1], v4, off
.LBB24_1905:
	s_mov_b32 s4, 0
.LBB24_1906:
	s_and_b32 vcc_lo, exec_lo, s4
	s_cbranch_vccz .LBB24_1909
; %bb.1907:
	s_cmp_eq_u32 s2, 29
	s_mov_b32 s0, -1
	s_cbranch_scc0 .LBB24_1909
; %bb.1908:
	v_cvt_f32_f16_e32 v2, v3
	v_mov_b32_e32 v5, 0
	s_mov_b32 s0, 0
	v_cvt_u32_f32_e32 v4, v2
	global_store_dwordx2 v[0:1], v[4:5], off
.LBB24_1909:
	s_mov_b32 s4, 0
.LBB24_1910:
	s_and_b32 vcc_lo, exec_lo, s4
	s_cbranch_vccz .LBB24_1925
; %bb.1911:
	s_cmp_lt_i32 s2, 27
	s_mov_b32 s4, -1
	s_cbranch_scc1 .LBB24_1917
; %bb.1912:
	s_cmp_gt_i32 s2, 27
	s_cbranch_scc0 .LBB24_1914
; %bb.1913:
	v_cvt_f32_f16_e32 v2, v3
	s_mov_b32 s4, 0
	v_cvt_u32_f32_e32 v2, v2
	global_store_dword v[0:1], v2, off
.LBB24_1914:
	s_andn2_b32 vcc_lo, exec_lo, s4
	s_cbranch_vccnz .LBB24_1916
; %bb.1915:
	v_cvt_u16_f16_e32 v2, v3
	global_store_short v[0:1], v2, off
.LBB24_1916:
	s_mov_b32 s4, 0
.LBB24_1917:
	s_andn2_b32 vcc_lo, exec_lo, s4
	s_cbranch_vccnz .LBB24_1925
; %bb.1918:
	v_cvt_f32_f16_e32 v2, v3
	v_mov_b32_e32 v5, 0x80
	s_mov_b32 s4, exec_lo
	v_and_b32_e32 v4, 0x7fffffff, v2
	v_cmpx_gt_u32_e32 0x43800000, v4
	s_cbranch_execz .LBB24_1924
; %bb.1919:
	v_cmp_lt_u32_e32 vcc_lo, 0x3bffffff, v4
	s_mov_b32 s6, 0
                                        ; implicit-def: $vgpr4
	s_and_saveexec_b32 s8, vcc_lo
	s_xor_b32 s8, exec_lo, s8
	s_cbranch_execz .LBB24_2068
; %bb.1920:
	v_bfe_u32 v4, v2, 20, 1
	s_mov_b32 s6, exec_lo
	v_add3_u32 v4, v2, v4, 0x487ffff
	v_lshrrev_b32_e32 v4, 20, v4
	s_andn2_saveexec_b32 s8, s8
	s_cbranch_execnz .LBB24_2069
.LBB24_1921:
	s_or_b32 exec_lo, exec_lo, s8
	v_mov_b32_e32 v5, 0
	s_and_saveexec_b32 s8, s6
.LBB24_1922:
	v_lshrrev_b32_e32 v2, 24, v2
	v_and_or_b32 v5, 0x80, v2, v4
.LBB24_1923:
	s_or_b32 exec_lo, exec_lo, s8
.LBB24_1924:
	s_or_b32 exec_lo, exec_lo, s4
	global_store_byte v[0:1], v5, off
.LBB24_1925:
	s_mov_b32 s4, 0
.LBB24_1926:
	s_and_b32 vcc_lo, exec_lo, s4
	s_cbranch_vccz .LBB24_1966
; %bb.1927:
	s_cmp_gt_i32 s2, 22
	s_mov_b32 s3, -1
	s_cbranch_scc0 .LBB24_1959
; %bb.1928:
	s_cmp_lt_i32 s2, 24
	s_cbranch_scc1 .LBB24_1948
; %bb.1929:
	s_cmp_gt_i32 s2, 24
	s_cbranch_scc0 .LBB24_1937
; %bb.1930:
	v_cvt_f32_f16_e32 v2, v3
	v_mov_b32_e32 v5, 0x80
	s_mov_b32 s3, exec_lo
	v_and_b32_e32 v4, 0x7fffffff, v2
	v_cmpx_gt_u32_e32 0x47800000, v4
	s_cbranch_execz .LBB24_1936
; %bb.1931:
	v_cmp_lt_u32_e32 vcc_lo, 0x37ffffff, v4
	s_mov_b32 s4, 0
                                        ; implicit-def: $vgpr4
	s_and_saveexec_b32 s6, vcc_lo
	s_xor_b32 s6, exec_lo, s6
	s_cbranch_execz .LBB24_2071
; %bb.1932:
	v_bfe_u32 v4, v2, 21, 1
	s_mov_b32 s4, exec_lo
	v_add3_u32 v4, v2, v4, 0x88fffff
	v_lshrrev_b32_e32 v4, 21, v4
	s_andn2_saveexec_b32 s6, s6
	s_cbranch_execnz .LBB24_2072
.LBB24_1933:
	s_or_b32 exec_lo, exec_lo, s6
	v_mov_b32_e32 v5, 0
	s_and_saveexec_b32 s6, s4
.LBB24_1934:
	v_lshrrev_b32_e32 v2, 24, v2
	v_and_or_b32 v5, 0x80, v2, v4
.LBB24_1935:
	s_or_b32 exec_lo, exec_lo, s6
.LBB24_1936:
	s_or_b32 exec_lo, exec_lo, s3
	s_mov_b32 s3, 0
	global_store_byte v[0:1], v5, off
.LBB24_1937:
	s_and_b32 vcc_lo, exec_lo, s3
	s_cbranch_vccz .LBB24_1947
; %bb.1938:
	v_cvt_f32_f16_e32 v2, v3
	s_mov_b32 s3, exec_lo
                                        ; implicit-def: $vgpr4
	v_and_b32_e32 v5, 0x7fffffff, v2
	v_cmpx_gt_u32_e32 0x43f00000, v5
	s_xor_b32 s3, exec_lo, s3
	s_cbranch_execz .LBB24_1944
; %bb.1939:
	s_mov_b32 s4, exec_lo
                                        ; implicit-def: $vgpr4
	v_cmpx_lt_u32_e32 0x3c7fffff, v5
	s_xor_b32 s4, exec_lo, s4
; %bb.1940:
	v_bfe_u32 v4, v2, 20, 1
	v_add3_u32 v4, v2, v4, 0x407ffff
	v_and_b32_e32 v5, 0xff00000, v4
	v_lshrrev_b32_e32 v4, 20, v4
	v_cmp_ne_u32_e32 vcc_lo, 0x7f00000, v5
	v_cndmask_b32_e32 v4, 0x7e, v4, vcc_lo
; %bb.1941:
	s_andn2_saveexec_b32 s4, s4
; %bb.1942:
	v_add_f32_e64 v4, 0x46800000, |v2|
; %bb.1943:
	s_or_b32 exec_lo, exec_lo, s4
                                        ; implicit-def: $vgpr5
.LBB24_1944:
	s_andn2_saveexec_b32 s3, s3
; %bb.1945:
	v_mov_b32_e32 v4, 0x7f
	v_cmp_lt_u32_e32 vcc_lo, 0x7f800000, v5
	v_cndmask_b32_e32 v4, 0x7e, v4, vcc_lo
; %bb.1946:
	s_or_b32 exec_lo, exec_lo, s3
	v_lshrrev_b32_e32 v2, 24, v2
	v_and_or_b32 v2, 0x80, v2, v4
	global_store_byte v[0:1], v2, off
.LBB24_1947:
	s_mov_b32 s3, 0
.LBB24_1948:
	s_andn2_b32 vcc_lo, exec_lo, s3
	s_cbranch_vccnz .LBB24_1958
; %bb.1949:
	v_cvt_f32_f16_e32 v2, v3
	s_mov_b32 s3, exec_lo
                                        ; implicit-def: $vgpr4
	v_and_b32_e32 v5, 0x7fffffff, v2
	v_cmpx_gt_u32_e32 0x47800000, v5
	s_xor_b32 s3, exec_lo, s3
	s_cbranch_execz .LBB24_1955
; %bb.1950:
	s_mov_b32 s4, exec_lo
                                        ; implicit-def: $vgpr4
	v_cmpx_lt_u32_e32 0x387fffff, v5
	s_xor_b32 s4, exec_lo, s4
; %bb.1951:
	v_bfe_u32 v4, v2, 21, 1
	v_add3_u32 v4, v2, v4, 0x80fffff
	v_lshrrev_b32_e32 v4, 21, v4
; %bb.1952:
	s_andn2_saveexec_b32 s4, s4
; %bb.1953:
	v_add_f32_e64 v4, 0x43000000, |v2|
; %bb.1954:
	s_or_b32 exec_lo, exec_lo, s4
                                        ; implicit-def: $vgpr5
.LBB24_1955:
	s_andn2_saveexec_b32 s3, s3
; %bb.1956:
	v_mov_b32_e32 v4, 0x7f
	v_cmp_lt_u32_e32 vcc_lo, 0x7f800000, v5
	v_cndmask_b32_e32 v4, 0x7c, v4, vcc_lo
; %bb.1957:
	s_or_b32 exec_lo, exec_lo, s3
	v_lshrrev_b32_e32 v2, 24, v2
	v_and_or_b32 v2, 0x80, v2, v4
	global_store_byte v[0:1], v2, off
.LBB24_1958:
	s_mov_b32 s3, 0
.LBB24_1959:
	s_andn2_b32 vcc_lo, exec_lo, s3
	s_mov_b32 s3, 0
	s_cbranch_vccnz .LBB24_1966
; %bb.1960:
	s_cmp_gt_i32 s2, 14
	s_mov_b32 s3, -1
	s_cbranch_scc0 .LBB24_1964
; %bb.1961:
	s_cmp_eq_u32 s2, 15
	s_mov_b32 s0, -1
	s_cbranch_scc0 .LBB24_1963
; %bb.1962:
	v_cvt_f32_f16_e32 v2, v3
	v_cmp_o_f16_e32 vcc_lo, v3, v3
	s_mov_b32 s0, 0
	v_bfe_u32 v4, v2, 16, 1
	v_add3_u32 v2, v2, v4, 0x7fff
	v_mov_b32_e32 v4, 0x7fc0
	v_cndmask_b32_sdwa v2, v4, v2, vcc_lo dst_sel:DWORD dst_unused:UNUSED_PAD src0_sel:DWORD src1_sel:WORD_1
	global_store_short v[0:1], v2, off
.LBB24_1963:
	s_mov_b32 s3, 0
.LBB24_1964:
	s_and_b32 vcc_lo, exec_lo, s3
	s_mov_b32 s3, 0
	s_cbranch_vccz .LBB24_1966
; %bb.1965:
	s_cmp_lg_u32 s2, 11
	s_mov_b32 s3, -1
	s_cselect_b32 s0, -1, 0
.LBB24_1966:
	s_and_b32 vcc_lo, exec_lo, s0
	s_cbranch_vccnz .LBB24_2070
.LBB24_1967:
	s_mov_b32 s0, 0
	s_branch .LBB24_2008
.LBB24_1968:
	s_and_b32 vcc_lo, exec_lo, s0
	s_cbranch_vccz .LBB24_1891
; %bb.1969:
	s_and_b32 s0, 0xffff, s1
	s_mov_b32 s3, -1
	s_cmp_lt_i32 s0, 5
	s_cbranch_scc1 .LBB24_1990
; %bb.1970:
	s_cmp_lt_i32 s0, 8
	s_cbranch_scc1 .LBB24_1980
; %bb.1971:
	;; [unrolled: 3-line block ×3, first 2 shown]
	s_cmp_gt_i32 s0, 9
	s_cbranch_scc0 .LBB24_1974
; %bb.1973:
	v_cvt_f32_f16_e32 v4, v3
	v_mov_b32_e32 v6, 0
	s_mov_b32 s3, 0
	v_cvt_f64_f32_e32 v[4:5], v4
	v_mov_b32_e32 v7, v6
	global_store_dwordx4 v[0:1], v[4:7], off
.LBB24_1974:
	s_andn2_b32 vcc_lo, exec_lo, s3
	s_cbranch_vccnz .LBB24_1976
; %bb.1975:
	v_cvt_f32_f16_e32 v4, v3
	v_mov_b32_e32 v5, 0
	global_store_dwordx2 v[0:1], v[4:5], off
.LBB24_1976:
	s_mov_b32 s3, 0
.LBB24_1977:
	s_andn2_b32 vcc_lo, exec_lo, s3
	s_cbranch_vccnz .LBB24_1979
; %bb.1978:
	v_and_b32_e32 v4, 0xffff, v3
	global_store_dword v[0:1], v4, off
.LBB24_1979:
	s_mov_b32 s3, 0
.LBB24_1980:
	s_andn2_b32 vcc_lo, exec_lo, s3
	s_cbranch_vccnz .LBB24_1989
; %bb.1981:
	s_cmp_lt_i32 s0, 6
	s_mov_b32 s3, -1
	s_cbranch_scc1 .LBB24_1987
; %bb.1982:
	s_cmp_gt_i32 s0, 6
	s_cbranch_scc0 .LBB24_1984
; %bb.1983:
	v_cvt_f32_f16_e32 v4, v3
	s_mov_b32 s3, 0
	v_cvt_f64_f32_e32 v[4:5], v4
	global_store_dwordx2 v[0:1], v[4:5], off
.LBB24_1984:
	s_andn2_b32 vcc_lo, exec_lo, s3
	s_cbranch_vccnz .LBB24_1986
; %bb.1985:
	v_cvt_f32_f16_e32 v4, v3
	global_store_dword v[0:1], v4, off
.LBB24_1986:
	s_mov_b32 s3, 0
.LBB24_1987:
	s_andn2_b32 vcc_lo, exec_lo, s3
	s_cbranch_vccnz .LBB24_1989
; %bb.1988:
	global_store_short v[0:1], v3, off
.LBB24_1989:
	s_mov_b32 s3, 0
.LBB24_1990:
	s_andn2_b32 vcc_lo, exec_lo, s3
	s_cbranch_vccnz .LBB24_2006
; %bb.1991:
	s_cmp_lt_i32 s0, 2
	s_mov_b32 s3, -1
	s_cbranch_scc1 .LBB24_2001
; %bb.1992:
	s_cmp_lt_i32 s0, 3
	s_cbranch_scc1 .LBB24_1998
; %bb.1993:
	s_cmp_gt_i32 s0, 3
	s_cbranch_scc0 .LBB24_1995
; %bb.1994:
	v_cvt_f32_f16_e32 v4, v3
	s_mov_b32 s3, 0
	v_cvt_i32_f32_e32 v4, v4
	v_ashrrev_i32_e32 v5, 31, v4
	global_store_dwordx2 v[0:1], v[4:5], off
.LBB24_1995:
	s_andn2_b32 vcc_lo, exec_lo, s3
	s_cbranch_vccnz .LBB24_1997
; %bb.1996:
	v_cvt_f32_f16_e32 v4, v3
	v_cvt_i32_f32_e32 v4, v4
	global_store_dword v[0:1], v4, off
.LBB24_1997:
	s_mov_b32 s3, 0
.LBB24_1998:
	s_andn2_b32 vcc_lo, exec_lo, s3
	s_cbranch_vccnz .LBB24_2000
; %bb.1999:
	v_cvt_i16_f16_e32 v4, v3
	global_store_short v[0:1], v4, off
.LBB24_2000:
	s_mov_b32 s3, 0
.LBB24_2001:
	s_andn2_b32 vcc_lo, exec_lo, s3
	s_cbranch_vccnz .LBB24_2006
; %bb.2002:
	s_cmp_gt_i32 s0, 0
	s_mov_b32 s0, -1
	s_cbranch_scc0 .LBB24_2004
; %bb.2003:
	v_cvt_i16_f16_e32 v4, v3
	s_mov_b32 s0, 0
	global_store_byte v[0:1], v4, off
.LBB24_2004:
	s_andn2_b32 vcc_lo, exec_lo, s0
	s_cbranch_vccnz .LBB24_2006
; %bb.2005:
	v_cvt_f32_f16_e32 v3, v3
	v_cvt_i32_f32_e32 v3, v3
	global_store_byte v[0:1], v3, off
.LBB24_2006:
	s_branch .LBB24_1892
.LBB24_2007:
	s_mov_b32 s0, 0
	s_mov_b32 s3, 0
                                        ; implicit-def: $sgpr1
                                        ; implicit-def: $vgpr0_vgpr1
                                        ; implicit-def: $vgpr3
.LBB24_2008:
	s_andn2_b32 s2, s12, exec_lo
	s_and_b32 s4, s5, exec_lo
	s_and_b32 s0, s0, exec_lo
	s_and_b32 s5, s3, exec_lo
	s_or_b32 s12, s2, s4
.LBB24_2009:
	s_or_b32 exec_lo, exec_lo, s7
	s_and_saveexec_b32 s2, s12
	s_cbranch_execz .LBB24_2012
; %bb.2010:
	; divergent unreachable
	s_or_b32 exec_lo, exec_lo, s2
	s_and_saveexec_b32 s2, s5
	s_xor_b32 s2, exec_lo, s2
	s_cbranch_execnz .LBB24_2013
.LBB24_2011:
	s_or_b32 exec_lo, exec_lo, s2
	s_and_saveexec_b32 s2, s0
	s_cbranch_execnz .LBB24_2014
	s_branch .LBB24_2051
.LBB24_2012:
	s_or_b32 exec_lo, exec_lo, s2
	s_and_saveexec_b32 s2, s5
	s_xor_b32 s2, exec_lo, s2
	s_cbranch_execz .LBB24_2011
.LBB24_2013:
	s_waitcnt vmcnt(0)
	v_cmp_neq_f16_e32 vcc_lo, 0, v3
	v_cndmask_b32_e64 v2, 0, 1, vcc_lo
	global_store_byte v[0:1], v2, off
	s_or_b32 exec_lo, exec_lo, s2
	s_and_saveexec_b32 s2, s0
	s_cbranch_execz .LBB24_2051
.LBB24_2014:
	s_sext_i32_i16 s2, s1
	s_mov_b32 s0, -1
	s_cmp_lt_i32 s2, 5
	s_cbranch_scc1 .LBB24_2035
; %bb.2015:
	s_cmp_lt_i32 s2, 8
	s_cbranch_scc1 .LBB24_2025
; %bb.2016:
	;; [unrolled: 3-line block ×3, first 2 shown]
	s_cmp_gt_i32 s2, 9
	s_cbranch_scc0 .LBB24_2019
; %bb.2018:
	s_waitcnt vmcnt(0)
	v_cvt_f32_f16_e32 v2, v3
	v_mov_b32_e32 v6, 0
	s_mov_b32 s0, 0
	v_cvt_f64_f32_e32 v[4:5], v2
	v_mov_b32_e32 v7, v6
	global_store_dwordx4 v[0:1], v[4:7], off
.LBB24_2019:
	s_andn2_b32 vcc_lo, exec_lo, s0
	s_cbranch_vccnz .LBB24_2021
; %bb.2020:
	s_waitcnt vmcnt(0)
	v_cvt_f32_f16_e32 v4, v3
	v_mov_b32_e32 v5, 0
	global_store_dwordx2 v[0:1], v[4:5], off
.LBB24_2021:
	s_mov_b32 s0, 0
.LBB24_2022:
	s_andn2_b32 vcc_lo, exec_lo, s0
	s_cbranch_vccnz .LBB24_2024
; %bb.2023:
	s_waitcnt vmcnt(0)
	v_and_b32_e32 v2, 0xffff, v3
	global_store_dword v[0:1], v2, off
.LBB24_2024:
	s_mov_b32 s0, 0
.LBB24_2025:
	s_andn2_b32 vcc_lo, exec_lo, s0
	s_cbranch_vccnz .LBB24_2034
; %bb.2026:
	s_sext_i32_i16 s2, s1
	s_mov_b32 s0, -1
	s_cmp_lt_i32 s2, 6
	s_cbranch_scc1 .LBB24_2032
; %bb.2027:
	s_cmp_gt_i32 s2, 6
	s_cbranch_scc0 .LBB24_2029
; %bb.2028:
	s_waitcnt vmcnt(0)
	v_cvt_f32_f16_e32 v2, v3
	s_mov_b32 s0, 0
	v_cvt_f64_f32_e32 v[4:5], v2
	global_store_dwordx2 v[0:1], v[4:5], off
.LBB24_2029:
	s_andn2_b32 vcc_lo, exec_lo, s0
	s_cbranch_vccnz .LBB24_2031
; %bb.2030:
	s_waitcnt vmcnt(0)
	v_cvt_f32_f16_e32 v2, v3
	global_store_dword v[0:1], v2, off
.LBB24_2031:
	s_mov_b32 s0, 0
.LBB24_2032:
	s_andn2_b32 vcc_lo, exec_lo, s0
	s_cbranch_vccnz .LBB24_2034
; %bb.2033:
	s_waitcnt vmcnt(0)
	global_store_short v[0:1], v3, off
.LBB24_2034:
	s_mov_b32 s0, 0
.LBB24_2035:
	s_andn2_b32 vcc_lo, exec_lo, s0
	s_cbranch_vccnz .LBB24_2051
; %bb.2036:
	s_sext_i32_i16 s2, s1
	s_mov_b32 s0, -1
	s_cmp_lt_i32 s2, 2
	s_cbranch_scc1 .LBB24_2046
; %bb.2037:
	s_cmp_lt_i32 s2, 3
	s_cbranch_scc1 .LBB24_2043
; %bb.2038:
	s_cmp_gt_i32 s2, 3
	s_cbranch_scc0 .LBB24_2040
; %bb.2039:
	s_waitcnt vmcnt(0)
	v_cvt_f32_f16_e32 v2, v3
	s_mov_b32 s0, 0
	v_cvt_i32_f32_e32 v4, v2
	v_ashrrev_i32_e32 v5, 31, v4
	global_store_dwordx2 v[0:1], v[4:5], off
.LBB24_2040:
	s_andn2_b32 vcc_lo, exec_lo, s0
	s_cbranch_vccnz .LBB24_2042
; %bb.2041:
	s_waitcnt vmcnt(0)
	v_cvt_f32_f16_e32 v2, v3
	v_cvt_i32_f32_e32 v2, v2
	global_store_dword v[0:1], v2, off
.LBB24_2042:
	s_mov_b32 s0, 0
.LBB24_2043:
	s_andn2_b32 vcc_lo, exec_lo, s0
	s_cbranch_vccnz .LBB24_2045
; %bb.2044:
	s_waitcnt vmcnt(0)
	v_cvt_i16_f16_e32 v2, v3
	global_store_short v[0:1], v2, off
.LBB24_2045:
	s_mov_b32 s0, 0
.LBB24_2046:
	s_andn2_b32 vcc_lo, exec_lo, s0
	s_cbranch_vccnz .LBB24_2051
; %bb.2047:
	s_sext_i32_i16 s0, s1
	s_cmp_gt_i32 s0, 0
	s_mov_b32 s0, -1
	s_cbranch_scc0 .LBB24_2049
; %bb.2048:
	s_waitcnt vmcnt(0)
	v_cvt_i16_f16_e32 v2, v3
	s_mov_b32 s0, 0
	global_store_byte v[0:1], v2, off
.LBB24_2049:
	s_andn2_b32 vcc_lo, exec_lo, s0
	s_cbranch_vccnz .LBB24_2051
; %bb.2050:
	s_waitcnt vmcnt(0)
	v_cvt_f32_f16_e32 v2, v3
	v_cvt_i32_f32_e32 v2, v2
	global_store_byte v[0:1], v2, off
	s_endpgm
.LBB24_2051:
	s_endpgm
.LBB24_2052:
	s_or_b32 s5, s5, exec_lo
	s_trap 2
	s_cbranch_execz .LBB24_1521
	s_branch .LBB24_1522
.LBB24_2053:
	s_andn2_saveexec_b32 s11, s11
	s_cbranch_execz .LBB24_1605
.LBB24_2054:
	v_add_f32_e64 v5, 0x46000000, |v4|
	s_andn2_b32 s10, s10, exec_lo
	v_and_b32_e32 v5, 0xff, v5
	v_cmp_ne_u32_e32 vcc_lo, 0, v5
	s_and_b32 s13, vcc_lo, exec_lo
	s_or_b32 s10, s10, s13
	s_or_b32 exec_lo, exec_lo, s11
	v_mov_b32_e32 v6, 0
	s_and_saveexec_b32 s11, s10
	s_cbranch_execnz .LBB24_1606
	s_branch .LBB24_1607
.LBB24_2055:
	s_or_b32 s5, s5, exec_lo
	s_trap 2
	s_cbranch_execz .LBB24_1653
	s_branch .LBB24_1654
.LBB24_2056:
	s_andn2_saveexec_b32 s10, s10
	s_cbranch_execz .LBB24_1618
.LBB24_2057:
	v_add_f32_e64 v5, 0x42800000, |v4|
	s_andn2_b32 s6, s6, exec_lo
	v_and_b32_e32 v5, 0xff, v5
	v_cmp_ne_u32_e32 vcc_lo, 0, v5
	s_and_b32 s11, vcc_lo, exec_lo
	s_or_b32 s6, s6, s11
	s_or_b32 exec_lo, exec_lo, s10
	v_mov_b32_e32 v6, 0
	s_and_saveexec_b32 s10, s6
	s_cbranch_execnz .LBB24_1619
	s_branch .LBB24_1620
.LBB24_2058:
	s_andn2_saveexec_b32 s11, s11
	s_cbranch_execz .LBB24_1723
.LBB24_2059:
	v_add_f32_e64 v5, 0x46000000, |v4|
	s_andn2_b32 s10, s10, exec_lo
	v_and_b32_e32 v5, 0xff, v5
	v_cmp_ne_u32_e32 vcc_lo, 0, v5
	s_and_b32 s13, vcc_lo, exec_lo
	s_or_b32 s10, s10, s13
	s_or_b32 exec_lo, exec_lo, s11
	v_mov_b32_e32 v6, 0
	s_and_saveexec_b32 s11, s10
	s_cbranch_execnz .LBB24_1724
	s_branch .LBB24_1725
.LBB24_2060:
	s_or_b32 s5, s5, exec_lo
	s_trap 2
	s_cbranch_execz .LBB24_1771
	s_branch .LBB24_1772
.LBB24_2061:
	s_andn2_saveexec_b32 s10, s10
	s_cbranch_execz .LBB24_1736
.LBB24_2062:
	v_add_f32_e64 v5, 0x42800000, |v4|
	s_andn2_b32 s6, s6, exec_lo
	v_and_b32_e32 v5, 0xff, v5
	v_cmp_ne_u32_e32 vcc_lo, 0, v5
	s_and_b32 s11, vcc_lo, exec_lo
	s_or_b32 s6, s6, s11
	s_or_b32 exec_lo, exec_lo, s10
	v_mov_b32_e32 v6, 0
	s_and_saveexec_b32 s10, s6
	s_cbranch_execnz .LBB24_1737
	s_branch .LBB24_1738
.LBB24_2063:
	s_andn2_saveexec_b32 s11, s11
	s_cbranch_execz .LBB24_1841
.LBB24_2064:
	v_add_f32_e64 v5, 0x46000000, |v4|
	s_andn2_b32 s10, s10, exec_lo
	v_and_b32_e32 v5, 0xff, v5
	v_cmp_ne_u32_e32 vcc_lo, 0, v5
	s_and_b32 s13, vcc_lo, exec_lo
	s_or_b32 s10, s10, s13
	s_or_b32 exec_lo, exec_lo, s11
	v_mov_b32_e32 v6, 0
	s_and_saveexec_b32 s11, s10
	s_cbranch_execnz .LBB24_1842
	s_branch .LBB24_1843
.LBB24_2065:
	s_or_b32 s5, s5, exec_lo
	s_trap 2
	s_cbranch_execz .LBB24_1889
	s_branch .LBB24_1890
.LBB24_2066:
	s_andn2_saveexec_b32 s10, s10
	s_cbranch_execz .LBB24_1854
.LBB24_2067:
	v_add_f32_e64 v5, 0x42800000, |v4|
	s_andn2_b32 s6, s6, exec_lo
	v_and_b32_e32 v5, 0xff, v5
	v_cmp_ne_u32_e32 vcc_lo, 0, v5
	s_and_b32 s11, vcc_lo, exec_lo
	s_or_b32 s6, s6, s11
	s_or_b32 exec_lo, exec_lo, s10
	v_mov_b32_e32 v6, 0
	s_and_saveexec_b32 s10, s6
	s_cbranch_execnz .LBB24_1855
	s_branch .LBB24_1856
.LBB24_2068:
	s_andn2_saveexec_b32 s8, s8
	s_cbranch_execz .LBB24_1921
.LBB24_2069:
	v_add_f32_e64 v4, 0x46000000, |v2|
	s_andn2_b32 s6, s6, exec_lo
	v_and_b32_e32 v4, 0xff, v4
	v_cmp_ne_u32_e32 vcc_lo, 0, v4
	s_and_b32 s9, vcc_lo, exec_lo
	s_or_b32 s6, s6, s9
	s_or_b32 exec_lo, exec_lo, s8
	v_mov_b32_e32 v5, 0
	s_and_saveexec_b32 s8, s6
	s_cbranch_execnz .LBB24_1922
	s_branch .LBB24_1923
.LBB24_2070:
	s_mov_b32 s3, 0
	s_or_b32 s5, s5, exec_lo
	s_trap 2
	s_branch .LBB24_1967
.LBB24_2071:
	s_andn2_saveexec_b32 s6, s6
	s_cbranch_execz .LBB24_1933
.LBB24_2072:
	v_add_f32_e64 v4, 0x42800000, |v2|
	s_andn2_b32 s4, s4, exec_lo
	v_and_b32_e32 v4, 0xff, v4
	v_cmp_ne_u32_e32 vcc_lo, 0, v4
	s_and_b32 s8, vcc_lo, exec_lo
	s_or_b32 s4, s4, s8
	s_or_b32 exec_lo, exec_lo, s6
	v_mov_b32_e32 v5, 0
	s_and_saveexec_b32 s6, s4
	s_cbranch_execnz .LBB24_1934
	s_branch .LBB24_1935
	.section	.rodata,"a",@progbits
	.p2align	6, 0x0
	.amdhsa_kernel _ZN2at6native32elementwise_kernel_manual_unrollILi128ELi4EZNS0_15gpu_kernel_implIZZZNS0_15sin_kernel_cudaERNS_18TensorIteratorBaseEENKUlvE0_clEvENKUlvE1_clEvEUlN3c104HalfEE_EEvS4_RKT_EUlibE_EEviT1_
		.amdhsa_group_segment_fixed_size 0
		.amdhsa_private_segment_fixed_size 0
		.amdhsa_kernarg_size 40
		.amdhsa_user_sgpr_count 6
		.amdhsa_user_sgpr_private_segment_buffer 1
		.amdhsa_user_sgpr_dispatch_ptr 0
		.amdhsa_user_sgpr_queue_ptr 0
		.amdhsa_user_sgpr_kernarg_segment_ptr 1
		.amdhsa_user_sgpr_dispatch_id 0
		.amdhsa_user_sgpr_flat_scratch_init 0
		.amdhsa_user_sgpr_private_segment_size 0
		.amdhsa_wavefront_size32 1
		.amdhsa_uses_dynamic_stack 0
		.amdhsa_system_sgpr_private_segment_wavefront_offset 0
		.amdhsa_system_sgpr_workgroup_id_x 1
		.amdhsa_system_sgpr_workgroup_id_y 0
		.amdhsa_system_sgpr_workgroup_id_z 0
		.amdhsa_system_sgpr_workgroup_info 0
		.amdhsa_system_vgpr_workitem_id 0
		.amdhsa_next_free_vgpr 27
		.amdhsa_next_free_sgpr 26
		.amdhsa_reserve_vcc 1
		.amdhsa_reserve_flat_scratch 0
		.amdhsa_float_round_mode_32 0
		.amdhsa_float_round_mode_16_64 0
		.amdhsa_float_denorm_mode_32 3
		.amdhsa_float_denorm_mode_16_64 3
		.amdhsa_dx10_clamp 1
		.amdhsa_ieee_mode 1
		.amdhsa_fp16_overflow 0
		.amdhsa_workgroup_processor_mode 1
		.amdhsa_memory_ordered 1
		.amdhsa_forward_progress 1
		.amdhsa_shared_vgpr_count 0
		.amdhsa_exception_fp_ieee_invalid_op 0
		.amdhsa_exception_fp_denorm_src 0
		.amdhsa_exception_fp_ieee_div_zero 0
		.amdhsa_exception_fp_ieee_overflow 0
		.amdhsa_exception_fp_ieee_underflow 0
		.amdhsa_exception_fp_ieee_inexact 0
		.amdhsa_exception_int_div_zero 0
	.end_amdhsa_kernel
	.section	.text._ZN2at6native32elementwise_kernel_manual_unrollILi128ELi4EZNS0_15gpu_kernel_implIZZZNS0_15sin_kernel_cudaERNS_18TensorIteratorBaseEENKUlvE0_clEvENKUlvE1_clEvEUlN3c104HalfEE_EEvS4_RKT_EUlibE_EEviT1_,"axG",@progbits,_ZN2at6native32elementwise_kernel_manual_unrollILi128ELi4EZNS0_15gpu_kernel_implIZZZNS0_15sin_kernel_cudaERNS_18TensorIteratorBaseEENKUlvE0_clEvENKUlvE1_clEvEUlN3c104HalfEE_EEvS4_RKT_EUlibE_EEviT1_,comdat
.Lfunc_end24:
	.size	_ZN2at6native32elementwise_kernel_manual_unrollILi128ELi4EZNS0_15gpu_kernel_implIZZZNS0_15sin_kernel_cudaERNS_18TensorIteratorBaseEENKUlvE0_clEvENKUlvE1_clEvEUlN3c104HalfEE_EEvS4_RKT_EUlibE_EEviT1_, .Lfunc_end24-_ZN2at6native32elementwise_kernel_manual_unrollILi128ELi4EZNS0_15gpu_kernel_implIZZZNS0_15sin_kernel_cudaERNS_18TensorIteratorBaseEENKUlvE0_clEvENKUlvE1_clEvEUlN3c104HalfEE_EEvS4_RKT_EUlibE_EEviT1_
                                        ; -- End function
	.set _ZN2at6native32elementwise_kernel_manual_unrollILi128ELi4EZNS0_15gpu_kernel_implIZZZNS0_15sin_kernel_cudaERNS_18TensorIteratorBaseEENKUlvE0_clEvENKUlvE1_clEvEUlN3c104HalfEE_EEvS4_RKT_EUlibE_EEviT1_.num_vgpr, 27
	.set _ZN2at6native32elementwise_kernel_manual_unrollILi128ELi4EZNS0_15gpu_kernel_implIZZZNS0_15sin_kernel_cudaERNS_18TensorIteratorBaseEENKUlvE0_clEvENKUlvE1_clEvEUlN3c104HalfEE_EEvS4_RKT_EUlibE_EEviT1_.num_agpr, 0
	.set _ZN2at6native32elementwise_kernel_manual_unrollILi128ELi4EZNS0_15gpu_kernel_implIZZZNS0_15sin_kernel_cudaERNS_18TensorIteratorBaseEENKUlvE0_clEvENKUlvE1_clEvEUlN3c104HalfEE_EEvS4_RKT_EUlibE_EEviT1_.numbered_sgpr, 26
	.set _ZN2at6native32elementwise_kernel_manual_unrollILi128ELi4EZNS0_15gpu_kernel_implIZZZNS0_15sin_kernel_cudaERNS_18TensorIteratorBaseEENKUlvE0_clEvENKUlvE1_clEvEUlN3c104HalfEE_EEvS4_RKT_EUlibE_EEviT1_.num_named_barrier, 0
	.set _ZN2at6native32elementwise_kernel_manual_unrollILi128ELi4EZNS0_15gpu_kernel_implIZZZNS0_15sin_kernel_cudaERNS_18TensorIteratorBaseEENKUlvE0_clEvENKUlvE1_clEvEUlN3c104HalfEE_EEvS4_RKT_EUlibE_EEviT1_.private_seg_size, 0
	.set _ZN2at6native32elementwise_kernel_manual_unrollILi128ELi4EZNS0_15gpu_kernel_implIZZZNS0_15sin_kernel_cudaERNS_18TensorIteratorBaseEENKUlvE0_clEvENKUlvE1_clEvEUlN3c104HalfEE_EEvS4_RKT_EUlibE_EEviT1_.uses_vcc, 1
	.set _ZN2at6native32elementwise_kernel_manual_unrollILi128ELi4EZNS0_15gpu_kernel_implIZZZNS0_15sin_kernel_cudaERNS_18TensorIteratorBaseEENKUlvE0_clEvENKUlvE1_clEvEUlN3c104HalfEE_EEvS4_RKT_EUlibE_EEviT1_.uses_flat_scratch, 0
	.set _ZN2at6native32elementwise_kernel_manual_unrollILi128ELi4EZNS0_15gpu_kernel_implIZZZNS0_15sin_kernel_cudaERNS_18TensorIteratorBaseEENKUlvE0_clEvENKUlvE1_clEvEUlN3c104HalfEE_EEvS4_RKT_EUlibE_EEviT1_.has_dyn_sized_stack, 0
	.set _ZN2at6native32elementwise_kernel_manual_unrollILi128ELi4EZNS0_15gpu_kernel_implIZZZNS0_15sin_kernel_cudaERNS_18TensorIteratorBaseEENKUlvE0_clEvENKUlvE1_clEvEUlN3c104HalfEE_EEvS4_RKT_EUlibE_EEviT1_.has_recursion, 0
	.set _ZN2at6native32elementwise_kernel_manual_unrollILi128ELi4EZNS0_15gpu_kernel_implIZZZNS0_15sin_kernel_cudaERNS_18TensorIteratorBaseEENKUlvE0_clEvENKUlvE1_clEvEUlN3c104HalfEE_EEvS4_RKT_EUlibE_EEviT1_.has_indirect_call, 0
	.section	.AMDGPU.csdata,"",@progbits
; Kernel info:
; codeLenInByte = 40824
; TotalNumSgprs: 28
; NumVgprs: 27
; ScratchSize: 0
; MemoryBound: 0
; FloatMode: 240
; IeeeMode: 1
; LDSByteSize: 0 bytes/workgroup (compile time only)
; SGPRBlocks: 0
; VGPRBlocks: 3
; NumSGPRsForWavesPerEU: 28
; NumVGPRsForWavesPerEU: 27
; Occupancy: 16
; WaveLimiterHint : 0
; COMPUTE_PGM_RSRC2:SCRATCH_EN: 0
; COMPUTE_PGM_RSRC2:USER_SGPR: 6
; COMPUTE_PGM_RSRC2:TRAP_HANDLER: 0
; COMPUTE_PGM_RSRC2:TGID_X_EN: 1
; COMPUTE_PGM_RSRC2:TGID_Y_EN: 0
; COMPUTE_PGM_RSRC2:TGID_Z_EN: 0
; COMPUTE_PGM_RSRC2:TIDIG_COMP_CNT: 0
	.section	.text._ZN2at6native32elementwise_kernel_manual_unrollILi128ELi4EZNS0_15gpu_kernel_implIZZZNS0_15sin_kernel_cudaERNS_18TensorIteratorBaseEENKUlvE0_clEvENKUlvE1_clEvEUlN3c104HalfEE_EEvS4_RKT_EUlibE0_EEviT1_,"axG",@progbits,_ZN2at6native32elementwise_kernel_manual_unrollILi128ELi4EZNS0_15gpu_kernel_implIZZZNS0_15sin_kernel_cudaERNS_18TensorIteratorBaseEENKUlvE0_clEvENKUlvE1_clEvEUlN3c104HalfEE_EEvS4_RKT_EUlibE0_EEviT1_,comdat
	.globl	_ZN2at6native32elementwise_kernel_manual_unrollILi128ELi4EZNS0_15gpu_kernel_implIZZZNS0_15sin_kernel_cudaERNS_18TensorIteratorBaseEENKUlvE0_clEvENKUlvE1_clEvEUlN3c104HalfEE_EEvS4_RKT_EUlibE0_EEviT1_ ; -- Begin function _ZN2at6native32elementwise_kernel_manual_unrollILi128ELi4EZNS0_15gpu_kernel_implIZZZNS0_15sin_kernel_cudaERNS_18TensorIteratorBaseEENKUlvE0_clEvENKUlvE1_clEvEUlN3c104HalfEE_EEvS4_RKT_EUlibE0_EEviT1_
	.p2align	8
	.type	_ZN2at6native32elementwise_kernel_manual_unrollILi128ELi4EZNS0_15gpu_kernel_implIZZZNS0_15sin_kernel_cudaERNS_18TensorIteratorBaseEENKUlvE0_clEvENKUlvE1_clEvEUlN3c104HalfEE_EEvS4_RKT_EUlibE0_EEviT1_,@function
_ZN2at6native32elementwise_kernel_manual_unrollILi128ELi4EZNS0_15gpu_kernel_implIZZZNS0_15sin_kernel_cudaERNS_18TensorIteratorBaseEENKUlvE0_clEvENKUlvE1_clEvEUlN3c104HalfEE_EEvS4_RKT_EUlibE0_EEviT1_: ; @_ZN2at6native32elementwise_kernel_manual_unrollILi128ELi4EZNS0_15gpu_kernel_implIZZZNS0_15sin_kernel_cudaERNS_18TensorIteratorBaseEENKUlvE0_clEvENKUlvE1_clEvEUlN3c104HalfEE_EEvS4_RKT_EUlibE0_EEviT1_
; %bb.0:
	s_clause 0x1
	s_load_dword s24, s[4:5], 0x8
	s_load_dword s33, s[4:5], 0x0
	v_lshl_or_b32 v8, s6, 9, v0
	s_add_u32 s2, s4, 8
	s_addc_u32 s3, s5, 0
	s_mov_b32 s1, -1
	s_mov_b32 s26, 0
	v_or_b32_e32 v15, 0x180, v8
	s_mov_b32 s12, 0
	s_mov_b32 s0, exec_lo
	s_waitcnt lgkmcnt(0)
	s_add_i32 s25, s24, -1
	s_cmp_gt_u32 s25, 1
	s_cselect_b32 s27, -1, 0
	v_cmpx_le_i32_e64 s33, v15
	s_xor_b32 s28, exec_lo, s0
	s_cbranch_execz .LBB25_1102
; %bb.1:
	v_mov_b32_e32 v0, 0
	s_clause 0x3
	s_load_dwordx4 s[16:19], s[2:3], 0x4
	s_load_dwordx2 s[6:7], s[2:3], 0x14
	s_load_dwordx4 s[12:15], s[2:3], 0xc4
	s_load_dwordx4 s[8:11], s[2:3], 0x148
	s_cmp_lg_u32 s24, 0
	s_mov_b32 s39, 0
	s_cselect_b32 s34, -1, 0
	global_load_ushort v0, v0, s[2:3] offset:345
	s_add_u32 s20, s2, 0xc4
	s_addc_u32 s21, s3, 0
	s_min_u32 s35, s25, 15
	s_cmp_gt_u32 s24, 1
	s_mov_b32 s37, 0
	s_cselect_b32 s31, -1, 0
	s_mov_b32 s36, 0
	s_mov_b32 s38, exec_lo
	s_waitcnt vmcnt(0)
	v_readfirstlane_b32 s29, v0
	s_and_b32 s0, 0xffff, s29
	s_lshr_b32 s30, s0, 8
	v_cmpx_gt_i32_e64 s33, v8
	s_cbranch_execz .LBB25_270
; %bb.2:
	s_andn2_b32 vcc_lo, exec_lo, s27
	s_cbranch_vccnz .LBB25_7
; %bb.3:
	s_andn2_b32 vcc_lo, exec_lo, s34
	s_cbranch_vccnz .LBB25_8
; %bb.4:
	s_add_i32 s37, s35, 1
	s_cmp_eq_u32 s25, 2
	s_cbranch_scc1 .LBB25_9
; %bb.5:
	v_mov_b32_e32 v2, 0
	v_mov_b32_e32 v0, 0
	;; [unrolled: 1-line block ×3, first 2 shown]
	s_and_b32 s36, s37, 28
	s_mov_b32 s40, 0
	s_mov_b64 s[0:1], s[2:3]
	s_mov_b64 s[22:23], s[20:21]
.LBB25_6:                               ; =>This Inner Loop Header: Depth=1
	s_clause 0x1
	s_load_dwordx8 s[44:51], s[0:1], 0x4
	s_load_dwordx4 s[60:63], s[0:1], 0x24
	s_load_dwordx8 s[52:59], s[22:23], 0x0
	s_add_u32 s0, s0, 48
	s_addc_u32 s1, s1, 0
	s_add_i32 s40, s40, 4
	s_add_u32 s22, s22, 32
	s_addc_u32 s23, s23, 0
	s_cmp_lg_u32 s36, s40
	s_waitcnt lgkmcnt(0)
	v_mul_hi_u32 v3, s45, v1
	v_add_nc_u32_e32 v3, v1, v3
	v_lshrrev_b32_e32 v3, s46, v3
	v_mul_hi_u32 v4, s48, v3
	v_mul_lo_u32 v6, v3, s44
	v_add_nc_u32_e32 v4, v3, v4
	v_sub_nc_u32_e32 v1, v1, v6
	v_lshrrev_b32_e32 v4, s49, v4
	v_mul_lo_u32 v6, v1, s52
	v_mul_lo_u32 v9, v1, s53
	v_mul_hi_u32 v5, s51, v4
	v_add_nc_u32_e32 v5, v4, v5
	v_lshrrev_b32_e32 v5, s60, v5
	v_mul_hi_u32 v7, s62, v5
	v_mul_lo_u32 v10, v5, s50
	v_add_nc_u32_e32 v1, v5, v7
	v_mul_lo_u32 v7, v4, s47
	v_sub_nc_u32_e32 v4, v4, v10
	v_lshrrev_b32_e32 v1, s63, v1
	v_mul_lo_u32 v10, v4, s56
	v_mul_lo_u32 v4, v4, s57
	v_sub_nc_u32_e32 v3, v3, v7
	v_mul_lo_u32 v11, v1, s61
	v_mul_lo_u32 v7, v3, s54
	;; [unrolled: 1-line block ×3, first 2 shown]
	v_sub_nc_u32_e32 v5, v5, v11
	v_add3_u32 v0, v6, v0, v7
	v_mul_lo_u32 v11, v5, s58
	v_mul_lo_u32 v5, v5, s59
	v_add3_u32 v2, v9, v2, v3
	v_add3_u32 v0, v10, v0, v11
	;; [unrolled: 1-line block ×3, first 2 shown]
	s_cbranch_scc1 .LBB25_6
	s_branch .LBB25_10
.LBB25_7:
                                        ; implicit-def: $vgpr0
                                        ; implicit-def: $vgpr2
	s_branch .LBB25_14
.LBB25_8:
	v_mov_b32_e32 v0, 0
	v_mov_b32_e32 v2, 0
	s_branch .LBB25_13
.LBB25_9:
	v_mov_b32_e32 v0, 0
	v_mov_b32_e32 v2, 0
	;; [unrolled: 1-line block ×3, first 2 shown]
.LBB25_10:
	s_and_b32 s37, s37, 3
	s_cmp_eq_u32 s37, 0
	s_cbranch_scc1 .LBB25_13
; %bb.11:
	s_lshl_b32 s0, s36, 3
	s_mul_i32 s22, s36, 12
	s_add_u32 s0, s2, s0
	s_addc_u32 s1, s3, 0
	s_add_u32 s0, s0, 0xc4
	s_addc_u32 s1, s1, 0
	;; [unrolled: 2-line block ×3, first 2 shown]
	.p2align	6
.LBB25_12:                              ; =>This Inner Loop Header: Depth=1
	s_clause 0x1
	s_load_dwordx2 s[40:41], s[22:23], 0x4
	s_load_dword s36, s[22:23], 0xc
	s_load_dwordx2 s[42:43], s[0:1], 0x0
	s_add_u32 s22, s22, 12
	s_addc_u32 s23, s23, 0
	s_add_u32 s0, s0, 8
	s_addc_u32 s1, s1, 0
	s_add_i32 s37, s37, -1
	s_cmp_lg_u32 s37, 0
	s_waitcnt lgkmcnt(0)
	v_mul_hi_u32 v3, s41, v1
	v_add_nc_u32_e32 v3, v1, v3
	v_lshrrev_b32_e32 v4, s36, v3
	v_mul_lo_u32 v3, v4, s40
	v_sub_nc_u32_e32 v3, v1, v3
	v_mad_u64_u32 v[0:1], null, v3, s42, v[0:1]
	v_mad_u64_u32 v[2:3], null, v3, s43, v[2:3]
	v_mov_b32_e32 v1, v4
	s_cbranch_scc1 .LBB25_12
.LBB25_13:
	s_cbranch_execnz .LBB25_16
.LBB25_14:
	s_waitcnt lgkmcnt(0)
	v_mul_hi_u32 v0, s17, v8
	s_andn2_b32 vcc_lo, exec_lo, s31
	v_add_nc_u32_e32 v0, v8, v0
	v_lshrrev_b32_e32 v1, s18, v0
	v_mul_lo_u32 v0, v1, s16
	v_sub_nc_u32_e32 v2, v8, v0
	v_mul_lo_u32 v0, v2, s12
	v_mul_lo_u32 v2, v2, s13
	s_cbranch_vccnz .LBB25_16
; %bb.15:
	v_mul_hi_u32 v3, s6, v1
	v_add_nc_u32_e32 v3, v1, v3
	v_lshrrev_b32_e32 v3, s7, v3
	v_mul_lo_u32 v3, v3, s19
	v_sub_nc_u32_e32 v3, v1, v3
	v_mad_u64_u32 v[0:1], null, v3, s14, v[0:1]
	v_mad_u64_u32 v[2:3], null, v3, s15, v[2:3]
.LBB25_16:
	s_waitcnt lgkmcnt(0)
	v_add_co_u32 v1, s0, s10, v2
	v_add_co_ci_u32_e64 v2, null, s11, 0, s0
	s_and_b32 s0, 0xffff, s30
	s_cmp_lt_i32 s0, 11
	s_cbranch_scc1 .LBB25_23
; %bb.17:
	s_cmp_gt_i32 s0, 25
	s_cbranch_scc0 .LBB25_75
; %bb.18:
	s_cmp_gt_i32 s0, 28
	s_cbranch_scc0 .LBB25_76
	;; [unrolled: 3-line block ×4, first 2 shown]
; %bb.21:
	s_cmp_eq_u32 s0, 46
	s_mov_b32 s23, 0
	s_cbranch_scc0 .LBB25_82
; %bb.22:
	global_load_dword v3, v[1:2], off
	s_mov_b32 s1, -1
	s_mov_b32 s22, 0
	s_waitcnt vmcnt(0)
	v_lshlrev_b32_e32 v3, 16, v3
	v_cvt_f16_f32_e32 v3, v3
	s_branch .LBB25_84
.LBB25_23:
	s_mov_b32 s22, 0
	s_mov_b32 s1, 0
                                        ; implicit-def: $vgpr3
	s_cbranch_execnz .LBB25_220
.LBB25_24:
	s_andn2_b32 vcc_lo, exec_lo, s1
	s_cbranch_vccnz .LBB25_267
.LBB25_25:
	s_waitcnt vmcnt(0)
	v_cvt_f32_f16_e32 v1, v3
                                        ; implicit-def: $vgpr4
                                        ; implicit-def: $vgpr3
	s_mov_b32 s1, exec_lo
	v_and_b32_e32 v2, 0x7fffffff, v1
	v_cmpx_ngt_f32_e64 0x48000000, |v1|
	s_xor_b32 s23, exec_lo, s1
	s_cbranch_execz .LBB25_27
; %bb.26:
	s_mov_b32 s0, 0x7fffff
	v_mov_b32_e32 v5, 0
	v_and_or_b32 v14, v2, s0, 0x800000
	v_mad_u64_u32 v[3:4], null, 0xfe5163ab, v14, 0
	v_mad_u64_u32 v[6:7], null, 0x3c439041, v14, v[4:5]
	v_mov_b32_e32 v4, v7
	v_lshrrev_b32_e32 v7, 23, v2
	v_mad_u64_u32 v[9:10], null, 0xdb629599, v14, v[4:5]
	v_add_nc_u32_e32 v7, 0xffffff88, v7
	v_cmp_lt_u32_e32 vcc_lo, 63, v7
	v_mov_b32_e32 v4, v10
	v_cndmask_b32_e64 v13, 0, 0xffffffc0, vcc_lo
	v_mad_u64_u32 v[10:11], null, 0xf534ddc0, v14, v[4:5]
	v_cndmask_b32_e32 v3, v9, v3, vcc_lo
	v_add_nc_u32_e32 v7, v13, v7
	v_mov_b32_e32 v4, v11
	v_cmp_lt_u32_e64 s0, 31, v7
	v_cndmask_b32_e32 v6, v10, v6, vcc_lo
	v_mad_u64_u32 v[11:12], null, 0xfc2757d1, v14, v[4:5]
	v_cndmask_b32_e64 v15, 0, 0xffffffe0, s0
	v_cndmask_b32_e64 v3, v6, v3, s0
	v_add_nc_u32_e32 v7, v15, v7
	v_mov_b32_e32 v4, v12
	v_cmp_lt_u32_e64 s1, 31, v7
	v_mad_u64_u32 v[12:13], null, 0x4e441529, v14, v[4:5]
	v_mov_b32_e32 v4, v13
	v_cndmask_b32_e64 v13, 0, 0xffffffe0, s1
	v_mad_u64_u32 v[4:5], null, 0xa2f9836e, v14, v[4:5]
	v_cndmask_b32_e32 v14, v12, v10, vcc_lo
	v_add_nc_u32_e32 v7, v13, v7
	v_cndmask_b32_e32 v4, v4, v11, vcc_lo
	v_cndmask_b32_e32 v5, v5, v12, vcc_lo
	;; [unrolled: 1-line block ×3, first 2 shown]
	v_sub_nc_u32_e32 v12, 32, v7
	v_cmp_eq_u32_e32 vcc_lo, 0, v7
	v_cndmask_b32_e64 v10, v4, v14, s0
	v_cndmask_b32_e64 v4, v5, v4, s0
	v_cndmask_b32_e64 v5, v14, v11, s0
	v_cndmask_b32_e64 v11, v11, v6, s0
	v_cndmask_b32_e64 v4, v4, v10, s1
	v_cndmask_b32_e64 v10, v10, v5, s1
	v_cndmask_b32_e64 v5, v5, v11, s1
	v_cndmask_b32_e64 v3, v11, v3, s1
	v_alignbit_b32 v13, v4, v10, v12
	v_alignbit_b32 v9, v10, v5, v12
	;; [unrolled: 1-line block ×3, first 2 shown]
	v_cndmask_b32_e32 v4, v13, v4, vcc_lo
	v_cndmask_b32_e32 v6, v9, v10, vcc_lo
	;; [unrolled: 1-line block ×3, first 2 shown]
	v_bfe_u32 v7, v4, 29, 1
	v_alignbit_b32 v9, v4, v6, 30
	v_alignbit_b32 v6, v6, v5, 30
	;; [unrolled: 1-line block ×3, first 2 shown]
	v_sub_nc_u32_e32 v10, 0, v7
	v_xor_b32_e32 v9, v9, v10
	v_xor_b32_e32 v5, v6, v10
	;; [unrolled: 1-line block ×3, first 2 shown]
	v_lshrrev_b32_e32 v10, 29, v4
	v_lshrrev_b32_e32 v4, 30, v4
	v_ffbh_u32_e32 v11, v9
	v_add_nc_u32_e32 v4, v7, v4
	v_min_u32_e32 v11, 32, v11
	v_sub_nc_u32_e32 v6, 31, v11
	v_lshlrev_b32_e32 v12, 23, v11
	v_alignbit_b32 v9, v9, v5, v6
	v_alignbit_b32 v3, v5, v3, v6
	v_lshlrev_b32_e32 v5, 31, v10
	v_alignbit_b32 v6, v9, v3, 9
	v_or_b32_e32 v10, 0.5, v5
	v_lshrrev_b32_e32 v9, 9, v9
	v_or_b32_e32 v5, 0x33000000, v5
	v_ffbh_u32_e32 v13, v6
	v_sub_nc_u32_e32 v10, v10, v12
	v_min_u32_e32 v12, 32, v13
	v_or_b32_e32 v9, v9, v10
	v_not_b32_e32 v10, v12
	v_mul_f32_e32 v13, 0x3fc90fda, v9
	v_add_lshl_u32 v11, v12, v11, 23
	v_alignbit_b32 v3, v6, v3, v10
	v_fma_f32 v6, 0x3fc90fda, v9, -v13
	v_sub_nc_u32_e32 v5, v5, v11
	v_lshrrev_b32_e32 v3, 9, v3
	v_fmamk_f32 v6, v9, 0x33a22168, v6
	v_or_b32_e32 v3, v5, v3
	v_fmac_f32_e32 v6, 0x3fc90fda, v3
	v_add_f32_e32 v3, v13, v6
.LBB25_27:
	s_andn2_saveexec_b32 s0, s23
; %bb.28:
	v_mul_f32_e64 v3, 0x3f22f983, |v1|
	v_rndne_f32_e32 v4, v3
	v_fma_f32 v3, 0xbfc90fda, v4, |v1|
	v_fmamk_f32 v3, v4, 0xb3a22168, v3
	v_fmamk_f32 v3, v4, 0xa7c234c4, v3
	v_cvt_i32_f32_e32 v4, v4
; %bb.29:
	s_or_b32 exec_lo, exec_lo, s0
	v_mul_f32_e32 v5, v3, v3
	s_mov_b32 s0, 0xb94c1982
	s_mov_b32 s1, 0x37d75334
	v_and_b32_e32 v9, 1, v4
	v_lshlrev_b32_e32 v4, 30, v4
	v_fmaak_f32 v6, s0, v5, 0x3c0881c4
	v_fmaak_f32 v7, s1, v5, 0xbab64f3b
	v_xor_b32_e32 v2, v2, v1
	v_cmp_eq_u32_e32 vcc_lo, 0, v9
	v_and_b32_e32 v4, 0x80000000, v4
	v_fmaak_f32 v6, v5, v6, 0xbe2aaa9d
	v_fmaak_f32 v7, v5, v7, 0x3d2aabf7
	v_add_co_u32 v0, s1, s8, v0
	s_mov_b32 s0, 0
	v_mul_f32_e32 v6, v5, v6
	v_fmaak_f32 v7, v5, v7, 0xbf000004
	s_mov_b32 s23, -1
	s_mov_b32 s36, 0
	v_fmac_f32_e32 v3, v3, v6
	v_fma_f32 v5, v5, v7, 1.0
	v_cndmask_b32_e32 v3, v5, v3, vcc_lo
	v_cmp_class_f32_e64 vcc_lo, v1, 0x1f8
	v_add_co_ci_u32_e64 v1, null, s9, 0, s1
	s_and_b32 s1, s29, 0xff
	v_xor3_b32 v2, v2, v4, v3
	s_cmp_lt_i32 s1, 11
	v_cndmask_b32_e32 v2, 0x7fc00000, v2, vcc_lo
	v_cvt_f16_f32_e32 v2, v2
	s_cbranch_scc1 .LBB25_36
; %bb.30:
	s_and_b32 s23, 0xffff, s1
	s_cmp_gt_i32 s23, 25
	s_cbranch_scc0 .LBB25_77
; %bb.31:
	s_cmp_gt_i32 s23, 28
	s_cbranch_scc0 .LBB25_79
; %bb.32:
	s_cmp_gt_i32 s23, 43
	s_cbranch_scc0 .LBB25_81
; %bb.33:
	s_cmp_gt_i32 s23, 45
	s_cbranch_scc0 .LBB25_87
; %bb.34:
	s_mov_b32 s37, 0
	s_mov_b32 s0, -1
	s_cmp_eq_u32 s23, 46
	s_cbranch_scc0 .LBB25_88
; %bb.35:
	v_cvt_f32_f16_e32 v3, v2
	v_cmp_o_f16_e32 vcc_lo, v2, v2
	s_mov_b32 s36, -1
	s_mov_b32 s0, 0
	v_bfe_u32 v4, v3, 16, 1
	v_add3_u32 v3, v3, v4, 0x7fff
	v_mov_b32_e32 v4, 0x7fc0
	v_cndmask_b32_sdwa v3, v4, v3, vcc_lo dst_sel:DWORD dst_unused:UNUSED_PAD src0_sel:DWORD src1_sel:WORD_1
	global_store_dword v[0:1], v3, off
	s_branch .LBB25_88
.LBB25_36:
	s_and_b32 vcc_lo, exec_lo, s23
	s_cbranch_vccz .LBB25_157
; %bb.37:
	s_and_b32 s1, 0xffff, s1
	s_mov_b32 s23, -1
	s_cmp_lt_i32 s1, 5
	s_cbranch_scc1 .LBB25_58
; %bb.38:
	s_cmp_lt_i32 s1, 8
	s_cbranch_scc1 .LBB25_48
; %bb.39:
	s_cmp_lt_i32 s1, 9
	s_cbranch_scc1 .LBB25_45
; %bb.40:
	s_cmp_gt_i32 s1, 9
	s_cbranch_scc0 .LBB25_42
; %bb.41:
	v_cvt_f32_f16_e32 v3, v2
	v_mov_b32_e32 v5, 0
	s_mov_b32 s23, 0
	v_cvt_f64_f32_e32 v[3:4], v3
	v_mov_b32_e32 v6, v5
	global_store_dwordx4 v[0:1], v[3:6], off
.LBB25_42:
	s_andn2_b32 vcc_lo, exec_lo, s23
	s_cbranch_vccnz .LBB25_44
; %bb.43:
	v_cvt_f32_f16_e32 v3, v2
	v_mov_b32_e32 v4, 0
	global_store_dwordx2 v[0:1], v[3:4], off
.LBB25_44:
	s_mov_b32 s23, 0
.LBB25_45:
	s_andn2_b32 vcc_lo, exec_lo, s23
	s_cbranch_vccnz .LBB25_47
; %bb.46:
	v_and_b32_e32 v3, 0xffff, v2
	global_store_dword v[0:1], v3, off
.LBB25_47:
	s_mov_b32 s23, 0
.LBB25_48:
	s_andn2_b32 vcc_lo, exec_lo, s23
	s_cbranch_vccnz .LBB25_57
; %bb.49:
	s_cmp_lt_i32 s1, 6
	s_mov_b32 s23, -1
	s_cbranch_scc1 .LBB25_55
; %bb.50:
	s_cmp_gt_i32 s1, 6
	s_cbranch_scc0 .LBB25_52
; %bb.51:
	v_cvt_f32_f16_e32 v3, v2
	s_mov_b32 s23, 0
	v_cvt_f64_f32_e32 v[3:4], v3
	global_store_dwordx2 v[0:1], v[3:4], off
.LBB25_52:
	s_andn2_b32 vcc_lo, exec_lo, s23
	s_cbranch_vccnz .LBB25_54
; %bb.53:
	v_cvt_f32_f16_e32 v3, v2
	global_store_dword v[0:1], v3, off
.LBB25_54:
	s_mov_b32 s23, 0
.LBB25_55:
	s_andn2_b32 vcc_lo, exec_lo, s23
	s_cbranch_vccnz .LBB25_57
; %bb.56:
	global_store_short v[0:1], v2, off
.LBB25_57:
	s_mov_b32 s23, 0
.LBB25_58:
	s_andn2_b32 vcc_lo, exec_lo, s23
	s_cbranch_vccnz .LBB25_74
; %bb.59:
	s_cmp_lt_i32 s1, 2
	s_mov_b32 s23, -1
	s_cbranch_scc1 .LBB25_69
; %bb.60:
	s_cmp_lt_i32 s1, 3
	s_cbranch_scc1 .LBB25_66
; %bb.61:
	s_cmp_gt_i32 s1, 3
	s_cbranch_scc0 .LBB25_63
; %bb.62:
	v_cvt_f32_f16_e32 v3, v2
	s_mov_b32 s23, 0
	v_cvt_i32_f32_e32 v3, v3
	v_ashrrev_i32_e32 v4, 31, v3
	global_store_dwordx2 v[0:1], v[3:4], off
.LBB25_63:
	s_andn2_b32 vcc_lo, exec_lo, s23
	s_cbranch_vccnz .LBB25_65
; %bb.64:
	v_cvt_f32_f16_e32 v3, v2
	v_cvt_i32_f32_e32 v3, v3
	global_store_dword v[0:1], v3, off
.LBB25_65:
	s_mov_b32 s23, 0
.LBB25_66:
	s_andn2_b32 vcc_lo, exec_lo, s23
	s_cbranch_vccnz .LBB25_68
; %bb.67:
	v_cvt_i16_f16_e32 v3, v2
	global_store_short v[0:1], v3, off
.LBB25_68:
	s_mov_b32 s23, 0
.LBB25_69:
	s_andn2_b32 vcc_lo, exec_lo, s23
	s_cbranch_vccnz .LBB25_74
; %bb.70:
	s_cmp_gt_i32 s1, 0
	s_mov_b32 s1, -1
	s_cbranch_scc0 .LBB25_72
; %bb.71:
	v_cvt_i16_f16_e32 v3, v2
	s_mov_b32 s1, 0
	global_store_byte v[0:1], v3, off
.LBB25_72:
	s_andn2_b32 vcc_lo, exec_lo, s1
	s_cbranch_vccnz .LBB25_74
; %bb.73:
	v_cvt_f32_f16_e32 v2, v2
	v_cvt_i32_f32_e32 v2, v2
	global_store_byte v[0:1], v2, off
.LBB25_74:
	s_branch .LBB25_158
.LBB25_75:
	s_mov_b32 s22, 0
	s_mov_b32 s1, 0
                                        ; implicit-def: $vgpr3
	s_cbranch_execnz .LBB25_185
	s_branch .LBB25_219
.LBB25_76:
	s_mov_b32 s23, -1
	s_mov_b32 s22, 0
	s_mov_b32 s1, 0
                                        ; implicit-def: $vgpr3
	s_branch .LBB25_166
.LBB25_77:
	s_mov_b32 s37, -1
	s_branch .LBB25_115
.LBB25_78:
	s_mov_b32 s23, -1
	s_mov_b32 s22, 0
	s_mov_b32 s1, 0
                                        ; implicit-def: $vgpr3
	s_branch .LBB25_161
.LBB25_79:
	s_mov_b32 s37, -1
	s_branch .LBB25_98
.LBB25_80:
	s_mov_b32 s23, -1
	s_mov_b32 s22, 0
	s_branch .LBB25_83
.LBB25_81:
	s_mov_b32 s37, -1
	s_branch .LBB25_94
.LBB25_82:
	s_mov_b32 s22, -1
.LBB25_83:
	s_mov_b32 s1, 0
                                        ; implicit-def: $vgpr3
.LBB25_84:
	s_and_b32 vcc_lo, exec_lo, s23
	s_cbranch_vccz .LBB25_160
; %bb.85:
	s_cmp_eq_u32 s0, 44
	s_cbranch_scc0 .LBB25_159
; %bb.86:
	global_load_ubyte v3, v[1:2], off
	s_mov_b32 s22, 0
	s_mov_b32 s1, -1
	s_waitcnt vmcnt(0)
	v_lshlrev_b32_e32 v4, 23, v3
	v_cmp_ne_u32_e32 vcc_lo, 0xff, v3
	v_cvt_f16_f32_e32 v4, v4
	v_cndmask_b32_e32 v4, 0x7e00, v4, vcc_lo
	v_cmp_ne_u32_e32 vcc_lo, 0, v3
	v_cndmask_b32_e32 v3, 0, v4, vcc_lo
	s_branch .LBB25_160
.LBB25_87:
	s_mov_b32 s37, -1
.LBB25_88:
	s_and_b32 vcc_lo, exec_lo, s37
	s_cbranch_vccz .LBB25_93
; %bb.89:
	s_cmp_eq_u32 s23, 44
	s_mov_b32 s0, -1
	s_cbranch_scc0 .LBB25_93
; %bb.90:
	v_cvt_f32_f16_e32 v3, v2
	v_mov_b32_e32 v4, 0xff
	s_mov_b32 s36, exec_lo
	v_bfe_u32 v5, v3, 23, 8
	v_cmpx_ne_u32_e32 0xff, v5
	s_cbranch_execz .LBB25_92
; %bb.91:
	v_and_b32_e32 v4, 0x400000, v3
	v_and_or_b32 v5, 0x3fffff, v3, v5
	v_lshrrev_b32_e32 v3, 23, v3
	v_cmp_ne_u32_e32 vcc_lo, 0, v4
	v_cmp_ne_u32_e64 s0, 0, v5
	s_and_b32 s0, vcc_lo, s0
	v_cndmask_b32_e64 v4, 0, 1, s0
	v_add_nc_u32_e32 v4, v3, v4
.LBB25_92:
	s_or_b32 exec_lo, exec_lo, s36
	s_mov_b32 s36, -1
	s_mov_b32 s0, 0
	global_store_byte v[0:1], v4, off
.LBB25_93:
	s_mov_b32 s37, 0
.LBB25_94:
	s_and_b32 vcc_lo, exec_lo, s37
	s_cbranch_vccz .LBB25_97
; %bb.95:
	s_cmp_eq_u32 s23, 29
	s_mov_b32 s0, -1
	s_cbranch_scc0 .LBB25_97
; %bb.96:
	v_cvt_f32_f16_e32 v3, v2
	v_mov_b32_e32 v4, 0
	s_mov_b32 s36, -1
	s_mov_b32 s0, 0
	s_mov_b32 s37, 0
	v_cvt_u32_f32_e32 v3, v3
	global_store_dwordx2 v[0:1], v[3:4], off
	s_branch .LBB25_98
.LBB25_97:
	s_mov_b32 s37, 0
.LBB25_98:
	s_and_b32 vcc_lo, exec_lo, s37
	s_cbranch_vccz .LBB25_114
; %bb.99:
	s_cmp_lt_i32 s23, 27
	s_mov_b32 s36, -1
	s_cbranch_scc1 .LBB25_105
; %bb.100:
	s_cmp_gt_i32 s23, 27
	s_cbranch_scc0 .LBB25_102
; %bb.101:
	v_cvt_f32_f16_e32 v3, v2
	s_mov_b32 s36, 0
	v_cvt_u32_f32_e32 v3, v3
	global_store_dword v[0:1], v3, off
.LBB25_102:
	s_andn2_b32 vcc_lo, exec_lo, s36
	s_cbranch_vccnz .LBB25_104
; %bb.103:
	v_cvt_u16_f16_e32 v3, v2
	global_store_short v[0:1], v3, off
.LBB25_104:
	s_mov_b32 s36, 0
.LBB25_105:
	s_andn2_b32 vcc_lo, exec_lo, s36
	s_cbranch_vccnz .LBB25_113
; %bb.106:
	v_cvt_f32_f16_e32 v3, v2
	v_mov_b32_e32 v5, 0x80
	s_mov_b32 s36, exec_lo
	v_and_b32_e32 v4, 0x7fffffff, v3
	v_cmpx_gt_u32_e32 0x43800000, v4
	s_cbranch_execz .LBB25_112
; %bb.107:
	v_cmp_lt_u32_e32 vcc_lo, 0x3bffffff, v4
	s_mov_b32 s37, 0
                                        ; implicit-def: $vgpr4
	s_and_saveexec_b32 s40, vcc_lo
	s_xor_b32 s40, exec_lo, s40
	s_cbranch_execz .LBB25_354
; %bb.108:
	v_bfe_u32 v4, v3, 20, 1
	s_mov_b32 s37, exec_lo
	v_add3_u32 v4, v3, v4, 0x487ffff
	v_lshrrev_b32_e32 v4, 20, v4
	s_andn2_saveexec_b32 s40, s40
	s_cbranch_execnz .LBB25_355
.LBB25_109:
	s_or_b32 exec_lo, exec_lo, s40
	v_mov_b32_e32 v5, 0
	s_and_saveexec_b32 s40, s37
.LBB25_110:
	v_lshrrev_b32_e32 v3, 24, v3
	v_and_or_b32 v5, 0x80, v3, v4
.LBB25_111:
	s_or_b32 exec_lo, exec_lo, s40
.LBB25_112:
	s_or_b32 exec_lo, exec_lo, s36
	global_store_byte v[0:1], v5, off
.LBB25_113:
	s_mov_b32 s36, -1
.LBB25_114:
	s_mov_b32 s37, 0
.LBB25_115:
	s_and_b32 vcc_lo, exec_lo, s37
	s_cbranch_vccz .LBB25_156
; %bb.116:
	s_cmp_gt_i32 s23, 22
	s_mov_b32 s37, -1
	s_cbranch_scc0 .LBB25_148
; %bb.117:
	s_cmp_lt_i32 s23, 24
	s_mov_b32 s36, -1
	s_cbranch_scc1 .LBB25_137
; %bb.118:
	s_cmp_gt_i32 s23, 24
	s_cbranch_scc0 .LBB25_126
; %bb.119:
	v_cvt_f32_f16_e32 v3, v2
	v_mov_b32_e32 v5, 0x80
	s_mov_b32 s36, exec_lo
	v_and_b32_e32 v4, 0x7fffffff, v3
	v_cmpx_gt_u32_e32 0x47800000, v4
	s_cbranch_execz .LBB25_125
; %bb.120:
	v_cmp_lt_u32_e32 vcc_lo, 0x37ffffff, v4
	s_mov_b32 s37, 0
                                        ; implicit-def: $vgpr4
	s_and_saveexec_b32 s40, vcc_lo
	s_xor_b32 s40, exec_lo, s40
	s_cbranch_execz .LBB25_358
; %bb.121:
	v_bfe_u32 v4, v3, 21, 1
	s_mov_b32 s37, exec_lo
	v_add3_u32 v4, v3, v4, 0x88fffff
	v_lshrrev_b32_e32 v4, 21, v4
	s_andn2_saveexec_b32 s40, s40
	s_cbranch_execnz .LBB25_359
.LBB25_122:
	s_or_b32 exec_lo, exec_lo, s40
	v_mov_b32_e32 v5, 0
	s_and_saveexec_b32 s40, s37
.LBB25_123:
	v_lshrrev_b32_e32 v3, 24, v3
	v_and_or_b32 v5, 0x80, v3, v4
.LBB25_124:
	s_or_b32 exec_lo, exec_lo, s40
.LBB25_125:
	s_or_b32 exec_lo, exec_lo, s36
	s_mov_b32 s36, 0
	global_store_byte v[0:1], v5, off
.LBB25_126:
	s_and_b32 vcc_lo, exec_lo, s36
	s_cbranch_vccz .LBB25_136
; %bb.127:
	v_cvt_f32_f16_e32 v3, v2
	s_mov_b32 s36, exec_lo
                                        ; implicit-def: $vgpr4
	v_and_b32_e32 v5, 0x7fffffff, v3
	v_cmpx_gt_u32_e32 0x43f00000, v5
	s_xor_b32 s36, exec_lo, s36
	s_cbranch_execz .LBB25_133
; %bb.128:
	s_mov_b32 s37, exec_lo
                                        ; implicit-def: $vgpr4
	v_cmpx_lt_u32_e32 0x3c7fffff, v5
	s_xor_b32 s37, exec_lo, s37
; %bb.129:
	v_bfe_u32 v4, v3, 20, 1
	v_add3_u32 v4, v3, v4, 0x407ffff
	v_and_b32_e32 v5, 0xff00000, v4
	v_lshrrev_b32_e32 v4, 20, v4
	v_cmp_ne_u32_e32 vcc_lo, 0x7f00000, v5
	v_cndmask_b32_e32 v4, 0x7e, v4, vcc_lo
; %bb.130:
	s_andn2_saveexec_b32 s37, s37
; %bb.131:
	v_add_f32_e64 v4, 0x46800000, |v3|
; %bb.132:
	s_or_b32 exec_lo, exec_lo, s37
                                        ; implicit-def: $vgpr5
.LBB25_133:
	s_andn2_saveexec_b32 s36, s36
; %bb.134:
	v_mov_b32_e32 v4, 0x7f
	v_cmp_lt_u32_e32 vcc_lo, 0x7f800000, v5
	v_cndmask_b32_e32 v4, 0x7e, v4, vcc_lo
; %bb.135:
	s_or_b32 exec_lo, exec_lo, s36
	v_lshrrev_b32_e32 v3, 24, v3
	v_and_or_b32 v3, 0x80, v3, v4
	global_store_byte v[0:1], v3, off
.LBB25_136:
	s_mov_b32 s36, 0
.LBB25_137:
	s_andn2_b32 vcc_lo, exec_lo, s36
	s_cbranch_vccnz .LBB25_147
; %bb.138:
	v_cvt_f32_f16_e32 v3, v2
	s_mov_b32 s36, exec_lo
                                        ; implicit-def: $vgpr4
	v_and_b32_e32 v5, 0x7fffffff, v3
	v_cmpx_gt_u32_e32 0x47800000, v5
	s_xor_b32 s36, exec_lo, s36
	s_cbranch_execz .LBB25_144
; %bb.139:
	s_mov_b32 s37, exec_lo
                                        ; implicit-def: $vgpr4
	v_cmpx_lt_u32_e32 0x387fffff, v5
	s_xor_b32 s37, exec_lo, s37
; %bb.140:
	v_bfe_u32 v4, v3, 21, 1
	v_add3_u32 v4, v3, v4, 0x80fffff
	v_lshrrev_b32_e32 v4, 21, v4
; %bb.141:
	s_andn2_saveexec_b32 s37, s37
; %bb.142:
	v_add_f32_e64 v4, 0x43000000, |v3|
; %bb.143:
	s_or_b32 exec_lo, exec_lo, s37
                                        ; implicit-def: $vgpr5
.LBB25_144:
	s_andn2_saveexec_b32 s36, s36
; %bb.145:
	v_mov_b32_e32 v4, 0x7f
	v_cmp_lt_u32_e32 vcc_lo, 0x7f800000, v5
	v_cndmask_b32_e32 v4, 0x7c, v4, vcc_lo
; %bb.146:
	s_or_b32 exec_lo, exec_lo, s36
	v_lshrrev_b32_e32 v3, 24, v3
	v_and_or_b32 v3, 0x80, v3, v4
	global_store_byte v[0:1], v3, off
.LBB25_147:
	s_mov_b32 s37, 0
	s_mov_b32 s36, -1
.LBB25_148:
	s_andn2_b32 vcc_lo, exec_lo, s37
	s_cbranch_vccnz .LBB25_156
; %bb.149:
	s_cmp_gt_i32 s23, 14
	s_mov_b32 s37, -1
	s_cbranch_scc0 .LBB25_153
; %bb.150:
	s_cmp_eq_u32 s23, 15
	s_mov_b32 s0, -1
	s_cbranch_scc0 .LBB25_152
; %bb.151:
	v_cvt_f32_f16_e32 v3, v2
	v_cmp_o_f16_e32 vcc_lo, v2, v2
	s_mov_b32 s36, -1
	s_mov_b32 s0, 0
	v_bfe_u32 v4, v3, 16, 1
	v_add3_u32 v3, v3, v4, 0x7fff
	v_mov_b32_e32 v4, 0x7fc0
	v_cndmask_b32_sdwa v3, v4, v3, vcc_lo dst_sel:DWORD dst_unused:UNUSED_PAD src0_sel:DWORD src1_sel:WORD_1
	global_store_short v[0:1], v3, off
.LBB25_152:
	s_mov_b32 s37, 0
.LBB25_153:
	s_and_b32 vcc_lo, exec_lo, s37
	s_cbranch_vccz .LBB25_156
; %bb.154:
	s_cmp_eq_u32 s23, 11
	s_mov_b32 s0, -1
	s_cbranch_scc0 .LBB25_156
; %bb.155:
	v_cmp_neq_f16_e32 vcc_lo, 0, v2
	s_mov_b32 s0, 0
	s_mov_b32 s36, -1
	v_cndmask_b32_e64 v3, 0, 1, vcc_lo
	global_store_byte v[0:1], v3, off
.LBB25_156:
.LBB25_157:
	s_andn2_b32 vcc_lo, exec_lo, s36
	s_cbranch_vccnz .LBB25_268
.LBB25_158:
	v_add_nc_u32_e32 v8, 0x80, v8
	s_mov_b32 s1, -1
	s_branch .LBB25_269
.LBB25_159:
	s_mov_b32 s22, -1
                                        ; implicit-def: $vgpr3
.LBB25_160:
	s_mov_b32 s23, 0
.LBB25_161:
	s_and_b32 vcc_lo, exec_lo, s23
	s_cbranch_vccz .LBB25_165
; %bb.162:
	s_cmp_eq_u32 s0, 29
	s_cbranch_scc0 .LBB25_164
; %bb.163:
	global_load_dwordx2 v[3:4], v[1:2], off
	s_mov_b32 s1, -1
	s_mov_b32 s22, 0
	s_mov_b32 s23, 0
	s_waitcnt vmcnt(0)
	v_ffbh_u32_e32 v5, v4
	v_min_u32_e32 v5, 32, v5
	v_lshlrev_b64 v[3:4], v5, v[3:4]
	v_min_u32_e32 v3, 1, v3
	v_or_b32_e32 v3, v4, v3
	v_sub_nc_u32_e32 v4, 32, v5
	v_cvt_f32_u32_e32 v3, v3
	v_ldexp_f32 v3, v3, v4
	v_cvt_f16_f32_e32 v3, v3
	s_branch .LBB25_166
.LBB25_164:
	s_mov_b32 s22, -1
                                        ; implicit-def: $vgpr3
.LBB25_165:
	s_mov_b32 s23, 0
.LBB25_166:
	s_and_b32 vcc_lo, exec_lo, s23
	s_cbranch_vccz .LBB25_184
; %bb.167:
	s_cmp_lt_i32 s0, 27
	s_cbranch_scc1 .LBB25_170
; %bb.168:
	s_cmp_gt_i32 s0, 27
	s_cbranch_scc0 .LBB25_171
; %bb.169:
	global_load_dword v3, v[1:2], off
	s_mov_b32 s1, 0
	s_waitcnt vmcnt(0)
	v_cvt_f32_u32_e32 v3, v3
	v_cvt_f16_f32_e32 v3, v3
	s_branch .LBB25_172
.LBB25_170:
	s_mov_b32 s1, -1
                                        ; implicit-def: $vgpr3
	s_branch .LBB25_175
.LBB25_171:
	s_mov_b32 s1, -1
                                        ; implicit-def: $vgpr3
.LBB25_172:
	s_andn2_b32 vcc_lo, exec_lo, s1
	s_cbranch_vccnz .LBB25_174
; %bb.173:
	global_load_ushort v3, v[1:2], off
	s_waitcnt vmcnt(0)
	v_cvt_f16_u16_e32 v3, v3
.LBB25_174:
	s_mov_b32 s1, 0
.LBB25_175:
	s_andn2_b32 vcc_lo, exec_lo, s1
	s_cbranch_vccnz .LBB25_183
; %bb.176:
	global_load_ubyte v4, v[1:2], off
	s_mov_b32 s1, 0
	s_mov_b32 s23, exec_lo
	s_waitcnt vmcnt(0)
	v_cmpx_lt_i16_e32 0x7f, v4
	s_xor_b32 s23, exec_lo, s23
	s_cbranch_execz .LBB25_196
; %bb.177:
	s_mov_b32 s1, -1
	s_mov_b32 s36, exec_lo
	v_cmpx_eq_u16_e32 0x80, v4
; %bb.178:
	s_xor_b32 s1, exec_lo, -1
; %bb.179:
	s_or_b32 exec_lo, exec_lo, s36
	s_and_b32 s1, s1, exec_lo
	s_or_saveexec_b32 s23, s23
	v_mov_b32_e32 v3, 0x7e00
	s_xor_b32 exec_lo, exec_lo, s23
	s_cbranch_execnz .LBB25_197
.LBB25_180:
	s_or_b32 exec_lo, exec_lo, s23
	s_and_saveexec_b32 s23, s1
	s_cbranch_execz .LBB25_182
.LBB25_181:
	v_and_b32_e32 v3, 0xffff, v4
	v_lshlrev_b32_e32 v4, 24, v4
	v_and_b32_e32 v5, 7, v3
	v_bfe_u32 v9, v3, 3, 4
	v_and_b32_e32 v4, 0x80000000, v4
	v_ffbh_u32_e32 v6, v5
	v_cmp_eq_u32_e32 vcc_lo, 0, v9
	v_min_u32_e32 v6, 32, v6
	v_subrev_nc_u32_e32 v7, 28, v6
	v_sub_nc_u32_e32 v6, 29, v6
	v_lshlrev_b32_e32 v3, v7, v3
	v_cndmask_b32_e32 v6, v9, v6, vcc_lo
	v_and_b32_e32 v3, 7, v3
	v_cndmask_b32_e32 v3, v5, v3, vcc_lo
	v_lshl_add_u32 v5, v6, 23, 0x3b800000
	v_lshlrev_b32_e32 v3, 20, v3
	v_or3_b32 v3, v4, v5, v3
	v_cvt_f16_f32_e32 v3, v3
.LBB25_182:
	s_or_b32 exec_lo, exec_lo, s23
.LBB25_183:
	s_mov_b32 s1, -1
.LBB25_184:
	s_branch .LBB25_219
.LBB25_185:
	s_cmp_gt_i32 s0, 22
	s_cbranch_scc0 .LBB25_195
; %bb.186:
	s_cmp_lt_i32 s0, 24
	s_cbranch_scc1 .LBB25_198
; %bb.187:
	s_cmp_gt_i32 s0, 24
	s_cbranch_scc0 .LBB25_199
; %bb.188:
	global_load_ubyte v4, v[1:2], off
	s_mov_b32 s1, 0
	s_mov_b32 s23, exec_lo
	s_waitcnt vmcnt(0)
	v_cmpx_lt_i16_e32 0x7f, v4
	s_xor_b32 s23, exec_lo, s23
	s_cbranch_execz .LBB25_211
; %bb.189:
	s_mov_b32 s1, -1
	s_mov_b32 s36, exec_lo
	v_cmpx_eq_u16_e32 0x80, v4
; %bb.190:
	s_xor_b32 s1, exec_lo, -1
; %bb.191:
	s_or_b32 exec_lo, exec_lo, s36
	s_and_b32 s1, s1, exec_lo
	s_or_saveexec_b32 s23, s23
	v_mov_b32_e32 v3, 0x7e00
	s_xor_b32 exec_lo, exec_lo, s23
	s_cbranch_execnz .LBB25_212
.LBB25_192:
	s_or_b32 exec_lo, exec_lo, s23
	s_and_saveexec_b32 s23, s1
	s_cbranch_execz .LBB25_194
.LBB25_193:
	v_and_b32_e32 v3, 0xffff, v4
	v_lshlrev_b32_e32 v4, 24, v4
	v_and_b32_e32 v5, 3, v3
	v_bfe_u32 v9, v3, 2, 5
	v_and_b32_e32 v4, 0x80000000, v4
	v_ffbh_u32_e32 v6, v5
	v_cmp_eq_u32_e32 vcc_lo, 0, v9
	v_min_u32_e32 v6, 32, v6
	v_subrev_nc_u32_e32 v7, 29, v6
	v_sub_nc_u32_e32 v6, 30, v6
	v_lshlrev_b32_e32 v3, v7, v3
	v_cndmask_b32_e32 v6, v9, v6, vcc_lo
	v_and_b32_e32 v3, 3, v3
	v_cndmask_b32_e32 v3, v5, v3, vcc_lo
	v_lshl_add_u32 v5, v6, 23, 0x37800000
	v_lshlrev_b32_e32 v3, 21, v3
	v_or3_b32 v3, v4, v5, v3
	v_cvt_f16_f32_e32 v3, v3
.LBB25_194:
	s_or_b32 exec_lo, exec_lo, s23
	s_mov_b32 s1, 0
	s_branch .LBB25_200
.LBB25_195:
	s_mov_b32 s23, -1
                                        ; implicit-def: $vgpr3
	s_branch .LBB25_206
.LBB25_196:
	s_or_saveexec_b32 s23, s23
	v_mov_b32_e32 v3, 0x7e00
	s_xor_b32 exec_lo, exec_lo, s23
	s_cbranch_execz .LBB25_180
.LBB25_197:
	v_cmp_ne_u16_e32 vcc_lo, 0, v4
	v_mov_b32_e32 v3, v4
	s_andn2_b32 s1, s1, exec_lo
	s_and_b32 s36, vcc_lo, exec_lo
	s_or_b32 s1, s1, s36
	s_or_b32 exec_lo, exec_lo, s23
	s_and_saveexec_b32 s23, s1
	s_cbranch_execnz .LBB25_181
	s_branch .LBB25_182
.LBB25_198:
	s_mov_b32 s1, -1
                                        ; implicit-def: $vgpr3
	s_branch .LBB25_203
.LBB25_199:
	s_mov_b32 s1, -1
                                        ; implicit-def: $vgpr3
.LBB25_200:
	s_and_b32 vcc_lo, exec_lo, s1
	s_cbranch_vccz .LBB25_202
; %bb.201:
	global_load_ubyte v3, v[1:2], off
	s_waitcnt vmcnt(0)
	v_lshlrev_b32_e32 v3, 24, v3
	v_and_b32_e32 v4, 0x7f000000, v3
	v_ffbh_u32_e32 v5, v4
	v_add_nc_u32_e32 v7, 0x1000000, v4
	v_cmp_ne_u32_e32 vcc_lo, 0, v4
	v_min_u32_e32 v5, 32, v5
	v_sub_nc_u32_e64 v5, v5, 4 clamp
	v_lshlrev_b32_e32 v6, v5, v4
	v_lshlrev_b32_e32 v5, 23, v5
	v_lshrrev_b32_e32 v6, 4, v6
	v_sub_nc_u32_e32 v5, v6, v5
	v_ashrrev_i32_e32 v6, 8, v7
	v_add_nc_u32_e32 v5, 0x3c000000, v5
	v_and_or_b32 v5, 0x7f800000, v6, v5
	v_cndmask_b32_e32 v4, 0, v5, vcc_lo
	v_and_or_b32 v3, 0x80000000, v3, v4
	v_cvt_f16_f32_e32 v3, v3
.LBB25_202:
	s_mov_b32 s1, 0
.LBB25_203:
	s_andn2_b32 vcc_lo, exec_lo, s1
	s_cbranch_vccnz .LBB25_205
; %bb.204:
	global_load_ubyte v3, v[1:2], off
	s_waitcnt vmcnt(0)
	v_lshlrev_b32_e32 v4, 25, v3
	v_lshlrev_b16 v3, 8, v3
	v_lshrrev_b32_e32 v5, 4, v4
	v_and_or_b32 v6, 0x7f00, v3, 0.5
	v_cmp_gt_u32_e32 vcc_lo, 0x8000000, v4
	v_bfe_i32 v3, v3, 0, 16
	v_or_b32_e32 v5, 0x70000000, v5
	v_add_f32_e32 v6, -0.5, v6
	v_mul_f32_e32 v5, 0x7800000, v5
	v_cndmask_b32_e32 v4, v5, v6, vcc_lo
	v_and_or_b32 v3, 0x80000000, v3, v4
	v_cvt_f16_f32_e32 v3, v3
.LBB25_205:
	s_mov_b32 s23, 0
	s_mov_b32 s1, -1
.LBB25_206:
	s_andn2_b32 vcc_lo, exec_lo, s23
	s_cbranch_vccnz .LBB25_219
; %bb.207:
	s_cmp_gt_i32 s0, 14
	s_cbranch_scc0 .LBB25_210
; %bb.208:
	s_cmp_eq_u32 s0, 15
	s_cbranch_scc0 .LBB25_213
; %bb.209:
	global_load_ushort v3, v[1:2], off
	s_mov_b32 s1, -1
	s_mov_b32 s22, 0
	s_waitcnt vmcnt(0)
	v_lshlrev_b32_e32 v3, 16, v3
	v_cvt_f16_f32_e32 v3, v3
	s_branch .LBB25_214
.LBB25_210:
	s_mov_b32 s23, -1
                                        ; implicit-def: $vgpr3
	s_branch .LBB25_215
.LBB25_211:
	s_or_saveexec_b32 s23, s23
	v_mov_b32_e32 v3, 0x7e00
	s_xor_b32 exec_lo, exec_lo, s23
	s_cbranch_execz .LBB25_192
.LBB25_212:
	v_cmp_ne_u16_e32 vcc_lo, 0, v4
	v_mov_b32_e32 v3, v4
	s_andn2_b32 s1, s1, exec_lo
	s_and_b32 s36, vcc_lo, exec_lo
	s_or_b32 s1, s1, s36
	s_or_b32 exec_lo, exec_lo, s23
	s_and_saveexec_b32 s23, s1
	s_cbranch_execnz .LBB25_193
	s_branch .LBB25_194
.LBB25_213:
	s_mov_b32 s22, -1
                                        ; implicit-def: $vgpr3
.LBB25_214:
	s_mov_b32 s23, 0
.LBB25_215:
	s_and_b32 vcc_lo, exec_lo, s23
	s_cbranch_vccz .LBB25_219
; %bb.216:
	s_cmp_eq_u32 s0, 11
	s_cbranch_scc0 .LBB25_218
; %bb.217:
	global_load_ubyte v3, v[1:2], off
	s_mov_b32 s22, 0
	s_mov_b32 s1, -1
	s_waitcnt vmcnt(0)
	v_cmp_ne_u16_e32 vcc_lo, 0, v3
	v_cndmask_b32_e64 v3, 0, 0x3c00, vcc_lo
	s_branch .LBB25_219
.LBB25_218:
	s_mov_b32 s22, -1
                                        ; implicit-def: $vgpr3
.LBB25_219:
	s_branch .LBB25_24
.LBB25_220:
	s_cmp_lt_i32 s0, 5
	s_cbranch_scc1 .LBB25_225
; %bb.221:
	s_cmp_lt_i32 s0, 8
	s_cbranch_scc1 .LBB25_226
; %bb.222:
	;; [unrolled: 3-line block ×3, first 2 shown]
	s_cmp_gt_i32 s0, 9
	s_cbranch_scc0 .LBB25_228
; %bb.224:
	global_load_dwordx2 v[3:4], v[1:2], off
	s_mov_b32 s1, 0
	s_waitcnt vmcnt(0)
	v_and_or_b32 v3, 0x1ff, v4, v3
	v_lshrrev_b32_e32 v5, 8, v4
	v_bfe_u32 v6, v4, 20, 11
	v_lshrrev_b32_e32 v4, 16, v4
	v_cmp_ne_u32_e32 vcc_lo, 0, v3
	v_sub_nc_u32_e32 v7, 0x3f1, v6
	v_add_nc_u32_e32 v6, 0xfffffc10, v6
	v_cndmask_b32_e64 v3, 0, 1, vcc_lo
	v_and_or_b32 v3, 0xffe, v5, v3
	v_med3_i32 v5, v7, 0, 13
	v_or_b32_e32 v7, 0x1000, v3
	v_lshrrev_b32_e32 v9, v5, v7
	v_lshlrev_b32_e32 v5, v5, v9
	v_cmp_ne_u32_e32 vcc_lo, v5, v7
	v_lshl_or_b32 v7, v6, 12, v3
	v_cndmask_b32_e64 v5, 0, 1, vcc_lo
	v_cmp_gt_i32_e32 vcc_lo, 1, v6
	v_or_b32_e32 v5, v9, v5
	v_cndmask_b32_e32 v5, v7, v5, vcc_lo
	v_and_b32_e32 v7, 7, v5
	v_lshrrev_b32_e32 v5, 2, v5
	v_cmp_lt_i32_e32 vcc_lo, 5, v7
	v_cndmask_b32_e64 v9, 0, 1, vcc_lo
	v_cmp_eq_u32_e32 vcc_lo, 3, v7
	v_cndmask_b32_e64 v7, 0, 1, vcc_lo
	v_cmp_ne_u32_e32 vcc_lo, 0, v3
	v_or_b32_e32 v7, v7, v9
	v_mov_b32_e32 v9, 0x7e00
	v_add_nc_u32_e32 v5, v5, v7
	v_cndmask_b32_e32 v3, 0x7c00, v9, vcc_lo
	v_cmp_gt_i32_e32 vcc_lo, 31, v6
	v_cndmask_b32_e32 v5, 0x7c00, v5, vcc_lo
	v_cmp_eq_u32_e32 vcc_lo, 0x40f, v6
	v_cndmask_b32_e32 v3, v5, v3, vcc_lo
	v_and_or_b32 v3, 0x8000, v4, v3
	s_branch .LBB25_229
.LBB25_225:
                                        ; implicit-def: $vgpr3
	s_branch .LBB25_247
.LBB25_226:
	s_mov_b32 s1, -1
                                        ; implicit-def: $vgpr3
	s_branch .LBB25_235
.LBB25_227:
	s_mov_b32 s1, -1
                                        ; implicit-def: $vgpr3
	s_branch .LBB25_232
.LBB25_228:
	s_mov_b32 s1, -1
                                        ; implicit-def: $vgpr3
.LBB25_229:
	s_andn2_b32 vcc_lo, exec_lo, s1
	s_cbranch_vccnz .LBB25_231
; %bb.230:
	global_load_dword v3, v[1:2], off
	s_waitcnt vmcnt(0)
	v_cvt_f16_f32_e32 v3, v3
.LBB25_231:
	s_mov_b32 s1, 0
.LBB25_232:
	s_andn2_b32 vcc_lo, exec_lo, s1
	s_cbranch_vccnz .LBB25_234
; %bb.233:
	global_load_dword v3, v[1:2], off
.LBB25_234:
	s_mov_b32 s1, 0
.LBB25_235:
	s_andn2_b32 vcc_lo, exec_lo, s1
	s_cbranch_vccnz .LBB25_246
; %bb.236:
	s_cmp_lt_i32 s0, 6
	s_cbranch_scc1 .LBB25_239
; %bb.237:
	s_cmp_gt_i32 s0, 6
	s_cbranch_scc0 .LBB25_240
; %bb.238:
	global_load_dwordx2 v[3:4], v[1:2], off
	s_mov_b32 s1, 0
	s_waitcnt vmcnt(0)
	v_and_or_b32 v3, 0x1ff, v4, v3
	v_lshrrev_b32_e32 v5, 8, v4
	v_bfe_u32 v6, v4, 20, 11
	v_lshrrev_b32_e32 v4, 16, v4
	v_cmp_ne_u32_e32 vcc_lo, 0, v3
	v_sub_nc_u32_e32 v7, 0x3f1, v6
	v_add_nc_u32_e32 v6, 0xfffffc10, v6
	v_cndmask_b32_e64 v3, 0, 1, vcc_lo
	v_and_or_b32 v3, 0xffe, v5, v3
	v_med3_i32 v5, v7, 0, 13
	v_or_b32_e32 v7, 0x1000, v3
	v_lshrrev_b32_e32 v9, v5, v7
	v_lshlrev_b32_e32 v5, v5, v9
	v_cmp_ne_u32_e32 vcc_lo, v5, v7
	v_lshl_or_b32 v7, v6, 12, v3
	v_cndmask_b32_e64 v5, 0, 1, vcc_lo
	v_cmp_gt_i32_e32 vcc_lo, 1, v6
	v_or_b32_e32 v5, v9, v5
	v_cndmask_b32_e32 v5, v7, v5, vcc_lo
	v_and_b32_e32 v7, 7, v5
	v_lshrrev_b32_e32 v5, 2, v5
	v_cmp_lt_i32_e32 vcc_lo, 5, v7
	v_cndmask_b32_e64 v9, 0, 1, vcc_lo
	v_cmp_eq_u32_e32 vcc_lo, 3, v7
	v_cndmask_b32_e64 v7, 0, 1, vcc_lo
	v_cmp_ne_u32_e32 vcc_lo, 0, v3
	v_or_b32_e32 v7, v7, v9
	v_mov_b32_e32 v9, 0x7e00
	v_add_nc_u32_e32 v5, v5, v7
	v_cndmask_b32_e32 v3, 0x7c00, v9, vcc_lo
	v_cmp_gt_i32_e32 vcc_lo, 31, v6
	v_cndmask_b32_e32 v5, 0x7c00, v5, vcc_lo
	v_cmp_eq_u32_e32 vcc_lo, 0x40f, v6
	v_cndmask_b32_e32 v3, v5, v3, vcc_lo
	v_and_or_b32 v3, 0x8000, v4, v3
	s_branch .LBB25_241
.LBB25_239:
	s_mov_b32 s1, -1
                                        ; implicit-def: $vgpr3
	s_branch .LBB25_244
.LBB25_240:
	s_mov_b32 s1, -1
                                        ; implicit-def: $vgpr3
.LBB25_241:
	s_andn2_b32 vcc_lo, exec_lo, s1
	s_cbranch_vccnz .LBB25_243
; %bb.242:
	global_load_dword v3, v[1:2], off
	s_waitcnt vmcnt(0)
	v_cvt_f16_f32_e32 v3, v3
.LBB25_243:
	s_mov_b32 s1, 0
.LBB25_244:
	s_andn2_b32 vcc_lo, exec_lo, s1
	s_cbranch_vccnz .LBB25_246
; %bb.245:
	global_load_ushort v3, v[1:2], off
.LBB25_246:
	s_cbranch_execnz .LBB25_266
.LBB25_247:
	s_cmp_lt_i32 s0, 2
	s_cbranch_scc1 .LBB25_251
; %bb.248:
	s_cmp_lt_i32 s0, 3
	s_cbranch_scc1 .LBB25_252
; %bb.249:
	s_cmp_gt_i32 s0, 3
	s_cbranch_scc0 .LBB25_253
; %bb.250:
	global_load_dwordx2 v[3:4], v[1:2], off
	s_mov_b32 s1, 0
	s_waitcnt vmcnt(0)
	v_xor_b32_e32 v5, v3, v4
	v_ffbh_i32_e32 v6, v4
	v_ashrrev_i32_e32 v5, 31, v5
	v_add_nc_u32_e32 v6, -1, v6
	v_add_nc_u32_e32 v5, 32, v5
	v_min_u32_e32 v5, v6, v5
	v_lshlrev_b64 v[3:4], v5, v[3:4]
	v_min_u32_e32 v3, 1, v3
	v_or_b32_e32 v3, v4, v3
	v_sub_nc_u32_e32 v4, 32, v5
	v_cvt_f32_i32_e32 v3, v3
	v_ldexp_f32 v3, v3, v4
	v_cvt_f16_f32_e32 v3, v3
	s_branch .LBB25_254
.LBB25_251:
	s_mov_b32 s1, -1
                                        ; implicit-def: $vgpr3
	s_branch .LBB25_260
.LBB25_252:
	s_mov_b32 s1, -1
                                        ; implicit-def: $vgpr3
	s_branch .LBB25_257
.LBB25_253:
	s_mov_b32 s1, -1
                                        ; implicit-def: $vgpr3
.LBB25_254:
	s_andn2_b32 vcc_lo, exec_lo, s1
	s_cbranch_vccnz .LBB25_256
; %bb.255:
	global_load_dword v3, v[1:2], off
	s_waitcnt vmcnt(0)
	v_cvt_f32_i32_e32 v3, v3
	v_cvt_f16_f32_e32 v3, v3
.LBB25_256:
	s_mov_b32 s1, 0
.LBB25_257:
	s_andn2_b32 vcc_lo, exec_lo, s1
	s_cbranch_vccnz .LBB25_259
; %bb.258:
	global_load_ushort v3, v[1:2], off
	s_waitcnt vmcnt(0)
	v_cvt_f16_i16_e32 v3, v3
.LBB25_259:
	s_mov_b32 s1, 0
.LBB25_260:
	s_andn2_b32 vcc_lo, exec_lo, s1
	s_cbranch_vccnz .LBB25_266
; %bb.261:
	s_cmp_gt_i32 s0, 0
	s_mov_b32 s0, 0
	s_cbranch_scc0 .LBB25_263
; %bb.262:
	global_load_sbyte v3, v[1:2], off
	s_waitcnt vmcnt(0)
	v_cvt_f16_i16_e32 v3, v3
	s_branch .LBB25_264
.LBB25_263:
	s_mov_b32 s0, -1
                                        ; implicit-def: $vgpr3
.LBB25_264:
	s_andn2_b32 vcc_lo, exec_lo, s0
	s_cbranch_vccnz .LBB25_266
; %bb.265:
	global_load_ubyte v1, v[1:2], off
	s_waitcnt vmcnt(0)
	v_cvt_f16_u16_e32 v3, v1
.LBB25_266:
	s_branch .LBB25_25
.LBB25_267:
	s_mov_b32 s0, 0
.LBB25_268:
	s_mov_b32 s1, 0
                                        ; implicit-def: $vgpr8
.LBB25_269:
	s_and_b32 s36, s0, exec_lo
	s_and_b32 s37, s22, exec_lo
	s_orn2_b32 s1, s1, exec_lo
.LBB25_270:
	s_or_b32 exec_lo, exec_lo, s38
	s_mov_b32 s22, 0
	s_mov_b32 s0, 0
                                        ; implicit-def: $vgpr1_vgpr2
                                        ; implicit-def: $vgpr0
                                        ; implicit-def: $vgpr4
	s_and_saveexec_b32 s38, s1
	s_cbranch_execz .LBB25_277
; %bb.271:
	s_mov_b32 s0, -1
	s_mov_b32 s39, s37
	s_mov_b32 s40, s36
	s_mov_b32 s41, exec_lo
	v_cmpx_gt_i32_e64 s33, v8
	s_cbranch_execz .LBB25_550
; %bb.272:
	s_andn2_b32 vcc_lo, exec_lo, s27
	s_cbranch_vccnz .LBB25_280
; %bb.273:
	s_andn2_b32 vcc_lo, exec_lo, s34
	s_cbranch_vccnz .LBB25_281
; %bb.274:
	s_add_i32 s40, s35, 1
	s_cmp_eq_u32 s25, 2
	s_cbranch_scc1 .LBB25_282
; %bb.275:
	v_mov_b32_e32 v2, 0
	v_mov_b32_e32 v0, 0
	;; [unrolled: 1-line block ×3, first 2 shown]
	s_and_b32 s39, s40, 28
	s_mov_b32 s42, 0
	s_mov_b64 s[0:1], s[2:3]
	s_mov_b64 s[22:23], s[20:21]
.LBB25_276:                             ; =>This Inner Loop Header: Depth=1
	s_clause 0x1
	s_load_dwordx8 s[44:51], s[0:1], 0x4
	s_load_dwordx4 s[60:63], s[0:1], 0x24
	s_load_dwordx8 s[52:59], s[22:23], 0x0
	s_add_u32 s0, s0, 48
	s_addc_u32 s1, s1, 0
	s_add_i32 s42, s42, 4
	s_add_u32 s22, s22, 32
	s_addc_u32 s23, s23, 0
	s_cmp_eq_u32 s39, s42
	s_waitcnt vmcnt(0) lgkmcnt(0)
	v_mul_hi_u32 v3, s45, v1
	v_add_nc_u32_e32 v3, v1, v3
	v_lshrrev_b32_e32 v3, s46, v3
	v_mul_hi_u32 v4, s48, v3
	v_mul_lo_u32 v6, v3, s44
	v_add_nc_u32_e32 v4, v3, v4
	v_sub_nc_u32_e32 v1, v1, v6
	v_lshrrev_b32_e32 v4, s49, v4
	v_mul_lo_u32 v6, v1, s52
	v_mul_lo_u32 v9, v1, s53
	v_mul_hi_u32 v5, s51, v4
	v_add_nc_u32_e32 v5, v4, v5
	v_lshrrev_b32_e32 v5, s60, v5
	v_mul_hi_u32 v7, s62, v5
	v_mul_lo_u32 v10, v5, s50
	v_add_nc_u32_e32 v1, v5, v7
	v_mul_lo_u32 v7, v4, s47
	v_sub_nc_u32_e32 v4, v4, v10
	v_lshrrev_b32_e32 v1, s63, v1
	v_mul_lo_u32 v10, v4, s56
	v_mul_lo_u32 v4, v4, s57
	v_sub_nc_u32_e32 v3, v3, v7
	v_mul_lo_u32 v11, v1, s61
	v_mul_lo_u32 v7, v3, s54
	;; [unrolled: 1-line block ×3, first 2 shown]
	v_sub_nc_u32_e32 v5, v5, v11
	v_add3_u32 v0, v6, v0, v7
	v_mul_lo_u32 v11, v5, s58
	v_mul_lo_u32 v5, v5, s59
	v_add3_u32 v2, v9, v2, v3
	v_add3_u32 v0, v10, v0, v11
	;; [unrolled: 1-line block ×3, first 2 shown]
	s_cbranch_scc0 .LBB25_276
	s_branch .LBB25_283
.LBB25_277:
	s_or_b32 exec_lo, exec_lo, s38
	s_waitcnt lgkmcnt(0)
	s_mov_b32 s6, 0
	s_and_saveexec_b32 s1, s37
	s_cbranch_execnz .LBB25_931
.LBB25_278:
	s_or_b32 exec_lo, exec_lo, s1
	s_and_saveexec_b32 s1, s39
	s_xor_b32 s1, exec_lo, s1
	s_cbranch_execz .LBB25_932
.LBB25_279:
	global_load_ubyte v3, v[1:2], off
	s_or_b32 s0, s0, exec_lo
	s_waitcnt vmcnt(0)
	v_cmp_ne_u16_e32 vcc_lo, 0, v3
	v_cndmask_b32_e64 v4, 0, 0x3c00, vcc_lo
	s_or_b32 exec_lo, exec_lo, s1
	s_and_saveexec_b32 s1, s22
	s_cbranch_execz .LBB25_978
	s_branch .LBB25_933
.LBB25_280:
                                        ; implicit-def: $vgpr0
                                        ; implicit-def: $vgpr2
	s_andn2_b32 vcc_lo, exec_lo, s0
	s_cbranch_vccz .LBB25_287
	s_branch .LBB25_289
.LBB25_281:
	v_mov_b32_e32 v0, 0
	v_mov_b32_e32 v2, 0
	s_branch .LBB25_286
.LBB25_282:
	v_mov_b32_e32 v0, 0
	v_mov_b32_e32 v2, 0
	;; [unrolled: 1-line block ×3, first 2 shown]
	s_mov_b32 s39, 0
.LBB25_283:
	s_and_b32 s40, s40, 3
	s_cmp_eq_u32 s40, 0
	s_cbranch_scc1 .LBB25_286
; %bb.284:
	s_lshl_b32 s0, s39, 3
	s_mul_i32 s22, s39, 12
	s_add_u32 s0, s2, s0
	s_addc_u32 s1, s3, 0
	s_add_u32 s0, s0, 0xc4
	s_addc_u32 s1, s1, 0
	;; [unrolled: 2-line block ×3, first 2 shown]
	.p2align	6
.LBB25_285:                             ; =>This Inner Loop Header: Depth=1
	s_clause 0x1
	s_load_dwordx2 s[42:43], s[22:23], 0x4
	s_load_dword s39, s[22:23], 0xc
	s_load_dwordx2 s[44:45], s[0:1], 0x0
	s_add_u32 s22, s22, 12
	s_addc_u32 s23, s23, 0
	s_add_u32 s0, s0, 8
	s_addc_u32 s1, s1, 0
	s_add_i32 s40, s40, -1
	s_cmp_lg_u32 s40, 0
	s_waitcnt vmcnt(0) lgkmcnt(0)
	v_mul_hi_u32 v3, s43, v1
	v_add_nc_u32_e32 v3, v1, v3
	v_lshrrev_b32_e32 v4, s39, v3
	v_mul_lo_u32 v3, v4, s42
	v_sub_nc_u32_e32 v3, v1, v3
	v_mad_u64_u32 v[0:1], null, v3, s44, v[0:1]
	v_mad_u64_u32 v[2:3], null, v3, s45, v[2:3]
	v_mov_b32_e32 v1, v4
	s_cbranch_scc1 .LBB25_285
.LBB25_286:
	s_cbranch_execnz .LBB25_289
.LBB25_287:
	s_waitcnt lgkmcnt(0)
	v_mul_hi_u32 v0, s17, v8
	s_andn2_b32 vcc_lo, exec_lo, s31
	v_add_nc_u32_e32 v0, v8, v0
	v_lshrrev_b32_e32 v1, s18, v0
	v_mul_lo_u32 v0, v1, s16
	v_sub_nc_u32_e32 v2, v8, v0
	v_mul_lo_u32 v0, v2, s12
	v_mul_lo_u32 v2, v2, s13
	s_cbranch_vccnz .LBB25_289
; %bb.288:
	s_waitcnt vmcnt(0)
	v_mul_hi_u32 v3, s6, v1
	v_add_nc_u32_e32 v3, v1, v3
	v_lshrrev_b32_e32 v3, s7, v3
	v_mul_lo_u32 v3, v3, s19
	v_sub_nc_u32_e32 v3, v1, v3
	v_mad_u64_u32 v[0:1], null, v3, s14, v[0:1]
	v_mad_u64_u32 v[2:3], null, v3, s15, v[2:3]
.LBB25_289:
	s_waitcnt lgkmcnt(0)
	v_add_co_u32 v1, s0, s10, v2
	v_add_co_ci_u32_e64 v2, null, s11, 0, s0
	s_and_b32 s0, 0xffff, s30
	s_cmp_lt_i32 s0, 11
	s_cbranch_scc1 .LBB25_296
; %bb.290:
	s_cmp_gt_i32 s0, 25
	s_cbranch_scc0 .LBB25_349
; %bb.291:
	s_cmp_gt_i32 s0, 28
	s_cbranch_scc0 .LBB25_350
	;; [unrolled: 3-line block ×4, first 2 shown]
; %bb.294:
	s_cmp_eq_u32 s0, 46
	s_mov_b32 s23, 0
	s_cbranch_scc0 .LBB25_360
; %bb.295:
	global_load_dword v3, v[1:2], off
	s_mov_b32 s1, -1
	s_mov_b32 s22, 0
	s_waitcnt vmcnt(0)
	v_lshlrev_b32_e32 v3, 16, v3
	v_cvt_f16_f32_e32 v3, v3
	s_branch .LBB25_362
.LBB25_296:
	s_mov_b32 s1, 0
	s_mov_b32 s22, s37
                                        ; implicit-def: $vgpr3
	s_cbranch_execnz .LBB25_499
.LBB25_297:
	s_andn2_b32 vcc_lo, exec_lo, s1
	s_cbranch_vccnz .LBB25_547
.LBB25_298:
	s_waitcnt vmcnt(0)
	v_cvt_f32_f16_e32 v1, v3
                                        ; implicit-def: $vgpr4
                                        ; implicit-def: $vgpr3
	s_mov_b32 s1, exec_lo
	v_and_b32_e32 v2, 0x7fffffff, v1
	v_cmpx_ngt_f32_e64 0x48000000, |v1|
	s_xor_b32 s23, exec_lo, s1
	s_cbranch_execz .LBB25_300
; %bb.299:
	s_mov_b32 s0, 0x7fffff
	v_mov_b32_e32 v5, 0
	v_and_or_b32 v14, v2, s0, 0x800000
	v_mad_u64_u32 v[3:4], null, 0xfe5163ab, v14, 0
	v_mad_u64_u32 v[6:7], null, 0x3c439041, v14, v[4:5]
	v_mov_b32_e32 v4, v7
	v_lshrrev_b32_e32 v7, 23, v2
	v_mad_u64_u32 v[9:10], null, 0xdb629599, v14, v[4:5]
	v_add_nc_u32_e32 v7, 0xffffff88, v7
	v_cmp_lt_u32_e32 vcc_lo, 63, v7
	v_mov_b32_e32 v4, v10
	v_cndmask_b32_e64 v13, 0, 0xffffffc0, vcc_lo
	v_mad_u64_u32 v[10:11], null, 0xf534ddc0, v14, v[4:5]
	v_cndmask_b32_e32 v3, v9, v3, vcc_lo
	v_add_nc_u32_e32 v7, v13, v7
	v_mov_b32_e32 v4, v11
	v_cmp_lt_u32_e64 s0, 31, v7
	v_cndmask_b32_e32 v6, v10, v6, vcc_lo
	v_mad_u64_u32 v[11:12], null, 0xfc2757d1, v14, v[4:5]
	v_cndmask_b32_e64 v15, 0, 0xffffffe0, s0
	v_cndmask_b32_e64 v3, v6, v3, s0
	v_add_nc_u32_e32 v7, v15, v7
	v_mov_b32_e32 v4, v12
	v_cmp_lt_u32_e64 s1, 31, v7
	v_mad_u64_u32 v[12:13], null, 0x4e441529, v14, v[4:5]
	v_mov_b32_e32 v4, v13
	v_cndmask_b32_e64 v13, 0, 0xffffffe0, s1
	v_mad_u64_u32 v[4:5], null, 0xa2f9836e, v14, v[4:5]
	v_cndmask_b32_e32 v14, v12, v10, vcc_lo
	v_add_nc_u32_e32 v7, v13, v7
	v_cndmask_b32_e32 v4, v4, v11, vcc_lo
	v_cndmask_b32_e32 v5, v5, v12, vcc_lo
	;; [unrolled: 1-line block ×3, first 2 shown]
	v_sub_nc_u32_e32 v12, 32, v7
	v_cmp_eq_u32_e32 vcc_lo, 0, v7
	v_cndmask_b32_e64 v10, v4, v14, s0
	v_cndmask_b32_e64 v4, v5, v4, s0
	;; [unrolled: 1-line block ×8, first 2 shown]
	v_alignbit_b32 v13, v4, v10, v12
	v_alignbit_b32 v9, v10, v5, v12
	;; [unrolled: 1-line block ×3, first 2 shown]
	v_cndmask_b32_e32 v4, v13, v4, vcc_lo
	v_cndmask_b32_e32 v6, v9, v10, vcc_lo
	;; [unrolled: 1-line block ×3, first 2 shown]
	v_bfe_u32 v7, v4, 29, 1
	v_alignbit_b32 v9, v4, v6, 30
	v_alignbit_b32 v6, v6, v5, 30
	;; [unrolled: 1-line block ×3, first 2 shown]
	v_sub_nc_u32_e32 v10, 0, v7
	v_xor_b32_e32 v9, v9, v10
	v_xor_b32_e32 v5, v6, v10
	;; [unrolled: 1-line block ×3, first 2 shown]
	v_lshrrev_b32_e32 v10, 29, v4
	v_lshrrev_b32_e32 v4, 30, v4
	v_ffbh_u32_e32 v11, v9
	v_add_nc_u32_e32 v4, v7, v4
	v_min_u32_e32 v11, 32, v11
	v_sub_nc_u32_e32 v6, 31, v11
	v_lshlrev_b32_e32 v12, 23, v11
	v_alignbit_b32 v9, v9, v5, v6
	v_alignbit_b32 v3, v5, v3, v6
	v_lshlrev_b32_e32 v5, 31, v10
	v_alignbit_b32 v6, v9, v3, 9
	v_or_b32_e32 v10, 0.5, v5
	v_lshrrev_b32_e32 v9, 9, v9
	v_or_b32_e32 v5, 0x33000000, v5
	v_ffbh_u32_e32 v13, v6
	v_sub_nc_u32_e32 v10, v10, v12
	v_min_u32_e32 v12, 32, v13
	v_or_b32_e32 v9, v9, v10
	v_not_b32_e32 v10, v12
	v_mul_f32_e32 v13, 0x3fc90fda, v9
	v_add_lshl_u32 v11, v12, v11, 23
	v_alignbit_b32 v3, v6, v3, v10
	v_fma_f32 v6, 0x3fc90fda, v9, -v13
	v_sub_nc_u32_e32 v5, v5, v11
	v_lshrrev_b32_e32 v3, 9, v3
	v_fmamk_f32 v6, v9, 0x33a22168, v6
	v_or_b32_e32 v3, v5, v3
	v_fmac_f32_e32 v6, 0x3fc90fda, v3
	v_add_f32_e32 v3, v13, v6
.LBB25_300:
	s_andn2_saveexec_b32 s0, s23
; %bb.301:
	v_mul_f32_e64 v3, 0x3f22f983, |v1|
	v_rndne_f32_e32 v4, v3
	v_fma_f32 v3, 0xbfc90fda, v4, |v1|
	v_fmamk_f32 v3, v4, 0xb3a22168, v3
	v_fmamk_f32 v3, v4, 0xa7c234c4, v3
	v_cvt_i32_f32_e32 v4, v4
; %bb.302:
	s_or_b32 exec_lo, exec_lo, s0
	v_mul_f32_e32 v5, v3, v3
	s_mov_b32 s0, 0xb94c1982
	s_mov_b32 s1, 0x37d75334
	v_and_b32_e32 v9, 1, v4
	v_lshlrev_b32_e32 v4, 30, v4
	v_fmaak_f32 v6, s0, v5, 0x3c0881c4
	v_fmaak_f32 v7, s1, v5, 0xbab64f3b
	v_xor_b32_e32 v2, v2, v1
	v_cmp_eq_u32_e32 vcc_lo, 0, v9
	v_and_b32_e32 v4, 0x80000000, v4
	v_fmaak_f32 v6, v5, v6, 0xbe2aaa9d
	v_fmaak_f32 v7, v5, v7, 0x3d2aabf7
	v_add_co_u32 v0, s0, s8, v0
	s_and_b32 s1, s29, 0xff
	v_mul_f32_e32 v6, v5, v6
	v_fmaak_f32 v7, v5, v7, 0xbf000004
	s_mov_b32 s39, 0
	s_mov_b32 s23, -1
	s_cmp_lt_i32 s1, 11
	v_fmac_f32_e32 v3, v3, v6
	v_fma_f32 v5, v5, v7, 1.0
	v_cndmask_b32_e32 v3, v5, v3, vcc_lo
	v_cmp_class_f32_e64 vcc_lo, v1, 0x1f8
	v_add_co_ci_u32_e64 v1, null, s9, 0, s0
	s_mov_b32 s0, s36
	v_xor3_b32 v2, v2, v4, v3
	v_cndmask_b32_e32 v2, 0x7fc00000, v2, vcc_lo
	v_cvt_f16_f32_e32 v2, v2
	s_cbranch_scc1 .LBB25_309
; %bb.303:
	s_and_b32 s23, 0xffff, s1
	s_cmp_gt_i32 s23, 25
	s_cbranch_scc0 .LBB25_351
; %bb.304:
	s_cmp_gt_i32 s23, 28
	s_cbranch_scc0 .LBB25_353
; %bb.305:
	;; [unrolled: 3-line block ×4, first 2 shown]
	s_mov_b32 s40, 0
	s_mov_b32 s0, -1
	s_cmp_eq_u32 s23, 46
	s_cbranch_scc0 .LBB25_366
; %bb.308:
	v_cvt_f32_f16_e32 v3, v2
	v_cmp_o_f16_e32 vcc_lo, v2, v2
	s_mov_b32 s39, -1
	s_mov_b32 s0, 0
	v_bfe_u32 v4, v3, 16, 1
	v_add3_u32 v3, v3, v4, 0x7fff
	v_mov_b32_e32 v4, 0x7fc0
	v_cndmask_b32_sdwa v3, v4, v3, vcc_lo dst_sel:DWORD dst_unused:UNUSED_PAD src0_sel:DWORD src1_sel:WORD_1
	global_store_dword v[0:1], v3, off
	s_branch .LBB25_366
.LBB25_309:
	s_and_b32 vcc_lo, exec_lo, s23
	s_cbranch_vccz .LBB25_435
; %bb.310:
	s_and_b32 s1, 0xffff, s1
	s_mov_b32 s23, -1
	s_cmp_lt_i32 s1, 5
	s_cbranch_scc1 .LBB25_331
; %bb.311:
	s_cmp_lt_i32 s1, 8
	s_cbranch_scc1 .LBB25_321
; %bb.312:
	;; [unrolled: 3-line block ×3, first 2 shown]
	s_cmp_gt_i32 s1, 9
	s_cbranch_scc0 .LBB25_315
; %bb.314:
	v_cvt_f32_f16_e32 v3, v2
	v_mov_b32_e32 v5, 0
	s_mov_b32 s23, 0
	v_cvt_f64_f32_e32 v[3:4], v3
	v_mov_b32_e32 v6, v5
	global_store_dwordx4 v[0:1], v[3:6], off
.LBB25_315:
	s_andn2_b32 vcc_lo, exec_lo, s23
	s_cbranch_vccnz .LBB25_317
; %bb.316:
	v_cvt_f32_f16_e32 v3, v2
	v_mov_b32_e32 v4, 0
	global_store_dwordx2 v[0:1], v[3:4], off
.LBB25_317:
	s_mov_b32 s23, 0
.LBB25_318:
	s_andn2_b32 vcc_lo, exec_lo, s23
	s_cbranch_vccnz .LBB25_320
; %bb.319:
	v_and_b32_e32 v3, 0xffff, v2
	global_store_dword v[0:1], v3, off
.LBB25_320:
	s_mov_b32 s23, 0
.LBB25_321:
	s_andn2_b32 vcc_lo, exec_lo, s23
	s_cbranch_vccnz .LBB25_330
; %bb.322:
	s_cmp_lt_i32 s1, 6
	s_mov_b32 s23, -1
	s_cbranch_scc1 .LBB25_328
; %bb.323:
	s_cmp_gt_i32 s1, 6
	s_cbranch_scc0 .LBB25_325
; %bb.324:
	v_cvt_f32_f16_e32 v3, v2
	s_mov_b32 s23, 0
	v_cvt_f64_f32_e32 v[3:4], v3
	global_store_dwordx2 v[0:1], v[3:4], off
.LBB25_325:
	s_andn2_b32 vcc_lo, exec_lo, s23
	s_cbranch_vccnz .LBB25_327
; %bb.326:
	v_cvt_f32_f16_e32 v3, v2
	global_store_dword v[0:1], v3, off
.LBB25_327:
	s_mov_b32 s23, 0
.LBB25_328:
	s_andn2_b32 vcc_lo, exec_lo, s23
	s_cbranch_vccnz .LBB25_330
; %bb.329:
	global_store_short v[0:1], v2, off
.LBB25_330:
	s_mov_b32 s23, 0
.LBB25_331:
	s_andn2_b32 vcc_lo, exec_lo, s23
	s_cbranch_vccnz .LBB25_347
; %bb.332:
	s_cmp_lt_i32 s1, 2
	s_mov_b32 s23, -1
	s_cbranch_scc1 .LBB25_342
; %bb.333:
	s_cmp_lt_i32 s1, 3
	s_cbranch_scc1 .LBB25_339
; %bb.334:
	s_cmp_gt_i32 s1, 3
	s_cbranch_scc0 .LBB25_336
; %bb.335:
	v_cvt_f32_f16_e32 v3, v2
	s_mov_b32 s23, 0
	v_cvt_i32_f32_e32 v3, v3
	v_ashrrev_i32_e32 v4, 31, v3
	global_store_dwordx2 v[0:1], v[3:4], off
.LBB25_336:
	s_andn2_b32 vcc_lo, exec_lo, s23
	s_cbranch_vccnz .LBB25_338
; %bb.337:
	v_cvt_f32_f16_e32 v3, v2
	v_cvt_i32_f32_e32 v3, v3
	global_store_dword v[0:1], v3, off
.LBB25_338:
	s_mov_b32 s23, 0
.LBB25_339:
	s_andn2_b32 vcc_lo, exec_lo, s23
	s_cbranch_vccnz .LBB25_341
; %bb.340:
	v_cvt_i16_f16_e32 v3, v2
	global_store_short v[0:1], v3, off
.LBB25_341:
	s_mov_b32 s23, 0
.LBB25_342:
	s_andn2_b32 vcc_lo, exec_lo, s23
	s_cbranch_vccnz .LBB25_347
; %bb.343:
	s_cmp_gt_i32 s1, 0
	s_mov_b32 s1, -1
	s_cbranch_scc0 .LBB25_345
; %bb.344:
	v_cvt_i16_f16_e32 v3, v2
	s_mov_b32 s1, 0
	global_store_byte v[0:1], v3, off
.LBB25_345:
	s_andn2_b32 vcc_lo, exec_lo, s1
	s_cbranch_vccnz .LBB25_347
; %bb.346:
	v_cvt_f32_f16_e32 v2, v2
	v_cvt_i32_f32_e32 v2, v2
	global_store_byte v[0:1], v2, off
.LBB25_347:
	s_branch .LBB25_436
.LBB25_348:
	s_mov_b32 s1, 0
	s_branch .LBB25_548
.LBB25_349:
	s_mov_b32 s23, -1
	s_mov_b32 s1, 0
	s_mov_b32 s22, s37
                                        ; implicit-def: $vgpr3
	s_branch .LBB25_463
.LBB25_350:
	s_mov_b32 s23, -1
	s_mov_b32 s1, 0
	s_mov_b32 s22, s37
                                        ; implicit-def: $vgpr3
	s_branch .LBB25_444
.LBB25_351:
	s_mov_b32 s40, -1
	s_mov_b32 s0, s36
	s_branch .LBB25_393
.LBB25_352:
	s_mov_b32 s23, -1
	s_mov_b32 s1, 0
	s_mov_b32 s22, s37
                                        ; implicit-def: $vgpr3
	s_branch .LBB25_439
.LBB25_353:
	s_mov_b32 s40, -1
	s_mov_b32 s0, s36
	s_branch .LBB25_376
.LBB25_354:
	s_andn2_saveexec_b32 s40, s40
	s_cbranch_execz .LBB25_109
.LBB25_355:
	v_add_f32_e64 v4, 0x46000000, |v3|
	s_andn2_b32 s37, s37, exec_lo
	v_and_b32_e32 v4, 0xff, v4
	v_cmp_ne_u32_e32 vcc_lo, 0, v4
	s_and_b32 s41, vcc_lo, exec_lo
	s_or_b32 s37, s37, s41
	s_or_b32 exec_lo, exec_lo, s40
	v_mov_b32_e32 v5, 0
	s_and_saveexec_b32 s40, s37
	s_cbranch_execnz .LBB25_110
	s_branch .LBB25_111
.LBB25_356:
	s_mov_b32 s23, -1
	s_mov_b32 s1, 0
	s_mov_b32 s22, s37
	s_branch .LBB25_361
.LBB25_357:
	s_mov_b32 s40, -1
	s_mov_b32 s0, s36
	s_branch .LBB25_372
.LBB25_358:
	s_andn2_saveexec_b32 s40, s40
	s_cbranch_execz .LBB25_122
.LBB25_359:
	v_add_f32_e64 v4, 0x42800000, |v3|
	s_andn2_b32 s37, s37, exec_lo
	v_and_b32_e32 v4, 0xff, v4
	v_cmp_ne_u32_e32 vcc_lo, 0, v4
	s_and_b32 s41, vcc_lo, exec_lo
	s_or_b32 s37, s37, s41
	s_or_b32 exec_lo, exec_lo, s40
	v_mov_b32_e32 v5, 0
	s_and_saveexec_b32 s40, s37
	s_cbranch_execnz .LBB25_123
	s_branch .LBB25_124
.LBB25_360:
	s_mov_b32 s22, -1
	s_mov_b32 s1, 0
.LBB25_361:
                                        ; implicit-def: $vgpr3
.LBB25_362:
	s_and_b32 vcc_lo, exec_lo, s23
	s_cbranch_vccz .LBB25_438
; %bb.363:
	s_cmp_eq_u32 s0, 44
	s_cbranch_scc0 .LBB25_437
; %bb.364:
	global_load_ubyte v3, v[1:2], off
	s_mov_b32 s22, 0
	s_mov_b32 s1, -1
	s_waitcnt vmcnt(0)
	v_lshlrev_b32_e32 v4, 23, v3
	v_cmp_ne_u32_e32 vcc_lo, 0xff, v3
	v_cvt_f16_f32_e32 v4, v4
	v_cndmask_b32_e32 v4, 0x7e00, v4, vcc_lo
	v_cmp_ne_u32_e32 vcc_lo, 0, v3
	v_cndmask_b32_e32 v3, 0, v4, vcc_lo
	s_branch .LBB25_438
.LBB25_365:
	s_mov_b32 s40, -1
	s_mov_b32 s0, s36
.LBB25_366:
	s_and_b32 vcc_lo, exec_lo, s40
	s_cbranch_vccz .LBB25_371
; %bb.367:
	s_cmp_eq_u32 s23, 44
	s_mov_b32 s0, -1
	s_cbranch_scc0 .LBB25_371
; %bb.368:
	v_cvt_f32_f16_e32 v3, v2
	v_mov_b32_e32 v4, 0xff
	s_mov_b32 s39, exec_lo
	v_bfe_u32 v5, v3, 23, 8
	v_cmpx_ne_u32_e32 0xff, v5
	s_cbranch_execz .LBB25_370
; %bb.369:
	v_and_b32_e32 v4, 0x400000, v3
	v_and_or_b32 v5, 0x3fffff, v3, v5
	v_lshrrev_b32_e32 v3, 23, v3
	v_cmp_ne_u32_e32 vcc_lo, 0, v4
	v_cmp_ne_u32_e64 s0, 0, v5
	s_and_b32 s0, vcc_lo, s0
	v_cndmask_b32_e64 v4, 0, 1, s0
	v_add_nc_u32_e32 v4, v3, v4
.LBB25_370:
	s_or_b32 exec_lo, exec_lo, s39
	s_mov_b32 s39, -1
	s_mov_b32 s0, 0
	global_store_byte v[0:1], v4, off
.LBB25_371:
	s_mov_b32 s40, 0
.LBB25_372:
	s_and_b32 vcc_lo, exec_lo, s40
	s_cbranch_vccz .LBB25_375
; %bb.373:
	s_cmp_eq_u32 s23, 29
	s_mov_b32 s0, -1
	s_cbranch_scc0 .LBB25_375
; %bb.374:
	v_cvt_f32_f16_e32 v3, v2
	v_mov_b32_e32 v4, 0
	s_mov_b32 s39, -1
	s_mov_b32 s0, 0
	s_mov_b32 s40, 0
	v_cvt_u32_f32_e32 v3, v3
	global_store_dwordx2 v[0:1], v[3:4], off
	s_branch .LBB25_376
.LBB25_375:
	s_mov_b32 s40, 0
.LBB25_376:
	s_and_b32 vcc_lo, exec_lo, s40
	s_cbranch_vccz .LBB25_392
; %bb.377:
	s_cmp_lt_i32 s23, 27
	s_mov_b32 s39, -1
	s_cbranch_scc1 .LBB25_383
; %bb.378:
	s_cmp_gt_i32 s23, 27
	s_cbranch_scc0 .LBB25_380
; %bb.379:
	v_cvt_f32_f16_e32 v3, v2
	s_mov_b32 s39, 0
	v_cvt_u32_f32_e32 v3, v3
	global_store_dword v[0:1], v3, off
.LBB25_380:
	s_andn2_b32 vcc_lo, exec_lo, s39
	s_cbranch_vccnz .LBB25_382
; %bb.381:
	v_cvt_u16_f16_e32 v3, v2
	global_store_short v[0:1], v3, off
.LBB25_382:
	s_mov_b32 s39, 0
.LBB25_383:
	s_andn2_b32 vcc_lo, exec_lo, s39
	s_cbranch_vccnz .LBB25_391
; %bb.384:
	v_cvt_f32_f16_e32 v3, v2
	v_mov_b32_e32 v5, 0x80
	s_mov_b32 s39, exec_lo
	v_and_b32_e32 v4, 0x7fffffff, v3
	v_cmpx_gt_u32_e32 0x43800000, v4
	s_cbranch_execz .LBB25_390
; %bb.385:
	v_cmp_lt_u32_e32 vcc_lo, 0x3bffffff, v4
	s_mov_b32 s40, 0
                                        ; implicit-def: $vgpr4
	s_and_saveexec_b32 s42, vcc_lo
	s_xor_b32 s42, exec_lo, s42
	s_cbranch_execz .LBB25_578
; %bb.386:
	v_bfe_u32 v4, v3, 20, 1
	s_mov_b32 s40, exec_lo
	v_add3_u32 v4, v3, v4, 0x487ffff
	v_lshrrev_b32_e32 v4, 20, v4
	s_andn2_saveexec_b32 s42, s42
	s_cbranch_execnz .LBB25_579
.LBB25_387:
	s_or_b32 exec_lo, exec_lo, s42
	v_mov_b32_e32 v5, 0
	s_and_saveexec_b32 s42, s40
.LBB25_388:
	v_lshrrev_b32_e32 v3, 24, v3
	v_and_or_b32 v5, 0x80, v3, v4
.LBB25_389:
	s_or_b32 exec_lo, exec_lo, s42
.LBB25_390:
	s_or_b32 exec_lo, exec_lo, s39
	global_store_byte v[0:1], v5, off
.LBB25_391:
	s_mov_b32 s39, -1
.LBB25_392:
	s_mov_b32 s40, 0
.LBB25_393:
	s_and_b32 vcc_lo, exec_lo, s40
	s_cbranch_vccz .LBB25_434
; %bb.394:
	s_cmp_gt_i32 s23, 22
	s_mov_b32 s40, -1
	s_cbranch_scc0 .LBB25_426
; %bb.395:
	s_cmp_lt_i32 s23, 24
	s_mov_b32 s39, -1
	s_cbranch_scc1 .LBB25_415
; %bb.396:
	s_cmp_gt_i32 s23, 24
	s_cbranch_scc0 .LBB25_404
; %bb.397:
	v_cvt_f32_f16_e32 v3, v2
	v_mov_b32_e32 v5, 0x80
	s_mov_b32 s39, exec_lo
	v_and_b32_e32 v4, 0x7fffffff, v3
	v_cmpx_gt_u32_e32 0x47800000, v4
	s_cbranch_execz .LBB25_403
; %bb.398:
	v_cmp_lt_u32_e32 vcc_lo, 0x37ffffff, v4
	s_mov_b32 s40, 0
                                        ; implicit-def: $vgpr4
	s_and_saveexec_b32 s42, vcc_lo
	s_xor_b32 s42, exec_lo, s42
	s_cbranch_execz .LBB25_581
; %bb.399:
	v_bfe_u32 v4, v3, 21, 1
	s_mov_b32 s40, exec_lo
	v_add3_u32 v4, v3, v4, 0x88fffff
	v_lshrrev_b32_e32 v4, 21, v4
	s_andn2_saveexec_b32 s42, s42
	s_cbranch_execnz .LBB25_582
.LBB25_400:
	s_or_b32 exec_lo, exec_lo, s42
	v_mov_b32_e32 v5, 0
	s_and_saveexec_b32 s42, s40
.LBB25_401:
	v_lshrrev_b32_e32 v3, 24, v3
	v_and_or_b32 v5, 0x80, v3, v4
.LBB25_402:
	s_or_b32 exec_lo, exec_lo, s42
.LBB25_403:
	s_or_b32 exec_lo, exec_lo, s39
	s_mov_b32 s39, 0
	global_store_byte v[0:1], v5, off
.LBB25_404:
	s_and_b32 vcc_lo, exec_lo, s39
	s_cbranch_vccz .LBB25_414
; %bb.405:
	v_cvt_f32_f16_e32 v3, v2
	s_mov_b32 s39, exec_lo
                                        ; implicit-def: $vgpr4
	v_and_b32_e32 v5, 0x7fffffff, v3
	v_cmpx_gt_u32_e32 0x43f00000, v5
	s_xor_b32 s39, exec_lo, s39
	s_cbranch_execz .LBB25_411
; %bb.406:
	s_mov_b32 s40, exec_lo
                                        ; implicit-def: $vgpr4
	v_cmpx_lt_u32_e32 0x3c7fffff, v5
	s_xor_b32 s40, exec_lo, s40
; %bb.407:
	v_bfe_u32 v4, v3, 20, 1
	v_add3_u32 v4, v3, v4, 0x407ffff
	v_and_b32_e32 v5, 0xff00000, v4
	v_lshrrev_b32_e32 v4, 20, v4
	v_cmp_ne_u32_e32 vcc_lo, 0x7f00000, v5
	v_cndmask_b32_e32 v4, 0x7e, v4, vcc_lo
; %bb.408:
	s_andn2_saveexec_b32 s40, s40
; %bb.409:
	v_add_f32_e64 v4, 0x46800000, |v3|
; %bb.410:
	s_or_b32 exec_lo, exec_lo, s40
                                        ; implicit-def: $vgpr5
.LBB25_411:
	s_andn2_saveexec_b32 s39, s39
; %bb.412:
	v_mov_b32_e32 v4, 0x7f
	v_cmp_lt_u32_e32 vcc_lo, 0x7f800000, v5
	v_cndmask_b32_e32 v4, 0x7e, v4, vcc_lo
; %bb.413:
	s_or_b32 exec_lo, exec_lo, s39
	v_lshrrev_b32_e32 v3, 24, v3
	v_and_or_b32 v3, 0x80, v3, v4
	global_store_byte v[0:1], v3, off
.LBB25_414:
	s_mov_b32 s39, 0
.LBB25_415:
	s_andn2_b32 vcc_lo, exec_lo, s39
	s_cbranch_vccnz .LBB25_425
; %bb.416:
	v_cvt_f32_f16_e32 v3, v2
	s_mov_b32 s39, exec_lo
                                        ; implicit-def: $vgpr4
	v_and_b32_e32 v5, 0x7fffffff, v3
	v_cmpx_gt_u32_e32 0x47800000, v5
	s_xor_b32 s39, exec_lo, s39
	s_cbranch_execz .LBB25_422
; %bb.417:
	s_mov_b32 s40, exec_lo
                                        ; implicit-def: $vgpr4
	v_cmpx_lt_u32_e32 0x387fffff, v5
	s_xor_b32 s40, exec_lo, s40
; %bb.418:
	v_bfe_u32 v4, v3, 21, 1
	v_add3_u32 v4, v3, v4, 0x80fffff
	v_lshrrev_b32_e32 v4, 21, v4
; %bb.419:
	s_andn2_saveexec_b32 s40, s40
; %bb.420:
	v_add_f32_e64 v4, 0x43000000, |v3|
; %bb.421:
	s_or_b32 exec_lo, exec_lo, s40
                                        ; implicit-def: $vgpr5
.LBB25_422:
	s_andn2_saveexec_b32 s39, s39
; %bb.423:
	v_mov_b32_e32 v4, 0x7f
	v_cmp_lt_u32_e32 vcc_lo, 0x7f800000, v5
	v_cndmask_b32_e32 v4, 0x7c, v4, vcc_lo
; %bb.424:
	s_or_b32 exec_lo, exec_lo, s39
	v_lshrrev_b32_e32 v3, 24, v3
	v_and_or_b32 v3, 0x80, v3, v4
	global_store_byte v[0:1], v3, off
.LBB25_425:
	s_mov_b32 s40, 0
	s_mov_b32 s39, -1
.LBB25_426:
	s_andn2_b32 vcc_lo, exec_lo, s40
	s_cbranch_vccnz .LBB25_434
; %bb.427:
	s_cmp_gt_i32 s23, 14
	s_mov_b32 s40, -1
	s_cbranch_scc0 .LBB25_431
; %bb.428:
	s_cmp_eq_u32 s23, 15
	s_mov_b32 s0, -1
	s_cbranch_scc0 .LBB25_430
; %bb.429:
	v_cvt_f32_f16_e32 v3, v2
	v_cmp_o_f16_e32 vcc_lo, v2, v2
	s_mov_b32 s39, -1
	s_mov_b32 s0, 0
	v_bfe_u32 v4, v3, 16, 1
	v_add3_u32 v3, v3, v4, 0x7fff
	v_mov_b32_e32 v4, 0x7fc0
	v_cndmask_b32_sdwa v3, v4, v3, vcc_lo dst_sel:DWORD dst_unused:UNUSED_PAD src0_sel:DWORD src1_sel:WORD_1
	global_store_short v[0:1], v3, off
.LBB25_430:
	s_mov_b32 s40, 0
.LBB25_431:
	s_and_b32 vcc_lo, exec_lo, s40
	s_cbranch_vccz .LBB25_434
; %bb.432:
	s_cmp_eq_u32 s23, 11
	s_mov_b32 s0, -1
	s_cbranch_scc0 .LBB25_434
; %bb.433:
	v_cmp_neq_f16_e32 vcc_lo, 0, v2
	s_mov_b32 s0, 0
	s_mov_b32 s39, -1
	v_cndmask_b32_e64 v3, 0, 1, vcc_lo
	global_store_byte v[0:1], v3, off
.LBB25_434:
.LBB25_435:
	s_andn2_b32 vcc_lo, exec_lo, s39
	s_cbranch_vccnz .LBB25_348
.LBB25_436:
	v_add_nc_u32_e32 v8, 0x80, v8
	s_mov_b32 s1, -1
	s_branch .LBB25_549
.LBB25_437:
	s_mov_b32 s22, -1
                                        ; implicit-def: $vgpr3
.LBB25_438:
	s_mov_b32 s23, 0
.LBB25_439:
	s_and_b32 vcc_lo, exec_lo, s23
	s_cbranch_vccz .LBB25_443
; %bb.440:
	s_cmp_eq_u32 s0, 29
	s_cbranch_scc0 .LBB25_442
; %bb.441:
	global_load_dwordx2 v[3:4], v[1:2], off
	s_mov_b32 s1, -1
	s_mov_b32 s22, 0
	s_mov_b32 s23, 0
	s_waitcnt vmcnt(0)
	v_ffbh_u32_e32 v5, v4
	v_min_u32_e32 v5, 32, v5
	v_lshlrev_b64 v[3:4], v5, v[3:4]
	v_min_u32_e32 v3, 1, v3
	v_or_b32_e32 v3, v4, v3
	v_sub_nc_u32_e32 v4, 32, v5
	v_cvt_f32_u32_e32 v3, v3
	v_ldexp_f32 v3, v3, v4
	v_cvt_f16_f32_e32 v3, v3
	s_branch .LBB25_444
.LBB25_442:
	s_mov_b32 s22, -1
                                        ; implicit-def: $vgpr3
.LBB25_443:
	s_mov_b32 s23, 0
.LBB25_444:
	s_and_b32 vcc_lo, exec_lo, s23
	s_cbranch_vccz .LBB25_462
; %bb.445:
	s_cmp_lt_i32 s0, 27
	s_cbranch_scc1 .LBB25_448
; %bb.446:
	s_cmp_gt_i32 s0, 27
	s_cbranch_scc0 .LBB25_449
; %bb.447:
	global_load_dword v3, v[1:2], off
	s_mov_b32 s1, 0
	s_waitcnt vmcnt(0)
	v_cvt_f32_u32_e32 v3, v3
	v_cvt_f16_f32_e32 v3, v3
	s_branch .LBB25_450
.LBB25_448:
	s_mov_b32 s1, -1
                                        ; implicit-def: $vgpr3
	s_branch .LBB25_453
.LBB25_449:
	s_mov_b32 s1, -1
                                        ; implicit-def: $vgpr3
.LBB25_450:
	s_andn2_b32 vcc_lo, exec_lo, s1
	s_cbranch_vccnz .LBB25_452
; %bb.451:
	global_load_ushort v3, v[1:2], off
	s_waitcnt vmcnt(0)
	v_cvt_f16_u16_e32 v3, v3
.LBB25_452:
	s_mov_b32 s1, 0
.LBB25_453:
	s_andn2_b32 vcc_lo, exec_lo, s1
	s_cbranch_vccnz .LBB25_461
; %bb.454:
	global_load_ubyte v4, v[1:2], off
	s_mov_b32 s1, 0
	s_mov_b32 s23, exec_lo
	s_waitcnt vmcnt(0)
	v_cmpx_lt_i16_e32 0x7f, v4
	s_xor_b32 s23, exec_lo, s23
	s_cbranch_execz .LBB25_475
; %bb.455:
	s_mov_b32 s1, -1
	s_mov_b32 s39, exec_lo
	v_cmpx_eq_u16_e32 0x80, v4
; %bb.456:
	s_xor_b32 s1, exec_lo, -1
; %bb.457:
	s_or_b32 exec_lo, exec_lo, s39
	s_and_b32 s1, s1, exec_lo
	s_or_saveexec_b32 s23, s23
	v_mov_b32_e32 v3, 0x7e00
	s_xor_b32 exec_lo, exec_lo, s23
	s_cbranch_execnz .LBB25_476
.LBB25_458:
	s_or_b32 exec_lo, exec_lo, s23
	s_and_saveexec_b32 s23, s1
	s_cbranch_execz .LBB25_460
.LBB25_459:
	v_and_b32_e32 v3, 0xffff, v4
	v_lshlrev_b32_e32 v4, 24, v4
	v_and_b32_e32 v5, 7, v3
	v_bfe_u32 v9, v3, 3, 4
	v_and_b32_e32 v4, 0x80000000, v4
	v_ffbh_u32_e32 v6, v5
	v_cmp_eq_u32_e32 vcc_lo, 0, v9
	v_min_u32_e32 v6, 32, v6
	v_subrev_nc_u32_e32 v7, 28, v6
	v_sub_nc_u32_e32 v6, 29, v6
	v_lshlrev_b32_e32 v3, v7, v3
	v_cndmask_b32_e32 v6, v9, v6, vcc_lo
	v_and_b32_e32 v3, 7, v3
	v_cndmask_b32_e32 v3, v5, v3, vcc_lo
	v_lshl_add_u32 v5, v6, 23, 0x3b800000
	v_lshlrev_b32_e32 v3, 20, v3
	v_or3_b32 v3, v4, v5, v3
	v_cvt_f16_f32_e32 v3, v3
.LBB25_460:
	s_or_b32 exec_lo, exec_lo, s23
.LBB25_461:
	s_mov_b32 s1, -1
.LBB25_462:
	s_mov_b32 s23, 0
.LBB25_463:
	s_and_b32 vcc_lo, exec_lo, s23
	s_cbranch_vccz .LBB25_498
; %bb.464:
	s_cmp_gt_i32 s0, 22
	s_cbranch_scc0 .LBB25_474
; %bb.465:
	s_cmp_lt_i32 s0, 24
	s_cbranch_scc1 .LBB25_477
; %bb.466:
	s_cmp_gt_i32 s0, 24
	s_cbranch_scc0 .LBB25_478
; %bb.467:
	global_load_ubyte v4, v[1:2], off
	s_mov_b32 s1, 0
	s_mov_b32 s23, exec_lo
	s_waitcnt vmcnt(0)
	v_cmpx_lt_i16_e32 0x7f, v4
	s_xor_b32 s23, exec_lo, s23
	s_cbranch_execz .LBB25_490
; %bb.468:
	s_mov_b32 s1, -1
	s_mov_b32 s39, exec_lo
	v_cmpx_eq_u16_e32 0x80, v4
; %bb.469:
	s_xor_b32 s1, exec_lo, -1
; %bb.470:
	s_or_b32 exec_lo, exec_lo, s39
	s_and_b32 s1, s1, exec_lo
	s_or_saveexec_b32 s23, s23
	v_mov_b32_e32 v3, 0x7e00
	s_xor_b32 exec_lo, exec_lo, s23
	s_cbranch_execnz .LBB25_491
.LBB25_471:
	s_or_b32 exec_lo, exec_lo, s23
	s_and_saveexec_b32 s23, s1
	s_cbranch_execz .LBB25_473
.LBB25_472:
	v_and_b32_e32 v3, 0xffff, v4
	v_lshlrev_b32_e32 v4, 24, v4
	v_and_b32_e32 v5, 3, v3
	v_bfe_u32 v9, v3, 2, 5
	v_and_b32_e32 v4, 0x80000000, v4
	v_ffbh_u32_e32 v6, v5
	v_cmp_eq_u32_e32 vcc_lo, 0, v9
	v_min_u32_e32 v6, 32, v6
	v_subrev_nc_u32_e32 v7, 29, v6
	v_sub_nc_u32_e32 v6, 30, v6
	v_lshlrev_b32_e32 v3, v7, v3
	v_cndmask_b32_e32 v6, v9, v6, vcc_lo
	v_and_b32_e32 v3, 3, v3
	v_cndmask_b32_e32 v3, v5, v3, vcc_lo
	v_lshl_add_u32 v5, v6, 23, 0x37800000
	v_lshlrev_b32_e32 v3, 21, v3
	v_or3_b32 v3, v4, v5, v3
	v_cvt_f16_f32_e32 v3, v3
.LBB25_473:
	s_or_b32 exec_lo, exec_lo, s23
	s_mov_b32 s1, 0
	s_branch .LBB25_479
.LBB25_474:
	s_mov_b32 s23, -1
                                        ; implicit-def: $vgpr3
	s_branch .LBB25_485
.LBB25_475:
	s_or_saveexec_b32 s23, s23
	v_mov_b32_e32 v3, 0x7e00
	s_xor_b32 exec_lo, exec_lo, s23
	s_cbranch_execz .LBB25_458
.LBB25_476:
	v_cmp_ne_u16_e32 vcc_lo, 0, v4
	v_mov_b32_e32 v3, v4
	s_andn2_b32 s1, s1, exec_lo
	s_and_b32 s39, vcc_lo, exec_lo
	s_or_b32 s1, s1, s39
	s_or_b32 exec_lo, exec_lo, s23
	s_and_saveexec_b32 s23, s1
	s_cbranch_execnz .LBB25_459
	s_branch .LBB25_460
.LBB25_477:
	s_mov_b32 s1, -1
                                        ; implicit-def: $vgpr3
	s_branch .LBB25_482
.LBB25_478:
	s_mov_b32 s1, -1
                                        ; implicit-def: $vgpr3
.LBB25_479:
	s_and_b32 vcc_lo, exec_lo, s1
	s_cbranch_vccz .LBB25_481
; %bb.480:
	global_load_ubyte v3, v[1:2], off
	s_waitcnt vmcnt(0)
	v_lshlrev_b32_e32 v3, 24, v3
	v_and_b32_e32 v4, 0x7f000000, v3
	v_ffbh_u32_e32 v5, v4
	v_add_nc_u32_e32 v7, 0x1000000, v4
	v_cmp_ne_u32_e32 vcc_lo, 0, v4
	v_min_u32_e32 v5, 32, v5
	v_sub_nc_u32_e64 v5, v5, 4 clamp
	v_lshlrev_b32_e32 v6, v5, v4
	v_lshlrev_b32_e32 v5, 23, v5
	v_lshrrev_b32_e32 v6, 4, v6
	v_sub_nc_u32_e32 v5, v6, v5
	v_ashrrev_i32_e32 v6, 8, v7
	v_add_nc_u32_e32 v5, 0x3c000000, v5
	v_and_or_b32 v5, 0x7f800000, v6, v5
	v_cndmask_b32_e32 v4, 0, v5, vcc_lo
	v_and_or_b32 v3, 0x80000000, v3, v4
	v_cvt_f16_f32_e32 v3, v3
.LBB25_481:
	s_mov_b32 s1, 0
.LBB25_482:
	s_andn2_b32 vcc_lo, exec_lo, s1
	s_cbranch_vccnz .LBB25_484
; %bb.483:
	global_load_ubyte v3, v[1:2], off
	s_waitcnt vmcnt(0)
	v_lshlrev_b32_e32 v4, 25, v3
	v_lshlrev_b16 v3, 8, v3
	v_lshrrev_b32_e32 v5, 4, v4
	v_and_or_b32 v6, 0x7f00, v3, 0.5
	v_cmp_gt_u32_e32 vcc_lo, 0x8000000, v4
	v_bfe_i32 v3, v3, 0, 16
	v_or_b32_e32 v5, 0x70000000, v5
	v_add_f32_e32 v6, -0.5, v6
	v_mul_f32_e32 v5, 0x7800000, v5
	v_cndmask_b32_e32 v4, v5, v6, vcc_lo
	v_and_or_b32 v3, 0x80000000, v3, v4
	v_cvt_f16_f32_e32 v3, v3
.LBB25_484:
	s_mov_b32 s23, 0
	s_mov_b32 s1, -1
.LBB25_485:
	s_andn2_b32 vcc_lo, exec_lo, s23
	s_cbranch_vccnz .LBB25_498
; %bb.486:
	s_cmp_gt_i32 s0, 14
	s_cbranch_scc0 .LBB25_489
; %bb.487:
	s_cmp_eq_u32 s0, 15
	s_cbranch_scc0 .LBB25_492
; %bb.488:
	global_load_ushort v3, v[1:2], off
	s_mov_b32 s1, -1
	s_mov_b32 s22, 0
	s_waitcnt vmcnt(0)
	v_lshlrev_b32_e32 v3, 16, v3
	v_cvt_f16_f32_e32 v3, v3
	s_branch .LBB25_493
.LBB25_489:
	s_mov_b32 s23, -1
                                        ; implicit-def: $vgpr3
	s_branch .LBB25_494
.LBB25_490:
	s_or_saveexec_b32 s23, s23
	v_mov_b32_e32 v3, 0x7e00
	s_xor_b32 exec_lo, exec_lo, s23
	s_cbranch_execz .LBB25_471
.LBB25_491:
	v_cmp_ne_u16_e32 vcc_lo, 0, v4
	v_mov_b32_e32 v3, v4
	s_andn2_b32 s1, s1, exec_lo
	s_and_b32 s39, vcc_lo, exec_lo
	s_or_b32 s1, s1, s39
	s_or_b32 exec_lo, exec_lo, s23
	s_and_saveexec_b32 s23, s1
	s_cbranch_execnz .LBB25_472
	s_branch .LBB25_473
.LBB25_492:
	s_mov_b32 s22, -1
                                        ; implicit-def: $vgpr3
.LBB25_493:
	s_mov_b32 s23, 0
.LBB25_494:
	s_and_b32 vcc_lo, exec_lo, s23
	s_cbranch_vccz .LBB25_498
; %bb.495:
	s_cmp_eq_u32 s0, 11
	s_cbranch_scc0 .LBB25_497
; %bb.496:
	global_load_ubyte v3, v[1:2], off
	s_mov_b32 s22, 0
	s_mov_b32 s1, -1
	s_waitcnt vmcnt(0)
	v_cmp_ne_u16_e32 vcc_lo, 0, v3
	v_cndmask_b32_e64 v3, 0, 0x3c00, vcc_lo
	s_branch .LBB25_498
.LBB25_497:
	s_mov_b32 s22, -1
                                        ; implicit-def: $vgpr3
.LBB25_498:
	s_branch .LBB25_297
.LBB25_499:
	s_cmp_lt_i32 s0, 5
	s_cbranch_scc1 .LBB25_504
; %bb.500:
	s_cmp_lt_i32 s0, 8
	s_cbranch_scc1 .LBB25_505
; %bb.501:
	s_cmp_lt_i32 s0, 9
	s_cbranch_scc1 .LBB25_506
; %bb.502:
	s_cmp_gt_i32 s0, 9
	s_cbranch_scc0 .LBB25_507
; %bb.503:
	global_load_dwordx2 v[3:4], v[1:2], off
	s_mov_b32 s1, 0
	s_waitcnt vmcnt(0)
	v_and_or_b32 v3, 0x1ff, v4, v3
	v_lshrrev_b32_e32 v5, 8, v4
	v_bfe_u32 v6, v4, 20, 11
	v_lshrrev_b32_e32 v4, 16, v4
	v_cmp_ne_u32_e32 vcc_lo, 0, v3
	v_sub_nc_u32_e32 v7, 0x3f1, v6
	v_add_nc_u32_e32 v6, 0xfffffc10, v6
	v_cndmask_b32_e64 v3, 0, 1, vcc_lo
	v_and_or_b32 v3, 0xffe, v5, v3
	v_med3_i32 v5, v7, 0, 13
	v_or_b32_e32 v7, 0x1000, v3
	v_lshrrev_b32_e32 v9, v5, v7
	v_lshlrev_b32_e32 v5, v5, v9
	v_cmp_ne_u32_e32 vcc_lo, v5, v7
	v_lshl_or_b32 v7, v6, 12, v3
	v_cndmask_b32_e64 v5, 0, 1, vcc_lo
	v_cmp_gt_i32_e32 vcc_lo, 1, v6
	v_or_b32_e32 v5, v9, v5
	v_cndmask_b32_e32 v5, v7, v5, vcc_lo
	v_and_b32_e32 v7, 7, v5
	v_lshrrev_b32_e32 v5, 2, v5
	v_cmp_lt_i32_e32 vcc_lo, 5, v7
	v_cndmask_b32_e64 v9, 0, 1, vcc_lo
	v_cmp_eq_u32_e32 vcc_lo, 3, v7
	v_cndmask_b32_e64 v7, 0, 1, vcc_lo
	v_cmp_ne_u32_e32 vcc_lo, 0, v3
	v_or_b32_e32 v7, v7, v9
	v_mov_b32_e32 v9, 0x7e00
	v_add_nc_u32_e32 v5, v5, v7
	v_cndmask_b32_e32 v3, 0x7c00, v9, vcc_lo
	v_cmp_gt_i32_e32 vcc_lo, 31, v6
	v_cndmask_b32_e32 v5, 0x7c00, v5, vcc_lo
	v_cmp_eq_u32_e32 vcc_lo, 0x40f, v6
	v_cndmask_b32_e32 v3, v5, v3, vcc_lo
	v_and_or_b32 v3, 0x8000, v4, v3
	s_branch .LBB25_508
.LBB25_504:
	s_mov_b32 s1, -1
                                        ; implicit-def: $vgpr3
	s_branch .LBB25_526
.LBB25_505:
	s_mov_b32 s1, -1
                                        ; implicit-def: $vgpr3
	s_branch .LBB25_514
.LBB25_506:
	s_mov_b32 s1, -1
                                        ; implicit-def: $vgpr3
	s_branch .LBB25_511
.LBB25_507:
	s_mov_b32 s1, -1
                                        ; implicit-def: $vgpr3
.LBB25_508:
	s_andn2_b32 vcc_lo, exec_lo, s1
	s_cbranch_vccnz .LBB25_510
; %bb.509:
	global_load_dword v3, v[1:2], off
	s_waitcnt vmcnt(0)
	v_cvt_f16_f32_e32 v3, v3
.LBB25_510:
	s_mov_b32 s1, 0
.LBB25_511:
	s_andn2_b32 vcc_lo, exec_lo, s1
	s_cbranch_vccnz .LBB25_513
; %bb.512:
	global_load_dword v3, v[1:2], off
.LBB25_513:
	s_mov_b32 s1, 0
.LBB25_514:
	s_andn2_b32 vcc_lo, exec_lo, s1
	s_cbranch_vccnz .LBB25_525
; %bb.515:
	s_cmp_lt_i32 s0, 6
	s_cbranch_scc1 .LBB25_518
; %bb.516:
	s_cmp_gt_i32 s0, 6
	s_cbranch_scc0 .LBB25_519
; %bb.517:
	global_load_dwordx2 v[3:4], v[1:2], off
	s_mov_b32 s1, 0
	s_waitcnt vmcnt(0)
	v_and_or_b32 v3, 0x1ff, v4, v3
	v_lshrrev_b32_e32 v5, 8, v4
	v_bfe_u32 v6, v4, 20, 11
	v_lshrrev_b32_e32 v4, 16, v4
	v_cmp_ne_u32_e32 vcc_lo, 0, v3
	v_sub_nc_u32_e32 v7, 0x3f1, v6
	v_add_nc_u32_e32 v6, 0xfffffc10, v6
	v_cndmask_b32_e64 v3, 0, 1, vcc_lo
	v_and_or_b32 v3, 0xffe, v5, v3
	v_med3_i32 v5, v7, 0, 13
	v_or_b32_e32 v7, 0x1000, v3
	v_lshrrev_b32_e32 v9, v5, v7
	v_lshlrev_b32_e32 v5, v5, v9
	v_cmp_ne_u32_e32 vcc_lo, v5, v7
	v_lshl_or_b32 v7, v6, 12, v3
	v_cndmask_b32_e64 v5, 0, 1, vcc_lo
	v_cmp_gt_i32_e32 vcc_lo, 1, v6
	v_or_b32_e32 v5, v9, v5
	v_cndmask_b32_e32 v5, v7, v5, vcc_lo
	v_and_b32_e32 v7, 7, v5
	v_lshrrev_b32_e32 v5, 2, v5
	v_cmp_lt_i32_e32 vcc_lo, 5, v7
	v_cndmask_b32_e64 v9, 0, 1, vcc_lo
	v_cmp_eq_u32_e32 vcc_lo, 3, v7
	v_cndmask_b32_e64 v7, 0, 1, vcc_lo
	v_cmp_ne_u32_e32 vcc_lo, 0, v3
	v_or_b32_e32 v7, v7, v9
	v_mov_b32_e32 v9, 0x7e00
	v_add_nc_u32_e32 v5, v5, v7
	v_cndmask_b32_e32 v3, 0x7c00, v9, vcc_lo
	v_cmp_gt_i32_e32 vcc_lo, 31, v6
	v_cndmask_b32_e32 v5, 0x7c00, v5, vcc_lo
	v_cmp_eq_u32_e32 vcc_lo, 0x40f, v6
	v_cndmask_b32_e32 v3, v5, v3, vcc_lo
	v_and_or_b32 v3, 0x8000, v4, v3
	s_branch .LBB25_520
.LBB25_518:
	s_mov_b32 s1, -1
                                        ; implicit-def: $vgpr3
	s_branch .LBB25_523
.LBB25_519:
	s_mov_b32 s1, -1
                                        ; implicit-def: $vgpr3
.LBB25_520:
	s_andn2_b32 vcc_lo, exec_lo, s1
	s_cbranch_vccnz .LBB25_522
; %bb.521:
	global_load_dword v3, v[1:2], off
	s_waitcnt vmcnt(0)
	v_cvt_f16_f32_e32 v3, v3
.LBB25_522:
	s_mov_b32 s1, 0
.LBB25_523:
	s_andn2_b32 vcc_lo, exec_lo, s1
	s_cbranch_vccnz .LBB25_525
; %bb.524:
	global_load_ushort v3, v[1:2], off
.LBB25_525:
	s_mov_b32 s1, 0
.LBB25_526:
	s_andn2_b32 vcc_lo, exec_lo, s1
	s_cbranch_vccnz .LBB25_546
; %bb.527:
	s_cmp_lt_i32 s0, 2
	s_cbranch_scc1 .LBB25_531
; %bb.528:
	s_cmp_lt_i32 s0, 3
	s_cbranch_scc1 .LBB25_532
; %bb.529:
	s_cmp_gt_i32 s0, 3
	s_cbranch_scc0 .LBB25_533
; %bb.530:
	global_load_dwordx2 v[3:4], v[1:2], off
	s_mov_b32 s1, 0
	s_waitcnt vmcnt(0)
	v_xor_b32_e32 v5, v3, v4
	v_ffbh_i32_e32 v6, v4
	v_ashrrev_i32_e32 v5, 31, v5
	v_add_nc_u32_e32 v6, -1, v6
	v_add_nc_u32_e32 v5, 32, v5
	v_min_u32_e32 v5, v6, v5
	v_lshlrev_b64 v[3:4], v5, v[3:4]
	v_min_u32_e32 v3, 1, v3
	v_or_b32_e32 v3, v4, v3
	v_sub_nc_u32_e32 v4, 32, v5
	v_cvt_f32_i32_e32 v3, v3
	v_ldexp_f32 v3, v3, v4
	v_cvt_f16_f32_e32 v3, v3
	s_branch .LBB25_534
.LBB25_531:
	s_mov_b32 s1, -1
                                        ; implicit-def: $vgpr3
	s_branch .LBB25_540
.LBB25_532:
	s_mov_b32 s1, -1
                                        ; implicit-def: $vgpr3
	s_branch .LBB25_537
.LBB25_533:
	s_mov_b32 s1, -1
                                        ; implicit-def: $vgpr3
.LBB25_534:
	s_andn2_b32 vcc_lo, exec_lo, s1
	s_cbranch_vccnz .LBB25_536
; %bb.535:
	global_load_dword v3, v[1:2], off
	s_waitcnt vmcnt(0)
	v_cvt_f32_i32_e32 v3, v3
	v_cvt_f16_f32_e32 v3, v3
.LBB25_536:
	s_mov_b32 s1, 0
.LBB25_537:
	s_andn2_b32 vcc_lo, exec_lo, s1
	s_cbranch_vccnz .LBB25_539
; %bb.538:
	global_load_ushort v3, v[1:2], off
	s_waitcnt vmcnt(0)
	v_cvt_f16_i16_e32 v3, v3
.LBB25_539:
	s_mov_b32 s1, 0
.LBB25_540:
	s_andn2_b32 vcc_lo, exec_lo, s1
	s_cbranch_vccnz .LBB25_546
; %bb.541:
	s_cmp_gt_i32 s0, 0
	s_mov_b32 s0, 0
	s_cbranch_scc0 .LBB25_543
; %bb.542:
	global_load_sbyte v3, v[1:2], off
	s_waitcnt vmcnt(0)
	v_cvt_f16_i16_e32 v3, v3
	s_branch .LBB25_544
.LBB25_543:
	s_mov_b32 s0, -1
                                        ; implicit-def: $vgpr3
.LBB25_544:
	s_andn2_b32 vcc_lo, exec_lo, s0
	s_cbranch_vccnz .LBB25_546
; %bb.545:
	global_load_ubyte v1, v[1:2], off
	s_waitcnt vmcnt(0)
	v_cvt_f16_u16_e32 v3, v1
.LBB25_546:
	s_branch .LBB25_298
.LBB25_547:
	s_mov_b32 s1, 0
	s_mov_b32 s0, s36
.LBB25_548:
                                        ; implicit-def: $vgpr8
.LBB25_549:
	s_andn2_b32 s23, s36, exec_lo
	s_and_b32 s0, s0, exec_lo
	s_andn2_b32 s39, s37, exec_lo
	s_and_b32 s22, s22, exec_lo
	s_or_b32 s40, s23, s0
	s_or_b32 s39, s39, s22
	s_orn2_b32 s0, s1, exec_lo
.LBB25_550:
	s_or_b32 exec_lo, exec_lo, s41
	s_mov_b32 s1, 0
	s_mov_b32 s23, 0
	;; [unrolled: 1-line block ×3, first 2 shown]
                                        ; implicit-def: $vgpr1_vgpr2
                                        ; implicit-def: $vgpr0
                                        ; implicit-def: $vgpr4
	s_and_saveexec_b32 s41, s0
	s_cbranch_execz .LBB25_930
; %bb.551:
	s_mov_b32 s44, -1
	s_mov_b32 s22, s39
	s_mov_b32 s23, s40
	s_mov_b32 s42, exec_lo
	v_cmpx_gt_i32_e64 s33, v8
	s_cbranch_execz .LBB25_829
; %bb.552:
	s_andn2_b32 vcc_lo, exec_lo, s27
	s_cbranch_vccnz .LBB25_557
; %bb.553:
	s_andn2_b32 vcc_lo, exec_lo, s34
	s_cbranch_vccnz .LBB25_558
; %bb.554:
	s_add_i32 s44, s35, 1
	s_cmp_eq_u32 s25, 2
	s_cbranch_scc1 .LBB25_559
; %bb.555:
	v_mov_b32_e32 v2, 0
	v_mov_b32_e32 v0, 0
	;; [unrolled: 1-line block ×3, first 2 shown]
	s_and_b32 s43, s44, 28
	s_mov_b32 s45, 0
	s_mov_b64 s[0:1], s[2:3]
	s_mov_b64 s[22:23], s[20:21]
.LBB25_556:                             ; =>This Inner Loop Header: Depth=1
	s_clause 0x1
	s_load_dwordx8 s[48:55], s[0:1], 0x4
	s_load_dwordx4 s[64:67], s[0:1], 0x24
	s_load_dwordx8 s[56:63], s[22:23], 0x0
	s_add_u32 s0, s0, 48
	s_addc_u32 s1, s1, 0
	s_add_i32 s45, s45, 4
	s_add_u32 s22, s22, 32
	s_addc_u32 s23, s23, 0
	s_cmp_eq_u32 s43, s45
	s_waitcnt vmcnt(0) lgkmcnt(0)
	v_mul_hi_u32 v3, s49, v1
	v_add_nc_u32_e32 v3, v1, v3
	v_lshrrev_b32_e32 v3, s50, v3
	v_mul_hi_u32 v4, s52, v3
	v_mul_lo_u32 v6, v3, s48
	v_add_nc_u32_e32 v4, v3, v4
	v_sub_nc_u32_e32 v1, v1, v6
	v_lshrrev_b32_e32 v4, s53, v4
	v_mul_lo_u32 v6, v1, s56
	v_mul_lo_u32 v9, v1, s57
	v_mul_hi_u32 v5, s55, v4
	v_add_nc_u32_e32 v5, v4, v5
	v_lshrrev_b32_e32 v5, s64, v5
	v_mul_hi_u32 v7, s66, v5
	v_mul_lo_u32 v10, v5, s54
	v_add_nc_u32_e32 v1, v5, v7
	v_mul_lo_u32 v7, v4, s51
	v_sub_nc_u32_e32 v4, v4, v10
	v_lshrrev_b32_e32 v1, s67, v1
	v_mul_lo_u32 v10, v4, s60
	v_mul_lo_u32 v4, v4, s61
	v_sub_nc_u32_e32 v3, v3, v7
	v_mul_lo_u32 v11, v1, s65
	v_mul_lo_u32 v7, v3, s58
	;; [unrolled: 1-line block ×3, first 2 shown]
	v_sub_nc_u32_e32 v5, v5, v11
	v_add3_u32 v0, v6, v0, v7
	v_mul_lo_u32 v11, v5, s62
	v_mul_lo_u32 v5, v5, s63
	v_add3_u32 v2, v9, v2, v3
	v_add3_u32 v0, v10, v0, v11
	;; [unrolled: 1-line block ×3, first 2 shown]
	s_cbranch_scc0 .LBB25_556
	s_branch .LBB25_560
.LBB25_557:
	s_mov_b32 s0, -1
                                        ; implicit-def: $vgpr0
                                        ; implicit-def: $vgpr2
	s_branch .LBB25_564
.LBB25_558:
	v_mov_b32_e32 v0, 0
	v_mov_b32_e32 v2, 0
	s_branch .LBB25_563
.LBB25_559:
	v_mov_b32_e32 v0, 0
	v_mov_b32_e32 v2, 0
	;; [unrolled: 1-line block ×3, first 2 shown]
	s_mov_b32 s43, 0
.LBB25_560:
	s_and_b32 s44, s44, 3
	s_cmp_eq_u32 s44, 0
	s_cbranch_scc1 .LBB25_563
; %bb.561:
	s_lshl_b32 s0, s43, 3
	s_mul_i32 s22, s43, 12
	s_add_u32 s0, s2, s0
	s_addc_u32 s1, s3, 0
	s_add_u32 s0, s0, 0xc4
	s_addc_u32 s1, s1, 0
	;; [unrolled: 2-line block ×3, first 2 shown]
	.p2align	6
.LBB25_562:                             ; =>This Inner Loop Header: Depth=1
	s_clause 0x1
	s_load_dwordx2 s[46:47], s[22:23], 0x4
	s_load_dword s43, s[22:23], 0xc
	s_load_dwordx2 s[48:49], s[0:1], 0x0
	s_add_u32 s22, s22, 12
	s_addc_u32 s23, s23, 0
	s_add_u32 s0, s0, 8
	s_addc_u32 s1, s1, 0
	s_add_i32 s44, s44, -1
	s_cmp_lg_u32 s44, 0
	s_waitcnt vmcnt(0) lgkmcnt(0)
	v_mul_hi_u32 v3, s47, v1
	v_add_nc_u32_e32 v3, v1, v3
	v_lshrrev_b32_e32 v4, s43, v3
	v_mul_lo_u32 v3, v4, s46
	v_sub_nc_u32_e32 v3, v1, v3
	v_mad_u64_u32 v[0:1], null, v3, s48, v[0:1]
	v_mad_u64_u32 v[2:3], null, v3, s49, v[2:3]
	v_mov_b32_e32 v1, v4
	s_cbranch_scc1 .LBB25_562
.LBB25_563:
	s_mov_b32 s0, 0
.LBB25_564:
	s_andn2_b32 vcc_lo, exec_lo, s0
	s_cbranch_vccnz .LBB25_567
; %bb.565:
	s_waitcnt lgkmcnt(0)
	v_mul_hi_u32 v0, s17, v8
	s_andn2_b32 vcc_lo, exec_lo, s31
	v_add_nc_u32_e32 v0, v8, v0
	v_lshrrev_b32_e32 v1, s18, v0
	v_mul_lo_u32 v0, v1, s16
	v_sub_nc_u32_e32 v2, v8, v0
	v_mul_lo_u32 v0, v2, s12
	v_mul_lo_u32 v2, v2, s13
	s_cbranch_vccnz .LBB25_567
; %bb.566:
	s_waitcnt vmcnt(0)
	v_mul_hi_u32 v3, s6, v1
	v_add_nc_u32_e32 v3, v1, v3
	v_lshrrev_b32_e32 v3, s7, v3
	v_mul_lo_u32 v3, v3, s19
	v_sub_nc_u32_e32 v3, v1, v3
	v_mad_u64_u32 v[0:1], null, v3, s14, v[0:1]
	v_mad_u64_u32 v[2:3], null, v3, s15, v[2:3]
.LBB25_567:
	s_waitcnt lgkmcnt(0)
	v_add_co_u32 v1, s0, s10, v2
	v_add_co_ci_u32_e64 v2, null, s11, 0, s0
	s_and_b32 s0, 0xffff, s30
	s_cmp_lt_i32 s0, 11
	s_cbranch_scc1 .LBB25_574
; %bb.568:
	s_cmp_gt_i32 s0, 25
	s_cbranch_scc0 .LBB25_575
; %bb.569:
	s_cmp_gt_i32 s0, 28
	s_cbranch_scc0 .LBB25_576
	;; [unrolled: 3-line block ×4, first 2 shown]
; %bb.572:
	s_cmp_eq_u32 s0, 46
	s_mov_b32 s23, 0
	s_cbranch_scc0 .LBB25_583
; %bb.573:
	global_load_dword v3, v[1:2], off
	s_mov_b32 s1, -1
	s_mov_b32 s22, 0
	s_waitcnt vmcnt(0)
	v_lshlrev_b32_e32 v3, 16, v3
	v_cvt_f16_f32_e32 v3, v3
	s_branch .LBB25_585
.LBB25_574:
	s_mov_b32 s23, -1
	s_mov_b32 s1, 0
	s_mov_b32 s22, s39
                                        ; implicit-def: $vgpr3
	s_branch .LBB25_650
.LBB25_575:
	s_mov_b32 s23, -1
	s_mov_b32 s1, 0
	s_mov_b32 s22, s39
                                        ; implicit-def: $vgpr3
	s_branch .LBB25_614
.LBB25_576:
	s_mov_b32 s23, -1
	s_mov_b32 s1, 0
	s_mov_b32 s22, s39
                                        ; implicit-def: $vgpr3
	s_branch .LBB25_595
.LBB25_577:
	s_mov_b32 s23, -1
	s_mov_b32 s1, 0
	s_mov_b32 s22, s39
                                        ; implicit-def: $vgpr3
	s_branch .LBB25_590
.LBB25_578:
	s_andn2_saveexec_b32 s42, s42
	s_cbranch_execz .LBB25_387
.LBB25_579:
	v_add_f32_e64 v4, 0x46000000, |v3|
	s_andn2_b32 s40, s40, exec_lo
	v_and_b32_e32 v4, 0xff, v4
	v_cmp_ne_u32_e32 vcc_lo, 0, v4
	s_and_b32 s43, vcc_lo, exec_lo
	s_or_b32 s40, s40, s43
	s_or_b32 exec_lo, exec_lo, s42
	v_mov_b32_e32 v5, 0
	s_and_saveexec_b32 s42, s40
	s_cbranch_execnz .LBB25_388
	s_branch .LBB25_389
.LBB25_580:
	s_mov_b32 s23, -1
	s_mov_b32 s1, 0
	s_mov_b32 s22, s39
	s_branch .LBB25_584
.LBB25_581:
	s_andn2_saveexec_b32 s42, s42
	s_cbranch_execz .LBB25_400
.LBB25_582:
	v_add_f32_e64 v4, 0x42800000, |v3|
	s_andn2_b32 s40, s40, exec_lo
	v_and_b32_e32 v4, 0xff, v4
	v_cmp_ne_u32_e32 vcc_lo, 0, v4
	s_and_b32 s43, vcc_lo, exec_lo
	s_or_b32 s40, s40, s43
	s_or_b32 exec_lo, exec_lo, s42
	v_mov_b32_e32 v5, 0
	s_and_saveexec_b32 s42, s40
	s_cbranch_execnz .LBB25_401
	s_branch .LBB25_402
.LBB25_583:
	s_mov_b32 s22, -1
	s_mov_b32 s1, 0
.LBB25_584:
                                        ; implicit-def: $vgpr3
.LBB25_585:
	s_and_b32 vcc_lo, exec_lo, s23
	s_cbranch_vccz .LBB25_589
; %bb.586:
	s_cmp_eq_u32 s0, 44
	s_cbranch_scc0 .LBB25_588
; %bb.587:
	global_load_ubyte v3, v[1:2], off
	s_mov_b32 s22, 0
	s_mov_b32 s1, -1
	s_waitcnt vmcnt(0)
	v_lshlrev_b32_e32 v4, 23, v3
	v_cmp_ne_u32_e32 vcc_lo, 0xff, v3
	v_cvt_f16_f32_e32 v4, v4
	v_cndmask_b32_e32 v4, 0x7e00, v4, vcc_lo
	v_cmp_ne_u32_e32 vcc_lo, 0, v3
	v_cndmask_b32_e32 v3, 0, v4, vcc_lo
	s_branch .LBB25_589
.LBB25_588:
	s_mov_b32 s22, -1
                                        ; implicit-def: $vgpr3
.LBB25_589:
	s_mov_b32 s23, 0
.LBB25_590:
	s_and_b32 vcc_lo, exec_lo, s23
	s_cbranch_vccz .LBB25_594
; %bb.591:
	s_cmp_eq_u32 s0, 29
	s_cbranch_scc0 .LBB25_593
; %bb.592:
	global_load_dwordx2 v[3:4], v[1:2], off
	s_mov_b32 s1, -1
	s_mov_b32 s22, 0
	s_mov_b32 s23, 0
	s_waitcnt vmcnt(0)
	v_ffbh_u32_e32 v5, v4
	v_min_u32_e32 v5, 32, v5
	v_lshlrev_b64 v[3:4], v5, v[3:4]
	v_min_u32_e32 v3, 1, v3
	v_or_b32_e32 v3, v4, v3
	v_sub_nc_u32_e32 v4, 32, v5
	v_cvt_f32_u32_e32 v3, v3
	v_ldexp_f32 v3, v3, v4
	v_cvt_f16_f32_e32 v3, v3
	s_branch .LBB25_595
.LBB25_593:
	s_mov_b32 s22, -1
                                        ; implicit-def: $vgpr3
.LBB25_594:
	s_mov_b32 s23, 0
.LBB25_595:
	s_and_b32 vcc_lo, exec_lo, s23
	s_cbranch_vccz .LBB25_613
; %bb.596:
	s_cmp_lt_i32 s0, 27
	s_cbranch_scc1 .LBB25_599
; %bb.597:
	s_cmp_gt_i32 s0, 27
	s_cbranch_scc0 .LBB25_600
; %bb.598:
	global_load_dword v3, v[1:2], off
	s_mov_b32 s1, 0
	s_waitcnt vmcnt(0)
	v_cvt_f32_u32_e32 v3, v3
	v_cvt_f16_f32_e32 v3, v3
	s_branch .LBB25_601
.LBB25_599:
	s_mov_b32 s1, -1
                                        ; implicit-def: $vgpr3
	s_branch .LBB25_604
.LBB25_600:
	s_mov_b32 s1, -1
                                        ; implicit-def: $vgpr3
.LBB25_601:
	s_andn2_b32 vcc_lo, exec_lo, s1
	s_cbranch_vccnz .LBB25_603
; %bb.602:
	global_load_ushort v3, v[1:2], off
	s_waitcnt vmcnt(0)
	v_cvt_f16_u16_e32 v3, v3
.LBB25_603:
	s_mov_b32 s1, 0
.LBB25_604:
	s_andn2_b32 vcc_lo, exec_lo, s1
	s_cbranch_vccnz .LBB25_612
; %bb.605:
	global_load_ubyte v4, v[1:2], off
	s_mov_b32 s1, 0
	s_mov_b32 s23, exec_lo
	s_waitcnt vmcnt(0)
	v_cmpx_lt_i16_e32 0x7f, v4
	s_xor_b32 s23, exec_lo, s23
	s_cbranch_execz .LBB25_626
; %bb.606:
	s_mov_b32 s1, -1
	s_mov_b32 s43, exec_lo
	v_cmpx_eq_u16_e32 0x80, v4
; %bb.607:
	s_xor_b32 s1, exec_lo, -1
; %bb.608:
	s_or_b32 exec_lo, exec_lo, s43
	s_and_b32 s1, s1, exec_lo
	s_or_saveexec_b32 s23, s23
	v_mov_b32_e32 v3, 0x7e00
	s_xor_b32 exec_lo, exec_lo, s23
	s_cbranch_execnz .LBB25_627
.LBB25_609:
	s_or_b32 exec_lo, exec_lo, s23
	s_and_saveexec_b32 s23, s1
	s_cbranch_execz .LBB25_611
.LBB25_610:
	v_and_b32_e32 v3, 0xffff, v4
	v_lshlrev_b32_e32 v4, 24, v4
	v_and_b32_e32 v5, 7, v3
	v_bfe_u32 v9, v3, 3, 4
	v_and_b32_e32 v4, 0x80000000, v4
	v_ffbh_u32_e32 v6, v5
	v_cmp_eq_u32_e32 vcc_lo, 0, v9
	v_min_u32_e32 v6, 32, v6
	v_subrev_nc_u32_e32 v7, 28, v6
	v_sub_nc_u32_e32 v6, 29, v6
	v_lshlrev_b32_e32 v3, v7, v3
	v_cndmask_b32_e32 v6, v9, v6, vcc_lo
	v_and_b32_e32 v3, 7, v3
	v_cndmask_b32_e32 v3, v5, v3, vcc_lo
	v_lshl_add_u32 v5, v6, 23, 0x3b800000
	v_lshlrev_b32_e32 v3, 20, v3
	v_or3_b32 v3, v4, v5, v3
	v_cvt_f16_f32_e32 v3, v3
.LBB25_611:
	s_or_b32 exec_lo, exec_lo, s23
.LBB25_612:
	s_mov_b32 s1, -1
.LBB25_613:
	s_mov_b32 s23, 0
.LBB25_614:
	s_and_b32 vcc_lo, exec_lo, s23
	s_cbranch_vccz .LBB25_649
; %bb.615:
	s_cmp_gt_i32 s0, 22
	s_cbranch_scc0 .LBB25_625
; %bb.616:
	s_cmp_lt_i32 s0, 24
	s_cbranch_scc1 .LBB25_628
; %bb.617:
	s_cmp_gt_i32 s0, 24
	s_cbranch_scc0 .LBB25_629
; %bb.618:
	global_load_ubyte v4, v[1:2], off
	s_mov_b32 s1, 0
	s_mov_b32 s23, exec_lo
	s_waitcnt vmcnt(0)
	v_cmpx_lt_i16_e32 0x7f, v4
	s_xor_b32 s23, exec_lo, s23
	s_cbranch_execz .LBB25_641
; %bb.619:
	s_mov_b32 s1, -1
	s_mov_b32 s43, exec_lo
	v_cmpx_eq_u16_e32 0x80, v4
; %bb.620:
	s_xor_b32 s1, exec_lo, -1
; %bb.621:
	s_or_b32 exec_lo, exec_lo, s43
	s_and_b32 s1, s1, exec_lo
	s_or_saveexec_b32 s23, s23
	v_mov_b32_e32 v3, 0x7e00
	s_xor_b32 exec_lo, exec_lo, s23
	s_cbranch_execnz .LBB25_642
.LBB25_622:
	s_or_b32 exec_lo, exec_lo, s23
	s_and_saveexec_b32 s23, s1
	s_cbranch_execz .LBB25_624
.LBB25_623:
	v_and_b32_e32 v3, 0xffff, v4
	v_lshlrev_b32_e32 v4, 24, v4
	v_and_b32_e32 v5, 3, v3
	v_bfe_u32 v9, v3, 2, 5
	v_and_b32_e32 v4, 0x80000000, v4
	v_ffbh_u32_e32 v6, v5
	v_cmp_eq_u32_e32 vcc_lo, 0, v9
	v_min_u32_e32 v6, 32, v6
	v_subrev_nc_u32_e32 v7, 29, v6
	v_sub_nc_u32_e32 v6, 30, v6
	v_lshlrev_b32_e32 v3, v7, v3
	v_cndmask_b32_e32 v6, v9, v6, vcc_lo
	v_and_b32_e32 v3, 3, v3
	v_cndmask_b32_e32 v3, v5, v3, vcc_lo
	v_lshl_add_u32 v5, v6, 23, 0x37800000
	v_lshlrev_b32_e32 v3, 21, v3
	v_or3_b32 v3, v4, v5, v3
	v_cvt_f16_f32_e32 v3, v3
.LBB25_624:
	s_or_b32 exec_lo, exec_lo, s23
	s_mov_b32 s1, 0
	s_branch .LBB25_630
.LBB25_625:
	s_mov_b32 s23, -1
                                        ; implicit-def: $vgpr3
	s_branch .LBB25_636
.LBB25_626:
	s_or_saveexec_b32 s23, s23
	v_mov_b32_e32 v3, 0x7e00
	s_xor_b32 exec_lo, exec_lo, s23
	s_cbranch_execz .LBB25_609
.LBB25_627:
	v_cmp_ne_u16_e32 vcc_lo, 0, v4
	v_mov_b32_e32 v3, v4
	s_andn2_b32 s1, s1, exec_lo
	s_and_b32 s43, vcc_lo, exec_lo
	s_or_b32 s1, s1, s43
	s_or_b32 exec_lo, exec_lo, s23
	s_and_saveexec_b32 s23, s1
	s_cbranch_execnz .LBB25_610
	s_branch .LBB25_611
.LBB25_628:
	s_mov_b32 s1, -1
                                        ; implicit-def: $vgpr3
	s_branch .LBB25_633
.LBB25_629:
	s_mov_b32 s1, -1
                                        ; implicit-def: $vgpr3
.LBB25_630:
	s_and_b32 vcc_lo, exec_lo, s1
	s_cbranch_vccz .LBB25_632
; %bb.631:
	global_load_ubyte v3, v[1:2], off
	s_waitcnt vmcnt(0)
	v_lshlrev_b32_e32 v3, 24, v3
	v_and_b32_e32 v4, 0x7f000000, v3
	v_ffbh_u32_e32 v5, v4
	v_add_nc_u32_e32 v7, 0x1000000, v4
	v_cmp_ne_u32_e32 vcc_lo, 0, v4
	v_min_u32_e32 v5, 32, v5
	v_sub_nc_u32_e64 v5, v5, 4 clamp
	v_lshlrev_b32_e32 v6, v5, v4
	v_lshlrev_b32_e32 v5, 23, v5
	v_lshrrev_b32_e32 v6, 4, v6
	v_sub_nc_u32_e32 v5, v6, v5
	v_ashrrev_i32_e32 v6, 8, v7
	v_add_nc_u32_e32 v5, 0x3c000000, v5
	v_and_or_b32 v5, 0x7f800000, v6, v5
	v_cndmask_b32_e32 v4, 0, v5, vcc_lo
	v_and_or_b32 v3, 0x80000000, v3, v4
	v_cvt_f16_f32_e32 v3, v3
.LBB25_632:
	s_mov_b32 s1, 0
.LBB25_633:
	s_andn2_b32 vcc_lo, exec_lo, s1
	s_cbranch_vccnz .LBB25_635
; %bb.634:
	global_load_ubyte v3, v[1:2], off
	s_waitcnt vmcnt(0)
	v_lshlrev_b32_e32 v4, 25, v3
	v_lshlrev_b16 v3, 8, v3
	v_lshrrev_b32_e32 v5, 4, v4
	v_and_or_b32 v6, 0x7f00, v3, 0.5
	v_cmp_gt_u32_e32 vcc_lo, 0x8000000, v4
	v_bfe_i32 v3, v3, 0, 16
	v_or_b32_e32 v5, 0x70000000, v5
	v_add_f32_e32 v6, -0.5, v6
	v_mul_f32_e32 v5, 0x7800000, v5
	v_cndmask_b32_e32 v4, v5, v6, vcc_lo
	v_and_or_b32 v3, 0x80000000, v3, v4
	v_cvt_f16_f32_e32 v3, v3
.LBB25_635:
	s_mov_b32 s23, 0
	s_mov_b32 s1, -1
.LBB25_636:
	s_andn2_b32 vcc_lo, exec_lo, s23
	s_cbranch_vccnz .LBB25_649
; %bb.637:
	s_cmp_gt_i32 s0, 14
	s_cbranch_scc0 .LBB25_640
; %bb.638:
	s_cmp_eq_u32 s0, 15
	s_cbranch_scc0 .LBB25_643
; %bb.639:
	global_load_ushort v3, v[1:2], off
	s_mov_b32 s1, -1
	s_mov_b32 s22, 0
	s_waitcnt vmcnt(0)
	v_lshlrev_b32_e32 v3, 16, v3
	v_cvt_f16_f32_e32 v3, v3
	s_branch .LBB25_644
.LBB25_640:
	s_mov_b32 s23, -1
                                        ; implicit-def: $vgpr3
	s_branch .LBB25_645
.LBB25_641:
	s_or_saveexec_b32 s23, s23
	v_mov_b32_e32 v3, 0x7e00
	s_xor_b32 exec_lo, exec_lo, s23
	s_cbranch_execz .LBB25_622
.LBB25_642:
	v_cmp_ne_u16_e32 vcc_lo, 0, v4
	v_mov_b32_e32 v3, v4
	s_andn2_b32 s1, s1, exec_lo
	s_and_b32 s43, vcc_lo, exec_lo
	s_or_b32 s1, s1, s43
	s_or_b32 exec_lo, exec_lo, s23
	s_and_saveexec_b32 s23, s1
	s_cbranch_execnz .LBB25_623
	s_branch .LBB25_624
.LBB25_643:
	s_mov_b32 s22, -1
                                        ; implicit-def: $vgpr3
.LBB25_644:
	s_mov_b32 s23, 0
.LBB25_645:
	s_and_b32 vcc_lo, exec_lo, s23
	s_cbranch_vccz .LBB25_649
; %bb.646:
	s_cmp_eq_u32 s0, 11
	s_cbranch_scc0 .LBB25_648
; %bb.647:
	global_load_ubyte v3, v[1:2], off
	s_mov_b32 s22, 0
	s_mov_b32 s1, -1
	s_waitcnt vmcnt(0)
	v_cmp_ne_u16_e32 vcc_lo, 0, v3
	v_cndmask_b32_e64 v3, 0, 0x3c00, vcc_lo
	s_branch .LBB25_649
.LBB25_648:
	s_mov_b32 s22, -1
                                        ; implicit-def: $vgpr3
.LBB25_649:
	s_mov_b32 s23, 0
.LBB25_650:
	s_and_b32 vcc_lo, exec_lo, s23
	s_cbranch_vccz .LBB25_699
; %bb.651:
	s_cmp_lt_i32 s0, 5
	s_cbranch_scc1 .LBB25_656
; %bb.652:
	s_cmp_lt_i32 s0, 8
	s_cbranch_scc1 .LBB25_657
	;; [unrolled: 3-line block ×3, first 2 shown]
; %bb.654:
	s_cmp_gt_i32 s0, 9
	s_cbranch_scc0 .LBB25_659
; %bb.655:
	global_load_dwordx2 v[3:4], v[1:2], off
	s_mov_b32 s1, 0
	s_waitcnt vmcnt(0)
	v_and_or_b32 v3, 0x1ff, v4, v3
	v_lshrrev_b32_e32 v5, 8, v4
	v_bfe_u32 v6, v4, 20, 11
	v_lshrrev_b32_e32 v4, 16, v4
	v_cmp_ne_u32_e32 vcc_lo, 0, v3
	v_sub_nc_u32_e32 v7, 0x3f1, v6
	v_add_nc_u32_e32 v6, 0xfffffc10, v6
	v_cndmask_b32_e64 v3, 0, 1, vcc_lo
	v_and_or_b32 v3, 0xffe, v5, v3
	v_med3_i32 v5, v7, 0, 13
	v_or_b32_e32 v7, 0x1000, v3
	v_lshrrev_b32_e32 v9, v5, v7
	v_lshlrev_b32_e32 v5, v5, v9
	v_cmp_ne_u32_e32 vcc_lo, v5, v7
	v_lshl_or_b32 v7, v6, 12, v3
	v_cndmask_b32_e64 v5, 0, 1, vcc_lo
	v_cmp_gt_i32_e32 vcc_lo, 1, v6
	v_or_b32_e32 v5, v9, v5
	v_cndmask_b32_e32 v5, v7, v5, vcc_lo
	v_and_b32_e32 v7, 7, v5
	v_lshrrev_b32_e32 v5, 2, v5
	v_cmp_lt_i32_e32 vcc_lo, 5, v7
	v_cndmask_b32_e64 v9, 0, 1, vcc_lo
	v_cmp_eq_u32_e32 vcc_lo, 3, v7
	v_cndmask_b32_e64 v7, 0, 1, vcc_lo
	v_cmp_ne_u32_e32 vcc_lo, 0, v3
	v_or_b32_e32 v7, v7, v9
	v_mov_b32_e32 v9, 0x7e00
	v_add_nc_u32_e32 v5, v5, v7
	v_cndmask_b32_e32 v3, 0x7c00, v9, vcc_lo
	v_cmp_gt_i32_e32 vcc_lo, 31, v6
	v_cndmask_b32_e32 v5, 0x7c00, v5, vcc_lo
	v_cmp_eq_u32_e32 vcc_lo, 0x40f, v6
	v_cndmask_b32_e32 v3, v5, v3, vcc_lo
	v_and_or_b32 v3, 0x8000, v4, v3
	s_branch .LBB25_660
.LBB25_656:
	s_mov_b32 s1, -1
                                        ; implicit-def: $vgpr3
	s_branch .LBB25_678
.LBB25_657:
	s_mov_b32 s1, -1
                                        ; implicit-def: $vgpr3
	s_branch .LBB25_666
.LBB25_658:
	s_mov_b32 s1, -1
                                        ; implicit-def: $vgpr3
	s_branch .LBB25_663
.LBB25_659:
	s_mov_b32 s1, -1
                                        ; implicit-def: $vgpr3
.LBB25_660:
	s_andn2_b32 vcc_lo, exec_lo, s1
	s_cbranch_vccnz .LBB25_662
; %bb.661:
	global_load_dword v3, v[1:2], off
	s_waitcnt vmcnt(0)
	v_cvt_f16_f32_e32 v3, v3
.LBB25_662:
	s_mov_b32 s1, 0
.LBB25_663:
	s_andn2_b32 vcc_lo, exec_lo, s1
	s_cbranch_vccnz .LBB25_665
; %bb.664:
	global_load_dword v3, v[1:2], off
.LBB25_665:
	s_mov_b32 s1, 0
.LBB25_666:
	s_andn2_b32 vcc_lo, exec_lo, s1
	s_cbranch_vccnz .LBB25_677
; %bb.667:
	s_cmp_lt_i32 s0, 6
	s_cbranch_scc1 .LBB25_670
; %bb.668:
	s_cmp_gt_i32 s0, 6
	s_cbranch_scc0 .LBB25_671
; %bb.669:
	global_load_dwordx2 v[3:4], v[1:2], off
	s_mov_b32 s1, 0
	s_waitcnt vmcnt(0)
	v_and_or_b32 v3, 0x1ff, v4, v3
	v_lshrrev_b32_e32 v5, 8, v4
	v_bfe_u32 v6, v4, 20, 11
	v_lshrrev_b32_e32 v4, 16, v4
	v_cmp_ne_u32_e32 vcc_lo, 0, v3
	v_sub_nc_u32_e32 v7, 0x3f1, v6
	v_add_nc_u32_e32 v6, 0xfffffc10, v6
	v_cndmask_b32_e64 v3, 0, 1, vcc_lo
	v_and_or_b32 v3, 0xffe, v5, v3
	v_med3_i32 v5, v7, 0, 13
	v_or_b32_e32 v7, 0x1000, v3
	v_lshrrev_b32_e32 v9, v5, v7
	v_lshlrev_b32_e32 v5, v5, v9
	v_cmp_ne_u32_e32 vcc_lo, v5, v7
	v_lshl_or_b32 v7, v6, 12, v3
	v_cndmask_b32_e64 v5, 0, 1, vcc_lo
	v_cmp_gt_i32_e32 vcc_lo, 1, v6
	v_or_b32_e32 v5, v9, v5
	v_cndmask_b32_e32 v5, v7, v5, vcc_lo
	v_and_b32_e32 v7, 7, v5
	v_lshrrev_b32_e32 v5, 2, v5
	v_cmp_lt_i32_e32 vcc_lo, 5, v7
	v_cndmask_b32_e64 v9, 0, 1, vcc_lo
	v_cmp_eq_u32_e32 vcc_lo, 3, v7
	v_cndmask_b32_e64 v7, 0, 1, vcc_lo
	v_cmp_ne_u32_e32 vcc_lo, 0, v3
	v_or_b32_e32 v7, v7, v9
	v_mov_b32_e32 v9, 0x7e00
	v_add_nc_u32_e32 v5, v5, v7
	v_cndmask_b32_e32 v3, 0x7c00, v9, vcc_lo
	v_cmp_gt_i32_e32 vcc_lo, 31, v6
	v_cndmask_b32_e32 v5, 0x7c00, v5, vcc_lo
	v_cmp_eq_u32_e32 vcc_lo, 0x40f, v6
	v_cndmask_b32_e32 v3, v5, v3, vcc_lo
	v_and_or_b32 v3, 0x8000, v4, v3
	s_branch .LBB25_672
.LBB25_670:
	s_mov_b32 s1, -1
                                        ; implicit-def: $vgpr3
	s_branch .LBB25_675
.LBB25_671:
	s_mov_b32 s1, -1
                                        ; implicit-def: $vgpr3
.LBB25_672:
	s_andn2_b32 vcc_lo, exec_lo, s1
	s_cbranch_vccnz .LBB25_674
; %bb.673:
	global_load_dword v3, v[1:2], off
	s_waitcnt vmcnt(0)
	v_cvt_f16_f32_e32 v3, v3
.LBB25_674:
	s_mov_b32 s1, 0
.LBB25_675:
	s_andn2_b32 vcc_lo, exec_lo, s1
	s_cbranch_vccnz .LBB25_677
; %bb.676:
	global_load_ushort v3, v[1:2], off
.LBB25_677:
	s_mov_b32 s1, 0
.LBB25_678:
	s_andn2_b32 vcc_lo, exec_lo, s1
	s_cbranch_vccnz .LBB25_698
; %bb.679:
	s_cmp_lt_i32 s0, 2
	s_cbranch_scc1 .LBB25_683
; %bb.680:
	s_cmp_lt_i32 s0, 3
	s_cbranch_scc1 .LBB25_684
; %bb.681:
	s_cmp_gt_i32 s0, 3
	s_cbranch_scc0 .LBB25_685
; %bb.682:
	global_load_dwordx2 v[3:4], v[1:2], off
	s_mov_b32 s1, 0
	s_waitcnt vmcnt(0)
	v_xor_b32_e32 v5, v3, v4
	v_ffbh_i32_e32 v6, v4
	v_ashrrev_i32_e32 v5, 31, v5
	v_add_nc_u32_e32 v6, -1, v6
	v_add_nc_u32_e32 v5, 32, v5
	v_min_u32_e32 v5, v6, v5
	v_lshlrev_b64 v[3:4], v5, v[3:4]
	v_min_u32_e32 v3, 1, v3
	v_or_b32_e32 v3, v4, v3
	v_sub_nc_u32_e32 v4, 32, v5
	v_cvt_f32_i32_e32 v3, v3
	v_ldexp_f32 v3, v3, v4
	v_cvt_f16_f32_e32 v3, v3
	s_branch .LBB25_686
.LBB25_683:
	s_mov_b32 s1, -1
                                        ; implicit-def: $vgpr3
	s_branch .LBB25_692
.LBB25_684:
	s_mov_b32 s1, -1
                                        ; implicit-def: $vgpr3
	s_branch .LBB25_689
.LBB25_685:
	s_mov_b32 s1, -1
                                        ; implicit-def: $vgpr3
.LBB25_686:
	s_andn2_b32 vcc_lo, exec_lo, s1
	s_cbranch_vccnz .LBB25_688
; %bb.687:
	global_load_dword v3, v[1:2], off
	s_waitcnt vmcnt(0)
	v_cvt_f32_i32_e32 v3, v3
	v_cvt_f16_f32_e32 v3, v3
.LBB25_688:
	s_mov_b32 s1, 0
.LBB25_689:
	s_andn2_b32 vcc_lo, exec_lo, s1
	s_cbranch_vccnz .LBB25_691
; %bb.690:
	global_load_ushort v3, v[1:2], off
	s_waitcnt vmcnt(0)
	v_cvt_f16_i16_e32 v3, v3
.LBB25_691:
	s_mov_b32 s1, 0
.LBB25_692:
	s_andn2_b32 vcc_lo, exec_lo, s1
	s_cbranch_vccnz .LBB25_698
; %bb.693:
	s_cmp_gt_i32 s0, 0
	s_mov_b32 s0, 0
	s_cbranch_scc0 .LBB25_695
; %bb.694:
	global_load_sbyte v3, v[1:2], off
	s_waitcnt vmcnt(0)
	v_cvt_f16_i16_e32 v3, v3
	s_branch .LBB25_696
.LBB25_695:
	s_mov_b32 s0, -1
                                        ; implicit-def: $vgpr3
.LBB25_696:
	s_andn2_b32 vcc_lo, exec_lo, s0
	s_cbranch_vccnz .LBB25_698
; %bb.697:
	global_load_ubyte v1, v[1:2], off
	s_waitcnt vmcnt(0)
	v_cvt_f16_u16_e32 v3, v1
.LBB25_698:
	s_mov_b32 s1, -1
.LBB25_699:
	s_andn2_b32 vcc_lo, exec_lo, s1
	s_cbranch_vccnz .LBB25_711
; %bb.700:
	s_waitcnt vmcnt(0)
	v_cvt_f32_f16_e32 v1, v3
                                        ; implicit-def: $vgpr4
                                        ; implicit-def: $vgpr3
	s_mov_b32 s1, exec_lo
	v_and_b32_e32 v2, 0x7fffffff, v1
	v_cmpx_ngt_f32_e64 0x48000000, |v1|
	s_xor_b32 s23, exec_lo, s1
	s_cbranch_execz .LBB25_702
; %bb.701:
	s_mov_b32 s0, 0x7fffff
	v_mov_b32_e32 v5, 0
	v_and_or_b32 v14, v2, s0, 0x800000
	v_mad_u64_u32 v[3:4], null, 0xfe5163ab, v14, 0
	v_mad_u64_u32 v[6:7], null, 0x3c439041, v14, v[4:5]
	v_mov_b32_e32 v4, v7
	v_lshrrev_b32_e32 v7, 23, v2
	v_mad_u64_u32 v[9:10], null, 0xdb629599, v14, v[4:5]
	v_add_nc_u32_e32 v7, 0xffffff88, v7
	v_cmp_lt_u32_e32 vcc_lo, 63, v7
	v_mov_b32_e32 v4, v10
	v_cndmask_b32_e64 v13, 0, 0xffffffc0, vcc_lo
	v_mad_u64_u32 v[10:11], null, 0xf534ddc0, v14, v[4:5]
	v_cndmask_b32_e32 v3, v9, v3, vcc_lo
	v_add_nc_u32_e32 v7, v13, v7
	v_mov_b32_e32 v4, v11
	v_cmp_lt_u32_e64 s0, 31, v7
	v_cndmask_b32_e32 v6, v10, v6, vcc_lo
	v_mad_u64_u32 v[11:12], null, 0xfc2757d1, v14, v[4:5]
	v_cndmask_b32_e64 v15, 0, 0xffffffe0, s0
	v_cndmask_b32_e64 v3, v6, v3, s0
	v_add_nc_u32_e32 v7, v15, v7
	v_mov_b32_e32 v4, v12
	v_cmp_lt_u32_e64 s1, 31, v7
	v_mad_u64_u32 v[12:13], null, 0x4e441529, v14, v[4:5]
	v_mov_b32_e32 v4, v13
	v_cndmask_b32_e64 v13, 0, 0xffffffe0, s1
	v_mad_u64_u32 v[4:5], null, 0xa2f9836e, v14, v[4:5]
	v_cndmask_b32_e32 v14, v12, v10, vcc_lo
	v_add_nc_u32_e32 v7, v13, v7
	v_cndmask_b32_e32 v4, v4, v11, vcc_lo
	v_cndmask_b32_e32 v5, v5, v12, vcc_lo
	;; [unrolled: 1-line block ×3, first 2 shown]
	v_sub_nc_u32_e32 v12, 32, v7
	v_cmp_eq_u32_e32 vcc_lo, 0, v7
	v_cndmask_b32_e64 v10, v4, v14, s0
	v_cndmask_b32_e64 v4, v5, v4, s0
	;; [unrolled: 1-line block ×8, first 2 shown]
	v_alignbit_b32 v13, v4, v10, v12
	v_alignbit_b32 v9, v10, v5, v12
	;; [unrolled: 1-line block ×3, first 2 shown]
	v_cndmask_b32_e32 v4, v13, v4, vcc_lo
	v_cndmask_b32_e32 v6, v9, v10, vcc_lo
	v_cndmask_b32_e32 v5, v11, v5, vcc_lo
	v_bfe_u32 v7, v4, 29, 1
	v_alignbit_b32 v9, v4, v6, 30
	v_alignbit_b32 v6, v6, v5, 30
	;; [unrolled: 1-line block ×3, first 2 shown]
	v_sub_nc_u32_e32 v10, 0, v7
	v_xor_b32_e32 v9, v9, v10
	v_xor_b32_e32 v5, v6, v10
	;; [unrolled: 1-line block ×3, first 2 shown]
	v_lshrrev_b32_e32 v10, 29, v4
	v_lshrrev_b32_e32 v4, 30, v4
	v_ffbh_u32_e32 v11, v9
	v_add_nc_u32_e32 v4, v7, v4
	v_min_u32_e32 v11, 32, v11
	v_sub_nc_u32_e32 v6, 31, v11
	v_lshlrev_b32_e32 v12, 23, v11
	v_alignbit_b32 v9, v9, v5, v6
	v_alignbit_b32 v3, v5, v3, v6
	v_lshlrev_b32_e32 v5, 31, v10
	v_alignbit_b32 v6, v9, v3, 9
	v_or_b32_e32 v10, 0.5, v5
	v_lshrrev_b32_e32 v9, 9, v9
	v_or_b32_e32 v5, 0x33000000, v5
	v_ffbh_u32_e32 v13, v6
	v_sub_nc_u32_e32 v10, v10, v12
	v_min_u32_e32 v12, 32, v13
	v_or_b32_e32 v9, v9, v10
	v_not_b32_e32 v10, v12
	v_mul_f32_e32 v13, 0x3fc90fda, v9
	v_add_lshl_u32 v11, v12, v11, 23
	v_alignbit_b32 v3, v6, v3, v10
	v_fma_f32 v6, 0x3fc90fda, v9, -v13
	v_sub_nc_u32_e32 v5, v5, v11
	v_lshrrev_b32_e32 v3, 9, v3
	v_fmamk_f32 v6, v9, 0x33a22168, v6
	v_or_b32_e32 v3, v5, v3
	v_fmac_f32_e32 v6, 0x3fc90fda, v3
	v_add_f32_e32 v3, v13, v6
.LBB25_702:
	s_andn2_saveexec_b32 s0, s23
; %bb.703:
	v_mul_f32_e64 v3, 0x3f22f983, |v1|
	v_rndne_f32_e32 v4, v3
	v_fma_f32 v3, 0xbfc90fda, v4, |v1|
	v_fmamk_f32 v3, v4, 0xb3a22168, v3
	v_fmamk_f32 v3, v4, 0xa7c234c4, v3
	v_cvt_i32_f32_e32 v4, v4
; %bb.704:
	s_or_b32 exec_lo, exec_lo, s0
	v_mul_f32_e32 v5, v3, v3
	s_mov_b32 s0, 0xb94c1982
	s_mov_b32 s1, 0x37d75334
	v_and_b32_e32 v9, 1, v4
	v_lshlrev_b32_e32 v4, 30, v4
	v_fmaak_f32 v6, s0, v5, 0x3c0881c4
	v_fmaak_f32 v7, s1, v5, 0xbab64f3b
	v_xor_b32_e32 v2, v2, v1
	v_cmp_eq_u32_e32 vcc_lo, 0, v9
	v_and_b32_e32 v4, 0x80000000, v4
	v_fmaak_f32 v6, v5, v6, 0xbe2aaa9d
	v_fmaak_f32 v7, v5, v7, 0x3d2aabf7
	v_add_co_u32 v0, s0, s8, v0
	s_and_b32 s1, s29, 0xff
	v_mul_f32_e32 v6, v5, v6
	v_fmaak_f32 v7, v5, v7, 0xbf000004
	s_mov_b32 s43, 0
	s_mov_b32 s23, -1
	s_cmp_lt_i32 s1, 11
	v_fmac_f32_e32 v3, v3, v6
	v_fma_f32 v5, v5, v7, 1.0
	v_cndmask_b32_e32 v3, v5, v3, vcc_lo
	v_cmp_class_f32_e64 vcc_lo, v1, 0x1f8
	v_add_co_ci_u32_e64 v1, null, s9, 0, s0
	s_mov_b32 s0, s40
	v_xor3_b32 v2, v2, v4, v3
	v_cndmask_b32_e32 v2, 0x7fc00000, v2, vcc_lo
	v_cvt_f16_f32_e32 v2, v2
	s_cbranch_scc1 .LBB25_712
; %bb.705:
	s_and_b32 s23, 0xffff, s1
	s_cmp_gt_i32 s23, 25
	s_cbranch_scc0 .LBB25_753
; %bb.706:
	s_cmp_gt_i32 s23, 28
	s_cbranch_scc0 .LBB25_754
; %bb.707:
	;; [unrolled: 3-line block ×4, first 2 shown]
	s_mov_b32 s44, 0
	s_mov_b32 s0, -1
	s_cmp_eq_u32 s23, 46
	s_cbranch_scc0 .LBB25_757
; %bb.710:
	v_cvt_f32_f16_e32 v3, v2
	v_cmp_o_f16_e32 vcc_lo, v2, v2
	s_mov_b32 s43, -1
	s_mov_b32 s0, 0
	v_bfe_u32 v4, v3, 16, 1
	v_add3_u32 v3, v3, v4, 0x7fff
	v_mov_b32_e32 v4, 0x7fc0
	v_cndmask_b32_sdwa v3, v4, v3, vcc_lo dst_sel:DWORD dst_unused:UNUSED_PAD src0_sel:DWORD src1_sel:WORD_1
	global_store_dword v[0:1], v3, off
	s_branch .LBB25_757
.LBB25_711:
	s_mov_b32 s1, 0
	s_mov_b32 s0, s40
	s_branch .LBB25_752
.LBB25_712:
	s_and_b32 vcc_lo, exec_lo, s23
	s_cbranch_vccz .LBB25_826
; %bb.713:
	s_and_b32 s1, 0xffff, s1
	s_mov_b32 s23, -1
	s_cmp_lt_i32 s1, 5
	s_cbranch_scc1 .LBB25_734
; %bb.714:
	s_cmp_lt_i32 s1, 8
	s_cbranch_scc1 .LBB25_724
; %bb.715:
	;; [unrolled: 3-line block ×3, first 2 shown]
	s_cmp_gt_i32 s1, 9
	s_cbranch_scc0 .LBB25_718
; %bb.717:
	v_cvt_f32_f16_e32 v3, v2
	v_mov_b32_e32 v5, 0
	s_mov_b32 s23, 0
	v_cvt_f64_f32_e32 v[3:4], v3
	v_mov_b32_e32 v6, v5
	global_store_dwordx4 v[0:1], v[3:6], off
.LBB25_718:
	s_andn2_b32 vcc_lo, exec_lo, s23
	s_cbranch_vccnz .LBB25_720
; %bb.719:
	v_cvt_f32_f16_e32 v3, v2
	v_mov_b32_e32 v4, 0
	global_store_dwordx2 v[0:1], v[3:4], off
.LBB25_720:
	s_mov_b32 s23, 0
.LBB25_721:
	s_andn2_b32 vcc_lo, exec_lo, s23
	s_cbranch_vccnz .LBB25_723
; %bb.722:
	v_and_b32_e32 v3, 0xffff, v2
	global_store_dword v[0:1], v3, off
.LBB25_723:
	s_mov_b32 s23, 0
.LBB25_724:
	s_andn2_b32 vcc_lo, exec_lo, s23
	s_cbranch_vccnz .LBB25_733
; %bb.725:
	s_cmp_lt_i32 s1, 6
	s_mov_b32 s23, -1
	s_cbranch_scc1 .LBB25_731
; %bb.726:
	s_cmp_gt_i32 s1, 6
	s_cbranch_scc0 .LBB25_728
; %bb.727:
	v_cvt_f32_f16_e32 v3, v2
	s_mov_b32 s23, 0
	v_cvt_f64_f32_e32 v[3:4], v3
	global_store_dwordx2 v[0:1], v[3:4], off
.LBB25_728:
	s_andn2_b32 vcc_lo, exec_lo, s23
	s_cbranch_vccnz .LBB25_730
; %bb.729:
	v_cvt_f32_f16_e32 v3, v2
	global_store_dword v[0:1], v3, off
.LBB25_730:
	s_mov_b32 s23, 0
.LBB25_731:
	s_andn2_b32 vcc_lo, exec_lo, s23
	s_cbranch_vccnz .LBB25_733
; %bb.732:
	global_store_short v[0:1], v2, off
.LBB25_733:
	s_mov_b32 s23, 0
.LBB25_734:
	s_andn2_b32 vcc_lo, exec_lo, s23
	s_cbranch_vccnz .LBB25_750
; %bb.735:
	s_cmp_lt_i32 s1, 2
	s_mov_b32 s23, -1
	s_cbranch_scc1 .LBB25_745
; %bb.736:
	s_cmp_lt_i32 s1, 3
	s_cbranch_scc1 .LBB25_742
; %bb.737:
	s_cmp_gt_i32 s1, 3
	s_cbranch_scc0 .LBB25_739
; %bb.738:
	v_cvt_f32_f16_e32 v3, v2
	s_mov_b32 s23, 0
	v_cvt_i32_f32_e32 v3, v3
	v_ashrrev_i32_e32 v4, 31, v3
	global_store_dwordx2 v[0:1], v[3:4], off
.LBB25_739:
	s_andn2_b32 vcc_lo, exec_lo, s23
	s_cbranch_vccnz .LBB25_741
; %bb.740:
	v_cvt_f32_f16_e32 v3, v2
	v_cvt_i32_f32_e32 v3, v3
	global_store_dword v[0:1], v3, off
.LBB25_741:
	s_mov_b32 s23, 0
.LBB25_742:
	s_andn2_b32 vcc_lo, exec_lo, s23
	s_cbranch_vccnz .LBB25_744
; %bb.743:
	v_cvt_i16_f16_e32 v3, v2
	global_store_short v[0:1], v3, off
.LBB25_744:
	s_mov_b32 s23, 0
.LBB25_745:
	s_andn2_b32 vcc_lo, exec_lo, s23
	s_cbranch_vccnz .LBB25_750
; %bb.746:
	s_cmp_gt_i32 s1, 0
	s_mov_b32 s1, -1
	s_cbranch_scc0 .LBB25_748
; %bb.747:
	v_cvt_i16_f16_e32 v3, v2
	s_mov_b32 s1, 0
	global_store_byte v[0:1], v3, off
.LBB25_748:
	s_andn2_b32 vcc_lo, exec_lo, s1
	s_cbranch_vccnz .LBB25_750
; %bb.749:
	v_cvt_f32_f16_e32 v2, v2
	v_cvt_i32_f32_e32 v2, v2
	global_store_byte v[0:1], v2, off
.LBB25_750:
	s_branch .LBB25_827
.LBB25_751:
	s_mov_b32 s1, 0
.LBB25_752:
                                        ; implicit-def: $vgpr8
	s_branch .LBB25_828
.LBB25_753:
	s_mov_b32 s44, -1
	s_mov_b32 s0, s40
	s_branch .LBB25_784
.LBB25_754:
	s_mov_b32 s44, -1
	s_mov_b32 s0, s40
	s_branch .LBB25_767
.LBB25_755:
	s_mov_b32 s44, -1
	s_mov_b32 s0, s40
	s_branch .LBB25_763
.LBB25_756:
	s_mov_b32 s44, -1
	s_mov_b32 s0, s40
.LBB25_757:
	s_and_b32 vcc_lo, exec_lo, s44
	s_cbranch_vccz .LBB25_762
; %bb.758:
	s_cmp_eq_u32 s23, 44
	s_mov_b32 s0, -1
	s_cbranch_scc0 .LBB25_762
; %bb.759:
	v_cvt_f32_f16_e32 v3, v2
	v_mov_b32_e32 v4, 0xff
	s_mov_b32 s43, exec_lo
	v_bfe_u32 v5, v3, 23, 8
	v_cmpx_ne_u32_e32 0xff, v5
	s_cbranch_execz .LBB25_761
; %bb.760:
	v_and_b32_e32 v4, 0x400000, v3
	v_and_or_b32 v5, 0x3fffff, v3, v5
	v_lshrrev_b32_e32 v3, 23, v3
	v_cmp_ne_u32_e32 vcc_lo, 0, v4
	v_cmp_ne_u32_e64 s0, 0, v5
	s_and_b32 s0, vcc_lo, s0
	v_cndmask_b32_e64 v4, 0, 1, s0
	v_add_nc_u32_e32 v4, v3, v4
.LBB25_761:
	s_or_b32 exec_lo, exec_lo, s43
	s_mov_b32 s43, -1
	s_mov_b32 s0, 0
	global_store_byte v[0:1], v4, off
.LBB25_762:
	s_mov_b32 s44, 0
.LBB25_763:
	s_and_b32 vcc_lo, exec_lo, s44
	s_cbranch_vccz .LBB25_766
; %bb.764:
	s_cmp_eq_u32 s23, 29
	s_mov_b32 s0, -1
	s_cbranch_scc0 .LBB25_766
; %bb.765:
	v_cvt_f32_f16_e32 v3, v2
	v_mov_b32_e32 v4, 0
	s_mov_b32 s43, -1
	s_mov_b32 s0, 0
	s_mov_b32 s44, 0
	v_cvt_u32_f32_e32 v3, v3
	global_store_dwordx2 v[0:1], v[3:4], off
	s_branch .LBB25_767
.LBB25_766:
	s_mov_b32 s44, 0
.LBB25_767:
	s_and_b32 vcc_lo, exec_lo, s44
	s_cbranch_vccz .LBB25_783
; %bb.768:
	s_cmp_lt_i32 s23, 27
	s_mov_b32 s43, -1
	s_cbranch_scc1 .LBB25_774
; %bb.769:
	s_cmp_gt_i32 s23, 27
	s_cbranch_scc0 .LBB25_771
; %bb.770:
	v_cvt_f32_f16_e32 v3, v2
	s_mov_b32 s43, 0
	v_cvt_u32_f32_e32 v3, v3
	global_store_dword v[0:1], v3, off
.LBB25_771:
	s_andn2_b32 vcc_lo, exec_lo, s43
	s_cbranch_vccnz .LBB25_773
; %bb.772:
	v_cvt_u16_f16_e32 v3, v2
	global_store_short v[0:1], v3, off
.LBB25_773:
	s_mov_b32 s43, 0
.LBB25_774:
	s_andn2_b32 vcc_lo, exec_lo, s43
	s_cbranch_vccnz .LBB25_782
; %bb.775:
	v_cvt_f32_f16_e32 v3, v2
	v_mov_b32_e32 v5, 0x80
	s_mov_b32 s43, exec_lo
	v_and_b32_e32 v4, 0x7fffffff, v3
	v_cmpx_gt_u32_e32 0x43800000, v4
	s_cbranch_execz .LBB25_781
; %bb.776:
	v_cmp_lt_u32_e32 vcc_lo, 0x3bffffff, v4
	s_mov_b32 s44, 0
                                        ; implicit-def: $vgpr4
	s_and_saveexec_b32 s45, vcc_lo
	s_xor_b32 s45, exec_lo, s45
	s_cbranch_execz .LBB25_857
; %bb.777:
	v_bfe_u32 v4, v3, 20, 1
	s_mov_b32 s44, exec_lo
	v_add3_u32 v4, v3, v4, 0x487ffff
	v_lshrrev_b32_e32 v4, 20, v4
	s_andn2_saveexec_b32 s45, s45
	s_cbranch_execnz .LBB25_858
.LBB25_778:
	s_or_b32 exec_lo, exec_lo, s45
	v_mov_b32_e32 v5, 0
	s_and_saveexec_b32 s45, s44
.LBB25_779:
	v_lshrrev_b32_e32 v3, 24, v3
	v_and_or_b32 v5, 0x80, v3, v4
.LBB25_780:
	s_or_b32 exec_lo, exec_lo, s45
.LBB25_781:
	s_or_b32 exec_lo, exec_lo, s43
	global_store_byte v[0:1], v5, off
.LBB25_782:
	s_mov_b32 s43, -1
.LBB25_783:
	s_mov_b32 s44, 0
.LBB25_784:
	s_and_b32 vcc_lo, exec_lo, s44
	s_cbranch_vccz .LBB25_825
; %bb.785:
	s_cmp_gt_i32 s23, 22
	s_mov_b32 s44, -1
	s_cbranch_scc0 .LBB25_817
; %bb.786:
	s_cmp_lt_i32 s23, 24
	s_mov_b32 s43, -1
	s_cbranch_scc1 .LBB25_806
; %bb.787:
	s_cmp_gt_i32 s23, 24
	s_cbranch_scc0 .LBB25_795
; %bb.788:
	v_cvt_f32_f16_e32 v3, v2
	v_mov_b32_e32 v5, 0x80
	s_mov_b32 s43, exec_lo
	v_and_b32_e32 v4, 0x7fffffff, v3
	v_cmpx_gt_u32_e32 0x47800000, v4
	s_cbranch_execz .LBB25_794
; %bb.789:
	v_cmp_lt_u32_e32 vcc_lo, 0x37ffffff, v4
	s_mov_b32 s44, 0
                                        ; implicit-def: $vgpr4
	s_and_saveexec_b32 s45, vcc_lo
	s_xor_b32 s45, exec_lo, s45
	s_cbranch_execz .LBB25_860
; %bb.790:
	v_bfe_u32 v4, v3, 21, 1
	s_mov_b32 s44, exec_lo
	v_add3_u32 v4, v3, v4, 0x88fffff
	v_lshrrev_b32_e32 v4, 21, v4
	s_andn2_saveexec_b32 s45, s45
	s_cbranch_execnz .LBB25_861
.LBB25_791:
	s_or_b32 exec_lo, exec_lo, s45
	v_mov_b32_e32 v5, 0
	s_and_saveexec_b32 s45, s44
.LBB25_792:
	v_lshrrev_b32_e32 v3, 24, v3
	v_and_or_b32 v5, 0x80, v3, v4
.LBB25_793:
	s_or_b32 exec_lo, exec_lo, s45
.LBB25_794:
	s_or_b32 exec_lo, exec_lo, s43
	s_mov_b32 s43, 0
	global_store_byte v[0:1], v5, off
.LBB25_795:
	s_and_b32 vcc_lo, exec_lo, s43
	s_cbranch_vccz .LBB25_805
; %bb.796:
	v_cvt_f32_f16_e32 v3, v2
	s_mov_b32 s43, exec_lo
                                        ; implicit-def: $vgpr4
	v_and_b32_e32 v5, 0x7fffffff, v3
	v_cmpx_gt_u32_e32 0x43f00000, v5
	s_xor_b32 s43, exec_lo, s43
	s_cbranch_execz .LBB25_802
; %bb.797:
	s_mov_b32 s44, exec_lo
                                        ; implicit-def: $vgpr4
	v_cmpx_lt_u32_e32 0x3c7fffff, v5
	s_xor_b32 s44, exec_lo, s44
; %bb.798:
	v_bfe_u32 v4, v3, 20, 1
	v_add3_u32 v4, v3, v4, 0x407ffff
	v_and_b32_e32 v5, 0xff00000, v4
	v_lshrrev_b32_e32 v4, 20, v4
	v_cmp_ne_u32_e32 vcc_lo, 0x7f00000, v5
	v_cndmask_b32_e32 v4, 0x7e, v4, vcc_lo
; %bb.799:
	s_andn2_saveexec_b32 s44, s44
; %bb.800:
	v_add_f32_e64 v4, 0x46800000, |v3|
; %bb.801:
	s_or_b32 exec_lo, exec_lo, s44
                                        ; implicit-def: $vgpr5
.LBB25_802:
	s_andn2_saveexec_b32 s43, s43
; %bb.803:
	v_mov_b32_e32 v4, 0x7f
	v_cmp_lt_u32_e32 vcc_lo, 0x7f800000, v5
	v_cndmask_b32_e32 v4, 0x7e, v4, vcc_lo
; %bb.804:
	s_or_b32 exec_lo, exec_lo, s43
	v_lshrrev_b32_e32 v3, 24, v3
	v_and_or_b32 v3, 0x80, v3, v4
	global_store_byte v[0:1], v3, off
.LBB25_805:
	s_mov_b32 s43, 0
.LBB25_806:
	s_andn2_b32 vcc_lo, exec_lo, s43
	s_cbranch_vccnz .LBB25_816
; %bb.807:
	v_cvt_f32_f16_e32 v3, v2
	s_mov_b32 s43, exec_lo
                                        ; implicit-def: $vgpr4
	v_and_b32_e32 v5, 0x7fffffff, v3
	v_cmpx_gt_u32_e32 0x47800000, v5
	s_xor_b32 s43, exec_lo, s43
	s_cbranch_execz .LBB25_813
; %bb.808:
	s_mov_b32 s44, exec_lo
                                        ; implicit-def: $vgpr4
	v_cmpx_lt_u32_e32 0x387fffff, v5
	s_xor_b32 s44, exec_lo, s44
; %bb.809:
	v_bfe_u32 v4, v3, 21, 1
	v_add3_u32 v4, v3, v4, 0x80fffff
	v_lshrrev_b32_e32 v4, 21, v4
; %bb.810:
	s_andn2_saveexec_b32 s44, s44
; %bb.811:
	v_add_f32_e64 v4, 0x43000000, |v3|
; %bb.812:
	s_or_b32 exec_lo, exec_lo, s44
                                        ; implicit-def: $vgpr5
.LBB25_813:
	s_andn2_saveexec_b32 s43, s43
; %bb.814:
	v_mov_b32_e32 v4, 0x7f
	v_cmp_lt_u32_e32 vcc_lo, 0x7f800000, v5
	v_cndmask_b32_e32 v4, 0x7c, v4, vcc_lo
; %bb.815:
	s_or_b32 exec_lo, exec_lo, s43
	v_lshrrev_b32_e32 v3, 24, v3
	v_and_or_b32 v3, 0x80, v3, v4
	global_store_byte v[0:1], v3, off
.LBB25_816:
	s_mov_b32 s44, 0
	s_mov_b32 s43, -1
.LBB25_817:
	s_andn2_b32 vcc_lo, exec_lo, s44
	s_cbranch_vccnz .LBB25_825
; %bb.818:
	s_cmp_gt_i32 s23, 14
	s_mov_b32 s44, -1
	s_cbranch_scc0 .LBB25_822
; %bb.819:
	s_cmp_eq_u32 s23, 15
	s_mov_b32 s0, -1
	s_cbranch_scc0 .LBB25_821
; %bb.820:
	v_cvt_f32_f16_e32 v3, v2
	v_cmp_o_f16_e32 vcc_lo, v2, v2
	s_mov_b32 s43, -1
	s_mov_b32 s0, 0
	v_bfe_u32 v4, v3, 16, 1
	v_add3_u32 v3, v3, v4, 0x7fff
	v_mov_b32_e32 v4, 0x7fc0
	v_cndmask_b32_sdwa v3, v4, v3, vcc_lo dst_sel:DWORD dst_unused:UNUSED_PAD src0_sel:DWORD src1_sel:WORD_1
	global_store_short v[0:1], v3, off
.LBB25_821:
	s_mov_b32 s44, 0
.LBB25_822:
	s_and_b32 vcc_lo, exec_lo, s44
	s_cbranch_vccz .LBB25_825
; %bb.823:
	s_cmp_eq_u32 s23, 11
	s_mov_b32 s0, -1
	s_cbranch_scc0 .LBB25_825
; %bb.824:
	v_cmp_neq_f16_e32 vcc_lo, 0, v2
	s_mov_b32 s0, 0
	s_mov_b32 s43, -1
	v_cndmask_b32_e64 v3, 0, 1, vcc_lo
	global_store_byte v[0:1], v3, off
.LBB25_825:
.LBB25_826:
	s_andn2_b32 vcc_lo, exec_lo, s43
	s_cbranch_vccnz .LBB25_751
.LBB25_827:
	v_add_nc_u32_e32 v8, 0x80, v8
	s_mov_b32 s1, -1
.LBB25_828:
	s_andn2_b32 s23, s40, exec_lo
	s_and_b32 s0, s0, exec_lo
	s_andn2_b32 s43, s39, exec_lo
	s_and_b32 s22, s22, exec_lo
	s_or_b32 s23, s23, s0
	s_or_b32 s22, s43, s22
	s_orn2_b32 s44, s1, exec_lo
.LBB25_829:
	s_or_b32 exec_lo, exec_lo, s42
	s_mov_b32 s0, 0
	s_mov_b32 s1, 0
	;; [unrolled: 1-line block ×3, first 2 shown]
                                        ; implicit-def: $vgpr1_vgpr2
                                        ; implicit-def: $vgpr0
                                        ; implicit-def: $vgpr4
	s_and_saveexec_b32 s42, s44
	s_cbranch_execz .LBB25_929
; %bb.830:
	v_cmp_gt_i32_e32 vcc_lo, s33, v8
	s_mov_b32 s45, s22
	s_mov_b32 s44, 0
                                        ; implicit-def: $vgpr1_vgpr2
                                        ; implicit-def: $vgpr0
                                        ; implicit-def: $vgpr4
	s_and_saveexec_b32 s33, vcc_lo
	s_cbranch_execz .LBB25_928
; %bb.831:
	s_andn2_b32 vcc_lo, exec_lo, s27
	s_cbranch_vccnz .LBB25_836
; %bb.832:
	s_andn2_b32 vcc_lo, exec_lo, s34
	s_cbranch_vccnz .LBB25_837
; %bb.833:
	s_add_i32 s35, s35, 1
	s_cmp_eq_u32 s25, 2
	s_cbranch_scc1 .LBB25_838
; %bb.834:
	v_mov_b32_e32 v2, 0
	v_mov_b32_e32 v0, 0
	;; [unrolled: 1-line block ×3, first 2 shown]
	s_and_b32 s34, s35, 28
	s_mov_b64 s[0:1], s[2:3]
.LBB25_835:                             ; =>This Inner Loop Header: Depth=1
	s_clause 0x1
	s_load_dwordx8 s[44:51], s[0:1], 0x4
	s_load_dwordx4 s[60:63], s[0:1], 0x24
	s_load_dwordx8 s[52:59], s[20:21], 0x0
	s_add_u32 s0, s0, 48
	s_addc_u32 s1, s1, 0
	s_add_i32 s43, s43, 4
	s_add_u32 s20, s20, 32
	s_addc_u32 s21, s21, 0
	s_cmp_eq_u32 s34, s43
	s_waitcnt vmcnt(0) lgkmcnt(0)
	v_mul_hi_u32 v3, s45, v1
	v_add_nc_u32_e32 v3, v1, v3
	v_lshrrev_b32_e32 v3, s46, v3
	v_mul_hi_u32 v4, s48, v3
	v_mul_lo_u32 v6, v3, s44
	v_add_nc_u32_e32 v4, v3, v4
	v_sub_nc_u32_e32 v1, v1, v6
	v_lshrrev_b32_e32 v4, s49, v4
	v_mul_lo_u32 v6, v1, s52
	v_mul_lo_u32 v9, v1, s53
	v_mul_hi_u32 v5, s51, v4
	v_add_nc_u32_e32 v5, v4, v5
	v_lshrrev_b32_e32 v5, s60, v5
	v_mul_hi_u32 v7, s62, v5
	v_mul_lo_u32 v10, v5, s50
	v_add_nc_u32_e32 v1, v5, v7
	v_mul_lo_u32 v7, v4, s47
	v_sub_nc_u32_e32 v4, v4, v10
	v_lshrrev_b32_e32 v1, s63, v1
	v_mul_lo_u32 v10, v4, s56
	v_mul_lo_u32 v4, v4, s57
	v_sub_nc_u32_e32 v3, v3, v7
	v_mul_lo_u32 v11, v1, s61
	v_mul_lo_u32 v7, v3, s54
	;; [unrolled: 1-line block ×3, first 2 shown]
	v_sub_nc_u32_e32 v5, v5, v11
	v_add3_u32 v0, v6, v0, v7
	v_mul_lo_u32 v11, v5, s58
	v_mul_lo_u32 v5, v5, s59
	v_add3_u32 v2, v9, v2, v3
	v_add3_u32 v0, v10, v0, v11
	;; [unrolled: 1-line block ×3, first 2 shown]
	s_cbranch_scc0 .LBB25_835
	s_branch .LBB25_839
.LBB25_836:
	s_mov_b32 s0, -1
                                        ; implicit-def: $vgpr0
                                        ; implicit-def: $vgpr2
	s_branch .LBB25_843
.LBB25_837:
	v_mov_b32_e32 v0, 0
	v_mov_b32_e32 v2, 0
	s_branch .LBB25_842
.LBB25_838:
	v_mov_b32_e32 v0, 0
	v_mov_b32_e32 v2, 0
	;; [unrolled: 1-line block ×3, first 2 shown]
	s_mov_b32 s34, 0
.LBB25_839:
	s_and_b32 s35, s35, 3
	s_cmp_eq_u32 s35, 0
	s_cbranch_scc1 .LBB25_842
; %bb.840:
	s_lshl_b32 s0, s34, 3
	s_mul_i32 s20, s34, 12
	s_add_u32 s0, s2, s0
	s_addc_u32 s1, s3, 0
	s_add_u32 s0, s0, 0xc4
	s_addc_u32 s1, s1, 0
	;; [unrolled: 2-line block ×3, first 2 shown]
.LBB25_841:                             ; =>This Inner Loop Header: Depth=1
	s_clause 0x1
	s_load_dwordx2 s[44:45], s[20:21], 0x4
	s_load_dword s34, s[20:21], 0xc
	s_load_dwordx2 s[46:47], s[0:1], 0x0
	s_add_u32 s20, s20, 12
	s_addc_u32 s21, s21, 0
	s_add_u32 s0, s0, 8
	s_addc_u32 s1, s1, 0
	s_add_i32 s35, s35, -1
	s_cmp_lg_u32 s35, 0
	s_waitcnt vmcnt(0) lgkmcnt(0)
	v_mul_hi_u32 v3, s45, v1
	v_add_nc_u32_e32 v3, v1, v3
	v_lshrrev_b32_e32 v4, s34, v3
	v_mul_lo_u32 v3, v4, s44
	v_sub_nc_u32_e32 v3, v1, v3
	v_mad_u64_u32 v[0:1], null, v3, s46, v[0:1]
	v_mad_u64_u32 v[2:3], null, v3, s47, v[2:3]
	v_mov_b32_e32 v1, v4
	s_cbranch_scc1 .LBB25_841
.LBB25_842:
	s_mov_b32 s0, 0
.LBB25_843:
	s_andn2_b32 vcc_lo, exec_lo, s0
	s_cbranch_vccnz .LBB25_846
; %bb.844:
	s_waitcnt lgkmcnt(0)
	v_mul_hi_u32 v0, s17, v8
	s_andn2_b32 vcc_lo, exec_lo, s31
	v_add_nc_u32_e32 v0, v8, v0
	v_lshrrev_b32_e32 v1, s18, v0
	v_mul_lo_u32 v0, v1, s16
	v_sub_nc_u32_e32 v2, v8, v0
	v_mul_lo_u32 v0, v2, s12
	v_mul_lo_u32 v2, v2, s13
	s_cbranch_vccnz .LBB25_846
; %bb.845:
	s_waitcnt vmcnt(0)
	v_mul_hi_u32 v3, s6, v1
	v_add_nc_u32_e32 v3, v1, v3
	v_lshrrev_b32_e32 v3, s7, v3
	v_mul_lo_u32 v3, v3, s19
	v_sub_nc_u32_e32 v3, v1, v3
	v_mad_u64_u32 v[0:1], null, v3, s14, v[0:1]
	v_mad_u64_u32 v[2:3], null, v3, s15, v[2:3]
.LBB25_846:
	s_waitcnt lgkmcnt(0)
	v_add_co_u32 v1, s0, s10, v2
	v_add_co_ci_u32_e64 v2, null, s11, 0, s0
	s_and_b32 s0, 0xffff, s30
	s_cmp_lt_i32 s0, 11
	s_cbranch_scc1 .LBB25_853
; %bb.847:
	s_cmp_gt_i32 s0, 25
	s_mov_b32 s6, 0
	s_cbranch_scc0 .LBB25_854
; %bb.848:
	s_cmp_gt_i32 s0, 28
	s_cbranch_scc0 .LBB25_855
; %bb.849:
	s_cmp_gt_i32 s0, 43
	;; [unrolled: 3-line block ×3, first 2 shown]
	s_cbranch_scc0 .LBB25_859
; %bb.851:
	s_cmp_eq_u32 s0, 46
	s_mov_b32 s10, 0
	s_cbranch_scc0 .LBB25_862
; %bb.852:
	global_load_dword v3, v[1:2], off
	s_mov_b32 s1, 0
	s_mov_b32 s7, -1
	s_waitcnt vmcnt(0)
	v_lshlrev_b32_e32 v3, 16, v3
	v_cvt_f16_f32_e32 v4, v3
	s_branch .LBB25_864
.LBB25_853:
	s_mov_b32 s0, -1
	s_mov_b32 s7, 0
	s_mov_b32 s6, 0
	;; [unrolled: 1-line block ×3, first 2 shown]
                                        ; implicit-def: $vgpr4
	s_branch .LBB25_927
.LBB25_854:
	s_mov_b32 s10, -1
	s_mov_b32 s7, 0
	s_mov_b32 s1, s22
                                        ; implicit-def: $vgpr4
	s_branch .LBB25_893
.LBB25_855:
	s_mov_b32 s10, -1
	s_mov_b32 s7, 0
	s_mov_b32 s1, s22
                                        ; implicit-def: $vgpr4
	s_branch .LBB25_874
.LBB25_856:
	s_mov_b32 s10, -1
	s_mov_b32 s7, 0
	s_mov_b32 s1, s22
                                        ; implicit-def: $vgpr4
	s_branch .LBB25_869
.LBB25_857:
	s_andn2_saveexec_b32 s45, s45
	s_cbranch_execz .LBB25_778
.LBB25_858:
	v_add_f32_e64 v4, 0x46000000, |v3|
	s_andn2_b32 s44, s44, exec_lo
	v_and_b32_e32 v4, 0xff, v4
	v_cmp_ne_u32_e32 vcc_lo, 0, v4
	s_and_b32 s46, vcc_lo, exec_lo
	s_or_b32 s44, s44, s46
	s_or_b32 exec_lo, exec_lo, s45
	v_mov_b32_e32 v5, 0
	s_and_saveexec_b32 s45, s44
	s_cbranch_execnz .LBB25_779
	s_branch .LBB25_780
.LBB25_859:
	s_mov_b32 s10, -1
	s_mov_b32 s7, 0
	s_mov_b32 s1, s22
	s_branch .LBB25_863
.LBB25_860:
	s_andn2_saveexec_b32 s45, s45
	s_cbranch_execz .LBB25_791
.LBB25_861:
	v_add_f32_e64 v4, 0x42800000, |v3|
	s_andn2_b32 s44, s44, exec_lo
	v_and_b32_e32 v4, 0xff, v4
	v_cmp_ne_u32_e32 vcc_lo, 0, v4
	s_and_b32 s46, vcc_lo, exec_lo
	s_or_b32 s44, s44, s46
	s_or_b32 exec_lo, exec_lo, s45
	v_mov_b32_e32 v5, 0
	s_and_saveexec_b32 s45, s44
	s_cbranch_execnz .LBB25_792
	s_branch .LBB25_793
.LBB25_862:
	s_mov_b32 s1, -1
	s_mov_b32 s7, 0
.LBB25_863:
                                        ; implicit-def: $vgpr4
.LBB25_864:
	s_and_b32 vcc_lo, exec_lo, s10
	s_cbranch_vccz .LBB25_868
; %bb.865:
	s_cmp_eq_u32 s0, 44
	s_cbranch_scc0 .LBB25_867
; %bb.866:
	global_load_ubyte v3, v[1:2], off
	s_mov_b32 s1, 0
	s_mov_b32 s7, -1
	s_waitcnt vmcnt(0)
	v_lshlrev_b32_e32 v4, 23, v3
	v_cmp_ne_u32_e32 vcc_lo, 0xff, v3
	v_cvt_f16_f32_e32 v4, v4
	v_cndmask_b32_e32 v4, 0x7e00, v4, vcc_lo
	v_cmp_ne_u32_e32 vcc_lo, 0, v3
	v_cndmask_b32_e32 v4, 0, v4, vcc_lo
	s_branch .LBB25_868
.LBB25_867:
	s_mov_b32 s1, -1
                                        ; implicit-def: $vgpr4
.LBB25_868:
	s_mov_b32 s10, 0
.LBB25_869:
	s_and_b32 vcc_lo, exec_lo, s10
	s_cbranch_vccz .LBB25_873
; %bb.870:
	s_cmp_eq_u32 s0, 29
	s_cbranch_scc0 .LBB25_872
; %bb.871:
	global_load_dwordx2 v[3:4], v[1:2], off
	s_mov_b32 s1, 0
	s_mov_b32 s7, -1
	s_mov_b32 s10, 0
	s_waitcnt vmcnt(0)
	v_ffbh_u32_e32 v5, v4
	v_min_u32_e32 v5, 32, v5
	v_lshlrev_b64 v[3:4], v5, v[3:4]
	v_min_u32_e32 v3, 1, v3
	v_or_b32_e32 v3, v4, v3
	v_sub_nc_u32_e32 v4, 32, v5
	v_cvt_f32_u32_e32 v3, v3
	v_ldexp_f32 v3, v3, v4
	v_cvt_f16_f32_e32 v4, v3
	s_branch .LBB25_874
.LBB25_872:
	s_mov_b32 s1, -1
                                        ; implicit-def: $vgpr4
.LBB25_873:
	s_mov_b32 s10, 0
.LBB25_874:
	s_and_b32 vcc_lo, exec_lo, s10
	s_cbranch_vccz .LBB25_892
; %bb.875:
	s_cmp_lt_i32 s0, 27
	s_cbranch_scc1 .LBB25_878
; %bb.876:
	s_cmp_gt_i32 s0, 27
	s_cbranch_scc0 .LBB25_879
; %bb.877:
	global_load_dword v3, v[1:2], off
	s_mov_b32 s7, 0
	s_waitcnt vmcnt(0)
	v_cvt_f32_u32_e32 v3, v3
	v_cvt_f16_f32_e32 v4, v3
	s_branch .LBB25_880
.LBB25_878:
	s_mov_b32 s7, -1
                                        ; implicit-def: $vgpr4
	s_branch .LBB25_883
.LBB25_879:
	s_mov_b32 s7, -1
                                        ; implicit-def: $vgpr4
.LBB25_880:
	s_andn2_b32 vcc_lo, exec_lo, s7
	s_cbranch_vccnz .LBB25_882
; %bb.881:
	global_load_ushort v3, v[1:2], off
	s_waitcnt vmcnt(0)
	v_cvt_f16_u16_e32 v4, v3
.LBB25_882:
	s_mov_b32 s7, 0
.LBB25_883:
	s_andn2_b32 vcc_lo, exec_lo, s7
	s_cbranch_vccnz .LBB25_891
; %bb.884:
	global_load_ubyte v3, v[1:2], off
	s_mov_b32 s7, 0
	s_mov_b32 s10, exec_lo
	s_waitcnt vmcnt(0)
	v_cmpx_lt_i16_e32 0x7f, v3
	s_xor_b32 s10, exec_lo, s10
	s_cbranch_execz .LBB25_905
; %bb.885:
	s_mov_b32 s7, -1
	s_mov_b32 s11, exec_lo
	v_cmpx_eq_u16_e32 0x80, v3
; %bb.886:
	s_xor_b32 s7, exec_lo, -1
; %bb.887:
	s_or_b32 exec_lo, exec_lo, s11
	s_and_b32 s7, s7, exec_lo
	s_or_saveexec_b32 s10, s10
	v_mov_b32_e32 v4, 0x7e00
	s_xor_b32 exec_lo, exec_lo, s10
	s_cbranch_execnz .LBB25_906
.LBB25_888:
	s_or_b32 exec_lo, exec_lo, s10
	s_and_saveexec_b32 s10, s7
	s_cbranch_execz .LBB25_890
.LBB25_889:
	v_and_b32_e32 v4, 0xffff, v3
	v_lshlrev_b32_e32 v3, 24, v3
	v_and_b32_e32 v5, 7, v4
	v_bfe_u32 v8, v4, 3, 4
	v_and_b32_e32 v3, 0x80000000, v3
	v_ffbh_u32_e32 v6, v5
	v_cmp_eq_u32_e32 vcc_lo, 0, v8
	v_min_u32_e32 v6, 32, v6
	v_subrev_nc_u32_e32 v7, 28, v6
	v_sub_nc_u32_e32 v6, 29, v6
	v_lshlrev_b32_e32 v4, v7, v4
	v_cndmask_b32_e32 v6, v8, v6, vcc_lo
	v_and_b32_e32 v4, 7, v4
	v_cndmask_b32_e32 v4, v5, v4, vcc_lo
	v_lshl_add_u32 v5, v6, 23, 0x3b800000
	v_lshlrev_b32_e32 v4, 20, v4
	v_or3_b32 v3, v3, v5, v4
	v_cvt_f16_f32_e32 v4, v3
.LBB25_890:
	s_or_b32 exec_lo, exec_lo, s10
.LBB25_891:
	s_mov_b32 s7, -1
.LBB25_892:
	s_mov_b32 s10, 0
.LBB25_893:
	s_and_b32 vcc_lo, exec_lo, s10
	s_cbranch_vccz .LBB25_926
; %bb.894:
	s_cmp_gt_i32 s0, 22
	s_cbranch_scc0 .LBB25_904
; %bb.895:
	s_cmp_lt_i32 s0, 24
	s_cbranch_scc1 .LBB25_907
; %bb.896:
	s_cmp_gt_i32 s0, 24
	s_cbranch_scc0 .LBB25_908
; %bb.897:
	global_load_ubyte v3, v[1:2], off
	s_mov_b32 s7, exec_lo
	s_waitcnt vmcnt(0)
	v_cmpx_lt_i16_e32 0x7f, v3
	s_xor_b32 s7, exec_lo, s7
	s_cbranch_execz .LBB25_920
; %bb.898:
	s_mov_b32 s6, -1
	s_mov_b32 s10, exec_lo
	v_cmpx_eq_u16_e32 0x80, v3
; %bb.899:
	s_xor_b32 s6, exec_lo, -1
; %bb.900:
	s_or_b32 exec_lo, exec_lo, s10
	s_and_b32 s6, s6, exec_lo
	s_or_saveexec_b32 s7, s7
	v_mov_b32_e32 v4, 0x7e00
	s_xor_b32 exec_lo, exec_lo, s7
	s_cbranch_execnz .LBB25_921
.LBB25_901:
	s_or_b32 exec_lo, exec_lo, s7
	s_and_saveexec_b32 s7, s6
	s_cbranch_execz .LBB25_903
.LBB25_902:
	v_and_b32_e32 v4, 0xffff, v3
	v_lshlrev_b32_e32 v3, 24, v3
	v_and_b32_e32 v5, 3, v4
	v_bfe_u32 v8, v4, 2, 5
	v_and_b32_e32 v3, 0x80000000, v3
	v_ffbh_u32_e32 v6, v5
	v_cmp_eq_u32_e32 vcc_lo, 0, v8
	v_min_u32_e32 v6, 32, v6
	v_subrev_nc_u32_e32 v7, 29, v6
	v_sub_nc_u32_e32 v6, 30, v6
	v_lshlrev_b32_e32 v4, v7, v4
	v_cndmask_b32_e32 v6, v8, v6, vcc_lo
	v_and_b32_e32 v4, 3, v4
	v_cndmask_b32_e32 v4, v5, v4, vcc_lo
	v_lshl_add_u32 v5, v6, 23, 0x37800000
	v_lshlrev_b32_e32 v4, 21, v4
	v_or3_b32 v3, v3, v5, v4
	v_cvt_f16_f32_e32 v4, v3
.LBB25_903:
	s_or_b32 exec_lo, exec_lo, s7
	s_mov_b32 s6, 0
	s_branch .LBB25_909
.LBB25_904:
	s_mov_b32 s6, -1
                                        ; implicit-def: $vgpr4
	s_branch .LBB25_915
.LBB25_905:
	s_or_saveexec_b32 s10, s10
	v_mov_b32_e32 v4, 0x7e00
	s_xor_b32 exec_lo, exec_lo, s10
	s_cbranch_execz .LBB25_888
.LBB25_906:
	v_cmp_ne_u16_e32 vcc_lo, 0, v3
	v_mov_b32_e32 v4, v3
	s_andn2_b32 s7, s7, exec_lo
	s_and_b32 s11, vcc_lo, exec_lo
	s_or_b32 s7, s7, s11
	s_or_b32 exec_lo, exec_lo, s10
	s_and_saveexec_b32 s10, s7
	s_cbranch_execnz .LBB25_889
	s_branch .LBB25_890
.LBB25_907:
	s_mov_b32 s6, -1
                                        ; implicit-def: $vgpr4
	s_branch .LBB25_912
.LBB25_908:
	s_mov_b32 s6, -1
                                        ; implicit-def: $vgpr4
.LBB25_909:
	s_and_b32 vcc_lo, exec_lo, s6
	s_cbranch_vccz .LBB25_911
; %bb.910:
	global_load_ubyte v3, v[1:2], off
	s_waitcnt vmcnt(0)
	v_lshlrev_b32_e32 v3, 24, v3
	v_and_b32_e32 v4, 0x7f000000, v3
	v_ffbh_u32_e32 v5, v4
	v_add_nc_u32_e32 v7, 0x1000000, v4
	v_cmp_ne_u32_e32 vcc_lo, 0, v4
	v_min_u32_e32 v5, 32, v5
	v_sub_nc_u32_e64 v5, v5, 4 clamp
	v_lshlrev_b32_e32 v6, v5, v4
	v_lshlrev_b32_e32 v5, 23, v5
	v_lshrrev_b32_e32 v6, 4, v6
	v_sub_nc_u32_e32 v5, v6, v5
	v_ashrrev_i32_e32 v6, 8, v7
	v_add_nc_u32_e32 v5, 0x3c000000, v5
	v_and_or_b32 v5, 0x7f800000, v6, v5
	v_cndmask_b32_e32 v4, 0, v5, vcc_lo
	v_and_or_b32 v3, 0x80000000, v3, v4
	v_cvt_f16_f32_e32 v4, v3
.LBB25_911:
	s_mov_b32 s6, 0
.LBB25_912:
	s_andn2_b32 vcc_lo, exec_lo, s6
	s_cbranch_vccnz .LBB25_914
; %bb.913:
	global_load_ubyte v3, v[1:2], off
	s_waitcnt vmcnt(0)
	v_lshlrev_b32_e32 v4, 25, v3
	v_lshlrev_b16 v3, 8, v3
	v_lshrrev_b32_e32 v5, 4, v4
	v_and_or_b32 v6, 0x7f00, v3, 0.5
	v_cmp_gt_u32_e32 vcc_lo, 0x8000000, v4
	v_bfe_i32 v3, v3, 0, 16
	v_or_b32_e32 v5, 0x70000000, v5
	v_add_f32_e32 v6, -0.5, v6
	v_mul_f32_e32 v5, 0x7800000, v5
	v_cndmask_b32_e32 v4, v5, v6, vcc_lo
	v_and_or_b32 v3, 0x80000000, v3, v4
	v_cvt_f16_f32_e32 v4, v3
.LBB25_914:
	s_mov_b32 s6, 0
	s_mov_b32 s7, -1
.LBB25_915:
	s_andn2_b32 vcc_lo, exec_lo, s6
	s_mov_b32 s6, 0
	s_cbranch_vccnz .LBB25_926
; %bb.916:
	s_cmp_gt_i32 s0, 14
	s_cbranch_scc0 .LBB25_919
; %bb.917:
	s_cmp_eq_u32 s0, 15
	s_cbranch_scc0 .LBB25_922
; %bb.918:
	global_load_ushort v3, v[1:2], off
	s_mov_b32 s1, 0
	s_mov_b32 s7, -1
	s_waitcnt vmcnt(0)
	v_lshlrev_b32_e32 v3, 16, v3
	v_cvt_f16_f32_e32 v4, v3
	s_branch .LBB25_924
.LBB25_919:
	s_mov_b32 s6, -1
	s_branch .LBB25_923
.LBB25_920:
	s_or_saveexec_b32 s7, s7
	v_mov_b32_e32 v4, 0x7e00
	s_xor_b32 exec_lo, exec_lo, s7
	s_cbranch_execz .LBB25_901
.LBB25_921:
	v_cmp_ne_u16_e32 vcc_lo, 0, v3
	v_mov_b32_e32 v4, v3
	s_andn2_b32 s6, s6, exec_lo
	s_and_b32 s10, vcc_lo, exec_lo
	s_or_b32 s6, s6, s10
	s_or_b32 exec_lo, exec_lo, s7
	s_and_saveexec_b32 s7, s6
	s_cbranch_execnz .LBB25_902
	s_branch .LBB25_903
.LBB25_922:
	s_mov_b32 s1, -1
.LBB25_923:
                                        ; implicit-def: $vgpr4
.LBB25_924:
	s_and_b32 vcc_lo, exec_lo, s6
	s_mov_b32 s6, 0
	s_cbranch_vccz .LBB25_926
; %bb.925:
	s_cmp_lg_u32 s0, 11
	s_mov_b32 s6, -1
	s_cselect_b32 s0, -1, 0
	s_andn2_b32 s1, s1, exec_lo
	s_and_b32 s0, s0, exec_lo
	s_or_b32 s1, s1, s0
.LBB25_926:
	s_mov_b32 s0, 0
.LBB25_927:
	s_and_b32 s43, s7, exec_lo
	s_andn2_b32 s7, s22, exec_lo
	s_and_b32 s1, s1, exec_lo
	s_and_b32 s44, s0, exec_lo
	;; [unrolled: 1-line block ×3, first 2 shown]
	s_or_b32 s45, s7, s1
.LBB25_928:
	s_or_b32 exec_lo, exec_lo, s33
	s_waitcnt lgkmcnt(0)
	s_andn2_b32 s6, s22, exec_lo
	s_and_b32 s7, s45, exec_lo
	s_and_b32 s43, s43, exec_lo
	;; [unrolled: 1-line block ×4, first 2 shown]
	s_or_b32 s22, s6, s7
.LBB25_929:
	s_or_b32 exec_lo, exec_lo, s42
	s_waitcnt lgkmcnt(0)
	s_andn2_b32 s6, s40, exec_lo
	s_and_b32 s7, s23, exec_lo
	s_and_b32 s42, s43, exec_lo
	s_or_b32 s40, s6, s7
	s_andn2_b32 s6, s39, exec_lo
	s_and_b32 s7, s22, exec_lo
	s_and_b32 s23, s1, exec_lo
	;; [unrolled: 1-line block ×3, first 2 shown]
	s_or_b32 s39, s6, s7
.LBB25_930:
	s_or_b32 exec_lo, exec_lo, s41
	s_andn2_b32 s0, s36, exec_lo
	s_waitcnt lgkmcnt(0)
	s_and_b32 s6, s40, exec_lo
	s_and_b32 s7, s39, exec_lo
	s_or_b32 s36, s0, s6
	s_andn2_b32 s6, s37, exec_lo
	s_and_b32 s0, s42, exec_lo
	s_and_b32 s22, s23, exec_lo
	;; [unrolled: 1-line block ×3, first 2 shown]
	s_or_b32 s37, s6, s7
	s_or_b32 exec_lo, exec_lo, s38
	s_mov_b32 s6, 0
	s_and_saveexec_b32 s1, s37
	s_cbranch_execz .LBB25_278
.LBB25_931:
	s_mov_b32 s6, exec_lo
	s_andn2_b32 s39, s39, exec_lo
	s_trap 2
	s_or_b32 exec_lo, exec_lo, s1
	s_and_saveexec_b32 s1, s39
	s_xor_b32 s1, exec_lo, s1
	s_cbranch_execnz .LBB25_279
.LBB25_932:
	s_or_b32 exec_lo, exec_lo, s1
	s_and_saveexec_b32 s1, s22
	s_cbranch_execz .LBB25_978
.LBB25_933:
	s_sext_i32_i16 s7, s30
	s_cmp_lt_i32 s7, 5
	s_cbranch_scc1 .LBB25_938
; %bb.934:
	s_cmp_lt_i32 s7, 8
	s_cbranch_scc1 .LBB25_939
; %bb.935:
	;; [unrolled: 3-line block ×3, first 2 shown]
	s_cmp_gt_i32 s7, 9
	s_cbranch_scc0 .LBB25_941
; %bb.937:
	global_load_dwordx2 v[3:4], v[1:2], off
	s_mov_b32 s7, 0
	s_waitcnt vmcnt(0)
	v_and_or_b32 v3, 0x1ff, v4, v3
	v_lshrrev_b32_e32 v5, 8, v4
	v_bfe_u32 v6, v4, 20, 11
	v_lshrrev_b32_e32 v4, 16, v4
	v_cmp_ne_u32_e32 vcc_lo, 0, v3
	v_sub_nc_u32_e32 v7, 0x3f1, v6
	v_add_nc_u32_e32 v6, 0xfffffc10, v6
	v_cndmask_b32_e64 v3, 0, 1, vcc_lo
	v_and_or_b32 v3, 0xffe, v5, v3
	v_med3_i32 v5, v7, 0, 13
	v_or_b32_e32 v7, 0x1000, v3
	v_lshrrev_b32_e32 v8, v5, v7
	v_lshlrev_b32_e32 v5, v5, v8
	v_cmp_ne_u32_e32 vcc_lo, v5, v7
	v_lshl_or_b32 v7, v6, 12, v3
	v_cndmask_b32_e64 v5, 0, 1, vcc_lo
	v_cmp_gt_i32_e32 vcc_lo, 1, v6
	v_or_b32_e32 v5, v8, v5
	v_cndmask_b32_e32 v5, v7, v5, vcc_lo
	v_and_b32_e32 v7, 7, v5
	v_lshrrev_b32_e32 v5, 2, v5
	v_cmp_lt_i32_e32 vcc_lo, 5, v7
	v_cndmask_b32_e64 v8, 0, 1, vcc_lo
	v_cmp_eq_u32_e32 vcc_lo, 3, v7
	v_cndmask_b32_e64 v7, 0, 1, vcc_lo
	v_cmp_ne_u32_e32 vcc_lo, 0, v3
	v_or_b32_e32 v7, v7, v8
	v_mov_b32_e32 v8, 0x7e00
	v_add_nc_u32_e32 v5, v5, v7
	v_cndmask_b32_e32 v3, 0x7c00, v8, vcc_lo
	v_cmp_gt_i32_e32 vcc_lo, 31, v6
	v_cndmask_b32_e32 v5, 0x7c00, v5, vcc_lo
	v_cmp_eq_u32_e32 vcc_lo, 0x40f, v6
	v_cndmask_b32_e32 v3, v5, v3, vcc_lo
	v_and_or_b32 v4, 0x8000, v4, v3
	s_branch .LBB25_942
.LBB25_938:
                                        ; implicit-def: $vgpr4
	s_branch .LBB25_959
.LBB25_939:
                                        ; implicit-def: $vgpr4
	s_branch .LBB25_948
.LBB25_940:
	s_mov_b32 s7, -1
                                        ; implicit-def: $vgpr4
	s_branch .LBB25_945
.LBB25_941:
	s_mov_b32 s7, -1
                                        ; implicit-def: $vgpr4
.LBB25_942:
	s_andn2_b32 vcc_lo, exec_lo, s7
	s_cbranch_vccnz .LBB25_944
; %bb.943:
	global_load_dword v3, v[1:2], off
	s_waitcnt vmcnt(0)
	v_cvt_f16_f32_e32 v4, v3
.LBB25_944:
	s_mov_b32 s7, 0
.LBB25_945:
	s_andn2_b32 vcc_lo, exec_lo, s7
	s_cbranch_vccnz .LBB25_947
; %bb.946:
	global_load_dword v4, v[1:2], off
.LBB25_947:
	s_cbranch_execnz .LBB25_958
.LBB25_948:
	s_sext_i32_i16 s7, s30
	s_cmp_lt_i32 s7, 6
	s_cbranch_scc1 .LBB25_951
; %bb.949:
	s_cmp_gt_i32 s7, 6
	s_cbranch_scc0 .LBB25_952
; %bb.950:
	global_load_dwordx2 v[3:4], v[1:2], off
	s_mov_b32 s7, 0
	s_waitcnt vmcnt(0)
	v_and_or_b32 v3, 0x1ff, v4, v3
	v_lshrrev_b32_e32 v5, 8, v4
	v_bfe_u32 v6, v4, 20, 11
	v_lshrrev_b32_e32 v4, 16, v4
	v_cmp_ne_u32_e32 vcc_lo, 0, v3
	v_sub_nc_u32_e32 v7, 0x3f1, v6
	v_add_nc_u32_e32 v6, 0xfffffc10, v6
	v_cndmask_b32_e64 v3, 0, 1, vcc_lo
	v_and_or_b32 v3, 0xffe, v5, v3
	v_med3_i32 v5, v7, 0, 13
	v_or_b32_e32 v7, 0x1000, v3
	v_lshrrev_b32_e32 v8, v5, v7
	v_lshlrev_b32_e32 v5, v5, v8
	v_cmp_ne_u32_e32 vcc_lo, v5, v7
	v_lshl_or_b32 v7, v6, 12, v3
	v_cndmask_b32_e64 v5, 0, 1, vcc_lo
	v_cmp_gt_i32_e32 vcc_lo, 1, v6
	v_or_b32_e32 v5, v8, v5
	v_cndmask_b32_e32 v5, v7, v5, vcc_lo
	v_and_b32_e32 v7, 7, v5
	v_lshrrev_b32_e32 v5, 2, v5
	v_cmp_lt_i32_e32 vcc_lo, 5, v7
	v_cndmask_b32_e64 v8, 0, 1, vcc_lo
	v_cmp_eq_u32_e32 vcc_lo, 3, v7
	v_cndmask_b32_e64 v7, 0, 1, vcc_lo
	v_cmp_ne_u32_e32 vcc_lo, 0, v3
	v_or_b32_e32 v7, v7, v8
	v_mov_b32_e32 v8, 0x7e00
	v_add_nc_u32_e32 v5, v5, v7
	v_cndmask_b32_e32 v3, 0x7c00, v8, vcc_lo
	v_cmp_gt_i32_e32 vcc_lo, 31, v6
	v_cndmask_b32_e32 v5, 0x7c00, v5, vcc_lo
	v_cmp_eq_u32_e32 vcc_lo, 0x40f, v6
	v_cndmask_b32_e32 v3, v5, v3, vcc_lo
	v_and_or_b32 v4, 0x8000, v4, v3
	s_branch .LBB25_953
.LBB25_951:
	s_mov_b32 s7, -1
                                        ; implicit-def: $vgpr4
	s_branch .LBB25_956
.LBB25_952:
	s_mov_b32 s7, -1
                                        ; implicit-def: $vgpr4
.LBB25_953:
	s_andn2_b32 vcc_lo, exec_lo, s7
	s_cbranch_vccnz .LBB25_955
; %bb.954:
	global_load_dword v3, v[1:2], off
	s_waitcnt vmcnt(0)
	v_cvt_f16_f32_e32 v4, v3
.LBB25_955:
	s_mov_b32 s7, 0
.LBB25_956:
	s_andn2_b32 vcc_lo, exec_lo, s7
	s_cbranch_vccnz .LBB25_958
; %bb.957:
	global_load_ushort v4, v[1:2], off
.LBB25_958:
	s_cbranch_execnz .LBB25_977
.LBB25_959:
	s_sext_i32_i16 s7, s30
	s_cmp_lt_i32 s7, 2
	s_cbranch_scc1 .LBB25_963
; %bb.960:
	s_cmp_lt_i32 s7, 3
	s_cbranch_scc1 .LBB25_964
; %bb.961:
	s_cmp_gt_i32 s7, 3
	s_cbranch_scc0 .LBB25_965
; %bb.962:
	global_load_dwordx2 v[3:4], v[1:2], off
	s_mov_b32 s7, 0
	s_waitcnt vmcnt(0)
	v_xor_b32_e32 v5, v3, v4
	v_ffbh_i32_e32 v6, v4
	v_ashrrev_i32_e32 v5, 31, v5
	v_add_nc_u32_e32 v6, -1, v6
	v_add_nc_u32_e32 v5, 32, v5
	v_min_u32_e32 v5, v6, v5
	v_lshlrev_b64 v[3:4], v5, v[3:4]
	v_min_u32_e32 v3, 1, v3
	v_or_b32_e32 v3, v4, v3
	v_sub_nc_u32_e32 v4, 32, v5
	v_cvt_f32_i32_e32 v3, v3
	v_ldexp_f32 v3, v3, v4
	v_cvt_f16_f32_e32 v4, v3
	s_branch .LBB25_966
.LBB25_963:
                                        ; implicit-def: $vgpr4
	s_branch .LBB25_972
.LBB25_964:
	s_mov_b32 s7, -1
                                        ; implicit-def: $vgpr4
	s_branch .LBB25_969
.LBB25_965:
	s_mov_b32 s7, -1
                                        ; implicit-def: $vgpr4
.LBB25_966:
	s_andn2_b32 vcc_lo, exec_lo, s7
	s_cbranch_vccnz .LBB25_968
; %bb.967:
	global_load_dword v3, v[1:2], off
	s_waitcnt vmcnt(0)
	v_cvt_f32_i32_e32 v3, v3
	v_cvt_f16_f32_e32 v4, v3
.LBB25_968:
	s_mov_b32 s7, 0
.LBB25_969:
	s_andn2_b32 vcc_lo, exec_lo, s7
	s_cbranch_vccnz .LBB25_971
; %bb.970:
	global_load_ushort v3, v[1:2], off
	s_waitcnt vmcnt(0)
	v_cvt_f16_i16_e32 v4, v3
.LBB25_971:
	s_cbranch_execnz .LBB25_977
.LBB25_972:
	s_sext_i32_i16 s7, s30
	s_cmp_gt_i32 s7, 0
	s_mov_b32 s7, 0
	s_cbranch_scc0 .LBB25_974
; %bb.973:
	global_load_sbyte v3, v[1:2], off
	s_waitcnt vmcnt(0)
	v_cvt_f16_i16_e32 v4, v3
	s_branch .LBB25_975
.LBB25_974:
	s_mov_b32 s7, -1
                                        ; implicit-def: $vgpr4
.LBB25_975:
	s_andn2_b32 vcc_lo, exec_lo, s7
	s_cbranch_vccnz .LBB25_977
; %bb.976:
	global_load_ubyte v1, v[1:2], off
	s_waitcnt vmcnt(0)
	v_cvt_f16_u16_e32 v4, v1
.LBB25_977:
	s_or_b32 s0, s0, exec_lo
.LBB25_978:
	s_or_b32 exec_lo, exec_lo, s1
	s_mov_b32 s10, 0
	s_mov_b32 s11, 0
                                        ; implicit-def: $sgpr1
                                        ; implicit-def: $vgpr1_vgpr2
                                        ; implicit-def: $vgpr3
	s_and_saveexec_b32 s7, s0
	s_cbranch_execz .LBB25_1057
; %bb.979:
	s_waitcnt vmcnt(0)
	v_cvt_f32_f16_e32 v1, v4
                                        ; implicit-def: $vgpr4
                                        ; implicit-def: $vgpr3
	s_mov_b32 s1, exec_lo
	v_and_b32_e32 v2, 0x7fffffff, v1
	v_cmpx_ngt_f32_e64 0x48000000, |v1|
	s_xor_b32 s10, exec_lo, s1
	s_cbranch_execz .LBB25_981
; %bb.980:
	s_mov_b32 s0, 0x7fffff
	v_mov_b32_e32 v5, 0
	v_and_or_b32 v12, v2, s0, 0x800000
	v_lshrrev_b32_e32 v10, 23, v2
	v_mad_u64_u32 v[3:4], null, 0xfe5163ab, v12, 0
	v_add_nc_u32_e32 v11, 0xffffff88, v10
	v_cmp_lt_u32_e32 vcc_lo, 63, v11
	v_mad_u64_u32 v[6:7], null, 0x3c439041, v12, v[4:5]
	v_cndmask_b32_e64 v13, 0, 0xffffffc0, vcc_lo
	v_mov_b32_e32 v4, v7
	v_add_nc_u32_e32 v13, v13, v11
	v_mad_u64_u32 v[7:8], null, 0xdb629599, v12, v[4:5]
	v_cmp_lt_u32_e64 s0, 31, v13
	v_cndmask_b32_e64 v14, 0, 0xffffffe0, s0
	v_mov_b32_e32 v4, v8
	v_cndmask_b32_e32 v3, v7, v3, vcc_lo
	v_mad_u64_u32 v[8:9], null, 0xf534ddc0, v12, v[4:5]
	v_mov_b32_e32 v4, v9
	v_cndmask_b32_e32 v6, v8, v6, vcc_lo
	v_mad_u64_u32 v[9:10], null, 0xfc2757d1, v12, v[4:5]
	v_cndmask_b32_e64 v3, v6, v3, s0
	v_mov_b32_e32 v4, v10
	v_mad_u64_u32 v[10:11], null, 0x4e441529, v12, v[4:5]
	v_mov_b32_e32 v4, v11
	v_add_nc_u32_e32 v11, v14, v13
	v_cndmask_b32_e32 v13, v10, v8, vcc_lo
	v_mad_u64_u32 v[4:5], null, 0xa2f9836e, v12, v[4:5]
	v_cmp_lt_u32_e64 s1, 31, v11
	v_cndmask_b32_e64 v12, 0, 0xffffffe0, s1
	v_cndmask_b32_e32 v4, v4, v9, vcc_lo
	v_cndmask_b32_e32 v5, v5, v10, vcc_lo
	;; [unrolled: 1-line block ×3, first 2 shown]
	v_add_nc_u32_e32 v10, v12, v11
	v_cndmask_b32_e64 v8, v4, v13, s0
	v_cndmask_b32_e64 v4, v5, v4, s0
	;; [unrolled: 1-line block ×4, first 2 shown]
	v_sub_nc_u32_e32 v11, 32, v10
	v_cmp_eq_u32_e32 vcc_lo, 0, v10
	v_cndmask_b32_e64 v4, v4, v8, s1
	v_cndmask_b32_e64 v8, v8, v5, s1
	;; [unrolled: 1-line block ×4, first 2 shown]
	v_alignbit_b32 v12, v4, v8, v11
	v_alignbit_b32 v7, v8, v5, v11
	;; [unrolled: 1-line block ×3, first 2 shown]
	v_cndmask_b32_e32 v4, v12, v4, vcc_lo
	v_cndmask_b32_e32 v6, v7, v8, vcc_lo
	;; [unrolled: 1-line block ×3, first 2 shown]
	v_bfe_u32 v7, v4, 29, 1
	v_alignbit_b32 v8, v4, v6, 30
	v_alignbit_b32 v6, v6, v5, 30
	;; [unrolled: 1-line block ×3, first 2 shown]
	v_sub_nc_u32_e32 v9, 0, v7
	v_xor_b32_e32 v8, v8, v9
	v_xor_b32_e32 v5, v6, v9
	;; [unrolled: 1-line block ×3, first 2 shown]
	v_lshrrev_b32_e32 v9, 29, v4
	v_lshrrev_b32_e32 v4, 30, v4
	v_ffbh_u32_e32 v10, v8
	v_add_nc_u32_e32 v4, v7, v4
	v_min_u32_e32 v10, 32, v10
	v_sub_nc_u32_e32 v6, 31, v10
	v_lshlrev_b32_e32 v11, 23, v10
	v_alignbit_b32 v8, v8, v5, v6
	v_alignbit_b32 v3, v5, v3, v6
	v_lshlrev_b32_e32 v5, 31, v9
	v_alignbit_b32 v6, v8, v3, 9
	v_or_b32_e32 v9, 0.5, v5
	v_lshrrev_b32_e32 v8, 9, v8
	v_or_b32_e32 v5, 0x33000000, v5
	v_ffbh_u32_e32 v12, v6
	v_sub_nc_u32_e32 v9, v9, v11
	v_min_u32_e32 v11, 32, v12
	v_or_b32_e32 v8, v8, v9
	v_not_b32_e32 v9, v11
	v_mul_f32_e32 v12, 0x3fc90fda, v8
	v_add_lshl_u32 v10, v11, v10, 23
	v_alignbit_b32 v3, v6, v3, v9
	v_fma_f32 v6, 0x3fc90fda, v8, -v12
	v_sub_nc_u32_e32 v5, v5, v10
	v_lshrrev_b32_e32 v3, 9, v3
	v_fmamk_f32 v6, v8, 0x33a22168, v6
	v_or_b32_e32 v3, v5, v3
	v_fmac_f32_e32 v6, 0x3fc90fda, v3
	v_add_f32_e32 v3, v12, v6
.LBB25_981:
	s_andn2_saveexec_b32 s0, s10
; %bb.982:
	v_mul_f32_e64 v3, 0x3f22f983, |v1|
	v_rndne_f32_e32 v4, v3
	v_fma_f32 v3, 0xbfc90fda, v4, |v1|
	v_fmamk_f32 v3, v4, 0xb3a22168, v3
	v_fmamk_f32 v3, v4, 0xa7c234c4, v3
	v_cvt_i32_f32_e32 v4, v4
; %bb.983:
	s_or_b32 exec_lo, exec_lo, s0
	v_mul_f32_e32 v5, v3, v3
	s_mov_b32 s0, 0xb94c1982
	s_mov_b32 s1, 0x37d75334
	v_and_b32_e32 v8, 1, v4
	v_lshlrev_b32_e32 v4, 30, v4
	v_fmaak_f32 v6, s0, v5, 0x3c0881c4
	v_fmaak_f32 v7, s1, v5, 0xbab64f3b
	v_xor_b32_e32 v2, v2, v1
	v_cmp_eq_u32_e32 vcc_lo, 0, v8
	v_and_b32_e32 v4, 0x80000000, v4
	v_fmaak_f32 v6, v5, v6, 0xbe2aaa9d
	v_fmaak_f32 v7, v5, v7, 0x3d2aabf7
	s_and_b32 s1, s29, 0xff
	s_mov_b32 s10, 0
	s_cmp_lt_i32 s1, 11
	v_mul_f32_e32 v6, v5, v6
	v_fmaak_f32 v7, v5, v7, 0xbf000004
	v_fmac_f32_e32 v3, v3, v6
	v_fma_f32 v5, v5, v7, 1.0
	v_cndmask_b32_e32 v3, v5, v3, vcc_lo
	v_cmp_class_f32_e64 vcc_lo, v1, 0x1f8
	v_add_co_u32 v1, s0, s8, v0
	v_xor3_b32 v2, v2, v4, v3
	v_cndmask_b32_e32 v3, 0x7fc00000, v2, vcc_lo
	v_add_co_ci_u32_e64 v2, null, s9, 0, s0
	s_mov_b32 s9, -1
	s_mov_b32 s0, s36
	v_cvt_f16_f32_e32 v3, v3
	s_cbranch_scc1 .LBB25_1061
; %bb.984:
	s_and_b32 s8, 0xffff, s1
	s_mov_b32 s0, s36
	s_cmp_gt_i32 s8, 25
	s_cbranch_scc0 .LBB25_1017
; %bb.985:
	s_cmp_gt_i32 s8, 28
	s_mov_b32 s0, s36
	s_cbranch_scc0 .LBB25_1001
; %bb.986:
	s_cmp_gt_i32 s8, 43
	s_mov_b32 s0, s36
	;; [unrolled: 4-line block ×3, first 2 shown]
	s_cbranch_scc0 .LBB25_991
; %bb.988:
	s_cmp_eq_u32 s8, 46
	s_mov_b32 s0, -1
	s_cbranch_scc0 .LBB25_990
; %bb.989:
	v_cvt_f32_f16_e32 v0, v3
	v_cmp_o_f16_e32 vcc_lo, v3, v3
	s_mov_b32 s0, 0
	v_bfe_u32 v4, v0, 16, 1
	v_add3_u32 v0, v0, v4, 0x7fff
	v_mov_b32_e32 v4, 0x7fc0
	v_cndmask_b32_sdwa v0, v4, v0, vcc_lo dst_sel:DWORD dst_unused:UNUSED_PAD src0_sel:DWORD src1_sel:WORD_1
	global_store_dword v[1:2], v0, off
.LBB25_990:
	s_mov_b32 s9, 0
.LBB25_991:
	s_and_b32 vcc_lo, exec_lo, s9
	s_cbranch_vccz .LBB25_996
; %bb.992:
	s_cmp_eq_u32 s8, 44
	s_mov_b32 s0, -1
	s_cbranch_scc0 .LBB25_996
; %bb.993:
	v_cvt_f32_f16_e32 v0, v3
	v_mov_b32_e32 v4, 0xff
	s_mov_b32 s9, exec_lo
	v_bfe_u32 v5, v0, 23, 8
	v_cmpx_ne_u32_e32 0xff, v5
	s_cbranch_execz .LBB25_995
; %bb.994:
	v_and_b32_e32 v4, 0x400000, v0
	v_and_or_b32 v5, 0x3fffff, v0, v5
	v_lshrrev_b32_e32 v0, 23, v0
	v_cmp_ne_u32_e32 vcc_lo, 0, v4
	v_cmp_ne_u32_e64 s0, 0, v5
	s_and_b32 s0, vcc_lo, s0
	v_cndmask_b32_e64 v4, 0, 1, s0
	v_add_nc_u32_e32 v4, v0, v4
.LBB25_995:
	s_or_b32 exec_lo, exec_lo, s9
	s_mov_b32 s0, 0
	global_store_byte v[1:2], v4, off
.LBB25_996:
	s_mov_b32 s9, 0
.LBB25_997:
	s_and_b32 vcc_lo, exec_lo, s9
	s_cbranch_vccz .LBB25_1000
; %bb.998:
	s_cmp_eq_u32 s8, 29
	s_mov_b32 s0, -1
	s_cbranch_scc0 .LBB25_1000
; %bb.999:
	v_cvt_f32_f16_e32 v0, v3
	v_mov_b32_e32 v5, 0
	s_mov_b32 s0, 0
	v_cvt_u32_f32_e32 v4, v0
	global_store_dwordx2 v[1:2], v[4:5], off
.LBB25_1000:
	s_mov_b32 s9, 0
.LBB25_1001:
	s_and_b32 vcc_lo, exec_lo, s9
	s_cbranch_vccz .LBB25_1016
; %bb.1002:
	s_cmp_lt_i32 s8, 27
	s_mov_b32 s9, -1
	s_cbranch_scc1 .LBB25_1008
; %bb.1003:
	s_cmp_gt_i32 s8, 27
	s_cbranch_scc0 .LBB25_1005
; %bb.1004:
	v_cvt_f32_f16_e32 v0, v3
	s_mov_b32 s9, 0
	v_cvt_u32_f32_e32 v0, v0
	global_store_dword v[1:2], v0, off
.LBB25_1005:
	s_andn2_b32 vcc_lo, exec_lo, s9
	s_cbranch_vccnz .LBB25_1007
; %bb.1006:
	v_cvt_u16_f16_e32 v0, v3
	global_store_short v[1:2], v0, off
.LBB25_1007:
	s_mov_b32 s9, 0
.LBB25_1008:
	s_andn2_b32 vcc_lo, exec_lo, s9
	s_cbranch_vccnz .LBB25_1016
; %bb.1009:
	v_cvt_f32_f16_e32 v0, v3
	v_mov_b32_e32 v5, 0x80
	s_mov_b32 s9, exec_lo
	v_and_b32_e32 v4, 0x7fffffff, v0
	v_cmpx_gt_u32_e32 0x43800000, v4
	s_cbranch_execz .LBB25_1015
; %bb.1010:
	v_cmp_lt_u32_e32 vcc_lo, 0x3bffffff, v4
                                        ; implicit-def: $vgpr4
	s_and_saveexec_b32 s11, vcc_lo
	s_xor_b32 s11, exec_lo, s11
	s_cbranch_execz .LBB25_1172
; %bb.1011:
	v_bfe_u32 v4, v0, 20, 1
	s_mov_b32 s10, exec_lo
	v_add3_u32 v4, v0, v4, 0x487ffff
	v_lshrrev_b32_e32 v4, 20, v4
	s_andn2_saveexec_b32 s11, s11
	s_cbranch_execnz .LBB25_1173
.LBB25_1012:
	s_or_b32 exec_lo, exec_lo, s11
	v_mov_b32_e32 v5, 0
	s_and_saveexec_b32 s11, s10
.LBB25_1013:
	v_lshrrev_b32_e32 v0, 24, v0
	v_and_or_b32 v5, 0x80, v0, v4
.LBB25_1014:
	s_or_b32 exec_lo, exec_lo, s11
.LBB25_1015:
	s_or_b32 exec_lo, exec_lo, s9
	global_store_byte v[1:2], v5, off
.LBB25_1016:
	s_mov_b32 s9, 0
.LBB25_1017:
	s_and_b32 vcc_lo, exec_lo, s9
	s_mov_b32 s9, 0
	s_cbranch_vccz .LBB25_1060
; %bb.1018:
	s_cmp_gt_i32 s8, 22
	s_mov_b32 s10, -1
	s_cbranch_scc0 .LBB25_1050
; %bb.1019:
	s_cmp_lt_i32 s8, 24
	s_cbranch_scc1 .LBB25_1039
; %bb.1020:
	s_cmp_gt_i32 s8, 24
	s_cbranch_scc0 .LBB25_1028
; %bb.1021:
	v_cvt_f32_f16_e32 v0, v3
	v_mov_b32_e32 v5, 0x80
	s_mov_b32 s10, exec_lo
	v_and_b32_e32 v4, 0x7fffffff, v0
	v_cmpx_gt_u32_e32 0x47800000, v4
	s_cbranch_execz .LBB25_1027
; %bb.1022:
	v_cmp_lt_u32_e32 vcc_lo, 0x37ffffff, v4
	s_mov_b32 s11, 0
                                        ; implicit-def: $vgpr4
	s_and_saveexec_b32 s12, vcc_lo
	s_xor_b32 s12, exec_lo, s12
	s_cbranch_execz .LBB25_1302
; %bb.1023:
	v_bfe_u32 v4, v0, 21, 1
	s_mov_b32 s11, exec_lo
	v_add3_u32 v4, v0, v4, 0x88fffff
	v_lshrrev_b32_e32 v4, 21, v4
	s_andn2_saveexec_b32 s12, s12
	s_cbranch_execnz .LBB25_1303
.LBB25_1024:
	s_or_b32 exec_lo, exec_lo, s12
	v_mov_b32_e32 v5, 0
	s_and_saveexec_b32 s12, s11
.LBB25_1025:
	v_lshrrev_b32_e32 v0, 24, v0
	v_and_or_b32 v5, 0x80, v0, v4
.LBB25_1026:
	s_or_b32 exec_lo, exec_lo, s12
.LBB25_1027:
	s_or_b32 exec_lo, exec_lo, s10
	s_mov_b32 s10, 0
	global_store_byte v[1:2], v5, off
.LBB25_1028:
	s_and_b32 vcc_lo, exec_lo, s10
	s_cbranch_vccz .LBB25_1038
; %bb.1029:
	v_cvt_f32_f16_e32 v0, v3
	s_mov_b32 s10, exec_lo
                                        ; implicit-def: $vgpr4
	v_and_b32_e32 v5, 0x7fffffff, v0
	v_cmpx_gt_u32_e32 0x43f00000, v5
	s_xor_b32 s10, exec_lo, s10
	s_cbranch_execz .LBB25_1035
; %bb.1030:
	s_mov_b32 s11, exec_lo
                                        ; implicit-def: $vgpr4
	v_cmpx_lt_u32_e32 0x3c7fffff, v5
	s_xor_b32 s11, exec_lo, s11
; %bb.1031:
	v_bfe_u32 v4, v0, 20, 1
	v_add3_u32 v4, v0, v4, 0x407ffff
	v_and_b32_e32 v5, 0xff00000, v4
	v_lshrrev_b32_e32 v4, 20, v4
	v_cmp_ne_u32_e32 vcc_lo, 0x7f00000, v5
	v_cndmask_b32_e32 v4, 0x7e, v4, vcc_lo
; %bb.1032:
	s_andn2_saveexec_b32 s11, s11
; %bb.1033:
	v_add_f32_e64 v4, 0x46800000, |v0|
; %bb.1034:
	s_or_b32 exec_lo, exec_lo, s11
                                        ; implicit-def: $vgpr5
.LBB25_1035:
	s_andn2_saveexec_b32 s10, s10
; %bb.1036:
	v_mov_b32_e32 v4, 0x7f
	v_cmp_lt_u32_e32 vcc_lo, 0x7f800000, v5
	v_cndmask_b32_e32 v4, 0x7e, v4, vcc_lo
; %bb.1037:
	s_or_b32 exec_lo, exec_lo, s10
	v_lshrrev_b32_e32 v0, 24, v0
	v_and_or_b32 v0, 0x80, v0, v4
	global_store_byte v[1:2], v0, off
.LBB25_1038:
	s_mov_b32 s10, 0
.LBB25_1039:
	s_andn2_b32 vcc_lo, exec_lo, s10
	s_cbranch_vccnz .LBB25_1049
; %bb.1040:
	v_cvt_f32_f16_e32 v0, v3
	s_mov_b32 s10, exec_lo
                                        ; implicit-def: $vgpr4
	v_and_b32_e32 v5, 0x7fffffff, v0
	v_cmpx_gt_u32_e32 0x47800000, v5
	s_xor_b32 s10, exec_lo, s10
	s_cbranch_execz .LBB25_1046
; %bb.1041:
	s_mov_b32 s11, exec_lo
                                        ; implicit-def: $vgpr4
	v_cmpx_lt_u32_e32 0x387fffff, v5
	s_xor_b32 s11, exec_lo, s11
; %bb.1042:
	v_bfe_u32 v4, v0, 21, 1
	v_add3_u32 v4, v0, v4, 0x80fffff
	v_lshrrev_b32_e32 v4, 21, v4
; %bb.1043:
	s_andn2_saveexec_b32 s11, s11
; %bb.1044:
	v_add_f32_e64 v4, 0x43000000, |v0|
; %bb.1045:
	s_or_b32 exec_lo, exec_lo, s11
                                        ; implicit-def: $vgpr5
.LBB25_1046:
	s_andn2_saveexec_b32 s10, s10
; %bb.1047:
	v_mov_b32_e32 v4, 0x7f
	v_cmp_lt_u32_e32 vcc_lo, 0x7f800000, v5
	v_cndmask_b32_e32 v4, 0x7c, v4, vcc_lo
; %bb.1048:
	s_or_b32 exec_lo, exec_lo, s10
	v_lshrrev_b32_e32 v0, 24, v0
	v_and_or_b32 v0, 0x80, v0, v4
	global_store_byte v[1:2], v0, off
.LBB25_1049:
	s_mov_b32 s10, 0
.LBB25_1050:
	s_andn2_b32 vcc_lo, exec_lo, s10
	s_mov_b32 s10, 0
	s_cbranch_vccnz .LBB25_1061
; %bb.1051:
	s_cmp_gt_i32 s8, 14
	s_mov_b32 s10, -1
	s_cbranch_scc0 .LBB25_1055
; %bb.1052:
	s_cmp_eq_u32 s8, 15
	s_mov_b32 s0, -1
	s_cbranch_scc0 .LBB25_1054
; %bb.1053:
	v_cvt_f32_f16_e32 v0, v3
	v_cmp_o_f16_e32 vcc_lo, v3, v3
	s_mov_b32 s0, 0
	v_bfe_u32 v4, v0, 16, 1
	v_add3_u32 v0, v0, v4, 0x7fff
	v_mov_b32_e32 v4, 0x7fc0
	v_cndmask_b32_sdwa v0, v4, v0, vcc_lo dst_sel:DWORD dst_unused:UNUSED_PAD src0_sel:DWORD src1_sel:WORD_1
	global_store_short v[1:2], v0, off
.LBB25_1054:
	s_mov_b32 s10, 0
.LBB25_1055:
	s_and_b32 vcc_lo, exec_lo, s10
	s_mov_b32 s10, 0
	s_cbranch_vccz .LBB25_1061
; %bb.1056:
	s_cmp_lg_u32 s8, 11
	s_mov_b32 s10, -1
	s_cselect_b32 s8, -1, 0
	s_andn2_b32 s0, s0, exec_lo
	s_and_b32 s8, s8, exec_lo
	s_or_b32 s0, s0, s8
	s_branch .LBB25_1061
.LBB25_1057:
	s_or_b32 exec_lo, exec_lo, s7
	s_and_saveexec_b32 s0, s36
	s_cbranch_execnz .LBB25_1062
.LBB25_1058:
	s_or_b32 exec_lo, exec_lo, s0
	s_and_saveexec_b32 s0, s10
	s_xor_b32 s0, exec_lo, s0
	s_cbranch_execz .LBB25_1063
.LBB25_1059:
	s_waitcnt vmcnt(0)
	v_cmp_neq_f16_e32 vcc_lo, 0, v3
	v_cndmask_b32_e64 v0, 0, 1, vcc_lo
	global_store_byte v[1:2], v0, off
	s_or_b32 exec_lo, exec_lo, s0
	s_and_saveexec_b32 s0, s11
	s_xor_b32 s0, exec_lo, s0
	s_cbranch_execz .LBB25_1101
	s_branch .LBB25_1064
.LBB25_1060:
	s_mov_b32 s10, 0
.LBB25_1061:
	s_andn2_b32 s8, s36, exec_lo
	s_and_b32 s0, s0, exec_lo
	s_and_b32 s11, s9, exec_lo
	;; [unrolled: 1-line block ×3, first 2 shown]
	s_or_b32 s36, s8, s0
	s_or_b32 exec_lo, exec_lo, s7
	s_and_saveexec_b32 s0, s36
	s_cbranch_execz .LBB25_1058
.LBB25_1062:
	s_or_b32 s6, s6, exec_lo
	s_andn2_b32 s10, s10, exec_lo
	s_trap 2
	s_or_b32 exec_lo, exec_lo, s0
	s_and_saveexec_b32 s0, s10
	s_xor_b32 s0, exec_lo, s0
	s_cbranch_execnz .LBB25_1059
.LBB25_1063:
	s_or_b32 exec_lo, exec_lo, s0
	s_and_saveexec_b32 s0, s11
	s_xor_b32 s0, exec_lo, s0
	s_cbranch_execz .LBB25_1101
.LBB25_1064:
	s_sext_i32_i16 s8, s1
	s_mov_b32 s7, -1
	s_cmp_lt_i32 s8, 5
	s_cbranch_scc1 .LBB25_1085
; %bb.1065:
	s_cmp_lt_i32 s8, 8
	s_cbranch_scc1 .LBB25_1075
; %bb.1066:
	;; [unrolled: 3-line block ×3, first 2 shown]
	s_cmp_gt_i32 s8, 9
	s_cbranch_scc0 .LBB25_1069
; %bb.1068:
	s_waitcnt vmcnt(0)
	v_cvt_f32_f16_e32 v0, v3
	v_mov_b32_e32 v6, 0
	s_mov_b32 s7, 0
	v_cvt_f64_f32_e32 v[4:5], v0
	v_mov_b32_e32 v7, v6
	global_store_dwordx4 v[1:2], v[4:7], off
.LBB25_1069:
	s_andn2_b32 vcc_lo, exec_lo, s7
	s_cbranch_vccnz .LBB25_1071
; %bb.1070:
	s_waitcnt vmcnt(0)
	v_cvt_f32_f16_e32 v4, v3
	v_mov_b32_e32 v5, 0
	global_store_dwordx2 v[1:2], v[4:5], off
.LBB25_1071:
	s_mov_b32 s7, 0
.LBB25_1072:
	s_andn2_b32 vcc_lo, exec_lo, s7
	s_cbranch_vccnz .LBB25_1074
; %bb.1073:
	s_waitcnt vmcnt(0)
	v_and_b32_e32 v0, 0xffff, v3
	global_store_dword v[1:2], v0, off
.LBB25_1074:
	s_mov_b32 s7, 0
.LBB25_1075:
	s_andn2_b32 vcc_lo, exec_lo, s7
	s_cbranch_vccnz .LBB25_1084
; %bb.1076:
	s_sext_i32_i16 s8, s1
	s_mov_b32 s7, -1
	s_cmp_lt_i32 s8, 6
	s_cbranch_scc1 .LBB25_1082
; %bb.1077:
	s_cmp_gt_i32 s8, 6
	s_cbranch_scc0 .LBB25_1079
; %bb.1078:
	s_waitcnt vmcnt(0)
	v_cvt_f32_f16_e32 v0, v3
	s_mov_b32 s7, 0
	v_cvt_f64_f32_e32 v[4:5], v0
	global_store_dwordx2 v[1:2], v[4:5], off
.LBB25_1079:
	s_andn2_b32 vcc_lo, exec_lo, s7
	s_cbranch_vccnz .LBB25_1081
; %bb.1080:
	s_waitcnt vmcnt(0)
	v_cvt_f32_f16_e32 v0, v3
	global_store_dword v[1:2], v0, off
.LBB25_1081:
	s_mov_b32 s7, 0
.LBB25_1082:
	s_andn2_b32 vcc_lo, exec_lo, s7
	s_cbranch_vccnz .LBB25_1084
; %bb.1083:
	s_waitcnt vmcnt(0)
	global_store_short v[1:2], v3, off
.LBB25_1084:
	s_mov_b32 s7, 0
.LBB25_1085:
	s_andn2_b32 vcc_lo, exec_lo, s7
	s_cbranch_vccnz .LBB25_1101
; %bb.1086:
	s_sext_i32_i16 s8, s1
	s_mov_b32 s7, -1
	s_cmp_lt_i32 s8, 2
	s_cbranch_scc1 .LBB25_1096
; %bb.1087:
	s_cmp_lt_i32 s8, 3
	s_cbranch_scc1 .LBB25_1093
; %bb.1088:
	s_cmp_gt_i32 s8, 3
	s_cbranch_scc0 .LBB25_1090
; %bb.1089:
	s_waitcnt vmcnt(0)
	v_cvt_f32_f16_e32 v0, v3
	s_mov_b32 s7, 0
	v_cvt_i32_f32_e32 v4, v0
	v_ashrrev_i32_e32 v5, 31, v4
	global_store_dwordx2 v[1:2], v[4:5], off
.LBB25_1090:
	s_andn2_b32 vcc_lo, exec_lo, s7
	s_cbranch_vccnz .LBB25_1092
; %bb.1091:
	s_waitcnt vmcnt(0)
	v_cvt_f32_f16_e32 v0, v3
	v_cvt_i32_f32_e32 v0, v0
	global_store_dword v[1:2], v0, off
.LBB25_1092:
	s_mov_b32 s7, 0
.LBB25_1093:
	s_andn2_b32 vcc_lo, exec_lo, s7
	s_cbranch_vccnz .LBB25_1095
; %bb.1094:
	s_waitcnt vmcnt(0)
	v_cvt_i16_f16_e32 v0, v3
	global_store_short v[1:2], v0, off
.LBB25_1095:
	s_mov_b32 s7, 0
.LBB25_1096:
	s_andn2_b32 vcc_lo, exec_lo, s7
	s_cbranch_vccnz .LBB25_1101
; %bb.1097:
	s_sext_i32_i16 s1, s1
	s_cmp_gt_i32 s1, 0
	s_mov_b32 s1, -1
	s_cbranch_scc0 .LBB25_1099
; %bb.1098:
	s_waitcnt vmcnt(0)
	v_cvt_i16_f16_e32 v0, v3
	s_mov_b32 s1, 0
	global_store_byte v[1:2], v0, off
.LBB25_1099:
	s_andn2_b32 vcc_lo, exec_lo, s1
	s_cbranch_vccnz .LBB25_1101
; %bb.1100:
	s_waitcnt vmcnt(0)
	v_cvt_f32_f16_e32 v0, v3
	v_cvt_i32_f32_e32 v0, v0
	global_store_byte v[1:2], v0, off
.LBB25_1101:
	s_or_b32 exec_lo, exec_lo, s0
	s_and_b32 s12, s6, exec_lo
                                        ; implicit-def: $vgpr15
                                        ; implicit-def: $vgpr8
.LBB25_1102:
	s_or_saveexec_b32 s13, s28
	s_mov_b32 s0, 0
                                        ; implicit-def: $vgpr0_vgpr1
                                        ; implicit-def: $sgpr1
                                        ; implicit-def: $vgpr2
	s_xor_b32 exec_lo, exec_lo, s13
	s_cbranch_execz .LBB25_2123
; %bb.1103:
	v_cndmask_b32_e64 v0, 0, 1, s27
	s_andn2_b32 vcc_lo, exec_lo, s27
	s_cbranch_vccnz .LBB25_1109
; %bb.1104:
	s_cmp_lg_u32 s24, 0
	s_mov_b32 s8, 0
	s_cbranch_scc0 .LBB25_1110
; %bb.1105:
	s_min_u32 s10, s25, 15
	s_add_i32 s10, s10, 1
	s_cmp_eq_u32 s25, 2
	s_cbranch_scc1 .LBB25_1111
; %bb.1106:
	v_mov_b32_e32 v13, 0
	v_mov_b32_e32 v6, 0
	;; [unrolled: 1-line block ×3, first 2 shown]
	s_and_b32 s9, s10, 28
	s_add_u32 s0, s2, 0xc4
	s_addc_u32 s1, s3, 0
	s_mov_b32 s11, 0
	s_mov_b64 s[6:7], s[2:3]
.LBB25_1107:                            ; =>This Inner Loop Header: Depth=1
	s_clause 0x1
	s_load_dwordx8 s[16:23], s[6:7], 0x4
	s_load_dwordx4 s[28:31], s[6:7], 0x24
	s_load_dwordx8 s[36:43], s[0:1], 0x0
	s_add_u32 s6, s6, 48
	s_addc_u32 s7, s7, 0
	s_add_i32 s11, s11, 4
	s_add_u32 s0, s0, 32
	s_addc_u32 s1, s1, 0
	s_cmp_lg_u32 s9, s11
	s_waitcnt lgkmcnt(0)
	v_mul_hi_u32 v2, s17, v1
	v_add_nc_u32_e32 v2, v1, v2
	v_lshrrev_b32_e32 v2, s18, v2
	s_waitcnt vmcnt(0)
	v_mul_hi_u32 v3, s20, v2
	v_mul_lo_u32 v5, v2, s16
	v_add_nc_u32_e32 v3, v2, v3
	v_sub_nc_u32_e32 v1, v1, v5
	v_lshrrev_b32_e32 v3, s21, v3
	v_mul_lo_u32 v5, v1, s36
	v_mul_lo_u32 v9, v1, s37
	v_mul_hi_u32 v4, s23, v3
	v_add_nc_u32_e32 v4, v3, v4
	v_lshrrev_b32_e32 v4, s28, v4
	v_mul_hi_u32 v7, s30, v4
	v_mul_lo_u32 v10, v4, s22
	v_add_nc_u32_e32 v1, v4, v7
	v_mul_lo_u32 v7, v3, s19
	v_sub_nc_u32_e32 v3, v3, v10
	v_lshrrev_b32_e32 v1, s31, v1
	v_mul_lo_u32 v10, v3, s40
	v_mul_lo_u32 v3, v3, s41
	v_sub_nc_u32_e32 v2, v2, v7
	v_mul_lo_u32 v11, v1, s29
	v_mul_lo_u32 v7, v2, s38
	;; [unrolled: 1-line block ×3, first 2 shown]
	v_sub_nc_u32_e32 v4, v4, v11
	v_add3_u32 v5, v5, v6, v7
	v_mul_lo_u32 v11, v4, s42
	v_mul_lo_u32 v4, v4, s43
	v_add3_u32 v2, v9, v13, v2
	v_add3_u32 v6, v10, v5, v11
	v_add3_u32 v13, v3, v2, v4
	s_cbranch_scc1 .LBB25_1107
; %bb.1108:
	s_and_b32 s10, s10, 3
	s_cmp_eq_u32 s10, 0
	s_cbranch_scc0 .LBB25_1112
	s_branch .LBB25_1114
.LBB25_1109:
	s_mov_b32 s8, -1
                                        ; implicit-def: $vgpr6
                                        ; implicit-def: $vgpr13
	s_branch .LBB25_1114
.LBB25_1110:
	v_mov_b32_e32 v6, 0
	v_mov_b32_e32 v13, 0
	s_branch .LBB25_1114
.LBB25_1111:
	v_mov_b32_e32 v6, 0
	v_mov_b32_e32 v13, 0
	;; [unrolled: 1-line block ×3, first 2 shown]
	s_mov_b32 s9, 0
	s_and_b32 s10, s10, 3
	s_cmp_eq_u32 s10, 0
	s_cbranch_scc1 .LBB25_1114
.LBB25_1112:
	s_lshl_b32 s0, s9, 3
	s_mul_i32 s6, s9, 12
	s_add_u32 s0, s2, s0
	s_addc_u32 s1, s3, 0
	s_add_u32 s0, s0, 0xc4
	s_addc_u32 s1, s1, 0
	s_add_u32 s6, s2, s6
	s_addc_u32 s7, s3, 0
	.p2align	6
.LBB25_1113:                            ; =>This Inner Loop Header: Depth=1
	s_clause 0x1
	s_load_dwordx2 s[14:15], s[6:7], 0x4
	s_load_dword s9, s[6:7], 0xc
	s_load_dwordx2 s[16:17], s[0:1], 0x0
	s_add_u32 s6, s6, 12
	s_addc_u32 s7, s7, 0
	s_add_u32 s0, s0, 8
	s_addc_u32 s1, s1, 0
	s_add_i32 s10, s10, -1
	s_cmp_lg_u32 s10, 0
	s_waitcnt lgkmcnt(0)
	v_mul_hi_u32 v2, s15, v1
	v_add_nc_u32_e32 v2, v1, v2
	v_lshrrev_b32_e32 v2, s9, v2
	s_waitcnt vmcnt(0)
	v_mul_lo_u32 v3, v2, s14
	v_sub_nc_u32_e32 v1, v1, v3
	v_mad_u64_u32 v[6:7], null, v1, s16, v[6:7]
	v_mad_u64_u32 v[13:14], null, v1, s17, v[13:14]
	v_mov_b32_e32 v1, v2
	s_cbranch_scc1 .LBB25_1113
.LBB25_1114:
	s_andn2_b32 vcc_lo, exec_lo, s8
	s_cbranch_vccnz .LBB25_1117
; %bb.1115:
	s_clause 0x1
	s_load_dwordx4 s[8:11], s[2:3], 0x4
	s_load_dwordx2 s[0:1], s[2:3], 0xc4
	s_cmp_lt_u32 s24, 2
	s_waitcnt lgkmcnt(0)
	v_mul_hi_u32 v1, s9, v8
	v_add_nc_u32_e32 v1, v8, v1
	v_lshrrev_b32_e32 v1, s10, v1
	v_mul_lo_u32 v2, v1, s8
	v_sub_nc_u32_e32 v2, v8, v2
	v_mul_lo_u32 v6, v2, s0
	v_mul_lo_u32 v13, v2, s1
	s_cbranch_scc1 .LBB25_1117
; %bb.1116:
	s_clause 0x1
	s_load_dwordx4 s[8:11], s[2:3], 0x10
	s_load_dwordx2 s[0:1], s[2:3], 0xcc
	s_waitcnt lgkmcnt(0)
	v_mul_hi_u32 v2, s9, v1
	v_add_nc_u32_e32 v2, v1, v2
	v_lshrrev_b32_e32 v2, s10, v2
	v_mul_lo_u32 v2, v2, s8
	v_sub_nc_u32_e32 v1, v1, v2
	v_mad_u64_u32 v[6:7], null, v1, s0, v[6:7]
	v_mad_u64_u32 v[13:14], null, v1, s1, v[13:14]
.LBB25_1117:
	v_cmp_ne_u32_e32 vcc_lo, 1, v0
	v_add_nc_u32_e32 v1, 0x80, v8
	s_cbranch_vccnz .LBB25_1123
; %bb.1118:
	s_cmp_lg_u32 s24, 0
	s_mov_b32 s8, 0
	s_cbranch_scc0 .LBB25_1124
; %bb.1119:
	s_min_u32 s10, s25, 15
	s_add_i32 s10, s10, 1
	s_cmp_eq_u32 s25, 2
	s_cbranch_scc1 .LBB25_1125
; %bb.1120:
	v_mov_b32_e32 v11, 0
	s_waitcnt vmcnt(0)
	v_mov_b32_e32 v4, 0
	v_mov_b32_e32 v2, v1
	s_and_b32 s9, s10, 28
	s_add_u32 s0, s2, 0xc4
	s_addc_u32 s1, s3, 0
	s_mov_b32 s11, 0
	s_mov_b64 s[6:7], s[2:3]
.LBB25_1121:                            ; =>This Inner Loop Header: Depth=1
	s_clause 0x1
	s_load_dwordx8 s[16:23], s[6:7], 0x4
	s_load_dwordx4 s[28:31], s[6:7], 0x24
	s_load_dwordx8 s[36:43], s[0:1], 0x0
	s_add_u32 s6, s6, 48
	s_addc_u32 s7, s7, 0
	s_add_i32 s11, s11, 4
	s_add_u32 s0, s0, 32
	s_addc_u32 s1, s1, 0
	s_cmp_lg_u32 s9, s11
	s_waitcnt lgkmcnt(0)
	v_mul_hi_u32 v3, s17, v2
	v_add_nc_u32_e32 v3, v2, v3
	v_lshrrev_b32_e32 v3, s18, v3
	v_mul_hi_u32 v5, s20, v3
	v_mul_lo_u32 v9, v3, s16
	v_add_nc_u32_e32 v5, v3, v5
	v_sub_nc_u32_e32 v2, v2, v9
	v_lshrrev_b32_e32 v5, s21, v5
	v_mul_lo_u32 v9, v2, s36
	v_mul_lo_u32 v12, v2, s37
	v_mul_hi_u32 v7, s23, v5
	v_add_nc_u32_e32 v7, v5, v7
	v_lshrrev_b32_e32 v7, s28, v7
	v_mul_hi_u32 v10, s30, v7
	v_mul_lo_u32 v14, v7, s22
	v_add_nc_u32_e32 v2, v7, v10
	v_mul_lo_u32 v10, v5, s19
	v_sub_nc_u32_e32 v5, v5, v14
	v_lshrrev_b32_e32 v2, s31, v2
	v_mul_lo_u32 v14, v5, s40
	v_mul_lo_u32 v5, v5, s41
	v_sub_nc_u32_e32 v3, v3, v10
	v_mul_lo_u32 v16, v2, s29
	v_mul_lo_u32 v10, v3, s38
	;; [unrolled: 1-line block ×3, first 2 shown]
	v_sub_nc_u32_e32 v7, v7, v16
	v_add3_u32 v4, v9, v4, v10
	v_mul_lo_u32 v16, v7, s42
	v_mul_lo_u32 v7, v7, s43
	v_add3_u32 v3, v12, v11, v3
	v_add3_u32 v4, v14, v4, v16
	v_add3_u32 v11, v5, v3, v7
	s_cbranch_scc1 .LBB25_1121
; %bb.1122:
	s_and_b32 s10, s10, 3
	s_cmp_eq_u32 s10, 0
	s_cbranch_scc0 .LBB25_1126
	s_branch .LBB25_1128
.LBB25_1123:
	s_mov_b32 s8, -1
                                        ; implicit-def: $vgpr4
                                        ; implicit-def: $vgpr11
	s_branch .LBB25_1128
.LBB25_1124:
	s_waitcnt vmcnt(0)
	v_mov_b32_e32 v4, 0
	v_mov_b32_e32 v11, 0
	s_branch .LBB25_1128
.LBB25_1125:
	s_waitcnt vmcnt(0)
	v_mov_b32_e32 v4, 0
	v_mov_b32_e32 v11, 0
	;; [unrolled: 1-line block ×3, first 2 shown]
	s_mov_b32 s9, 0
	s_and_b32 s10, s10, 3
	s_cmp_eq_u32 s10, 0
	s_cbranch_scc1 .LBB25_1128
.LBB25_1126:
	s_lshl_b32 s0, s9, 3
	s_mul_i32 s6, s9, 12
	s_add_u32 s0, s2, s0
	s_addc_u32 s1, s3, 0
	s_add_u32 s0, s0, 0xc4
	s_addc_u32 s1, s1, 0
	;; [unrolled: 2-line block ×3, first 2 shown]
	.p2align	6
.LBB25_1127:                            ; =>This Inner Loop Header: Depth=1
	s_clause 0x1
	s_load_dwordx2 s[14:15], s[6:7], 0x4
	s_load_dword s9, s[6:7], 0xc
	s_load_dwordx2 s[16:17], s[0:1], 0x0
	s_add_u32 s6, s6, 12
	s_addc_u32 s7, s7, 0
	s_add_u32 s0, s0, 8
	s_addc_u32 s1, s1, 0
	s_add_i32 s10, s10, -1
	s_cmp_lg_u32 s10, 0
	s_waitcnt lgkmcnt(0)
	v_mul_hi_u32 v3, s15, v2
	v_add_nc_u32_e32 v3, v2, v3
	v_lshrrev_b32_e32 v3, s9, v3
	v_mul_lo_u32 v5, v3, s14
	v_sub_nc_u32_e32 v2, v2, v5
	v_mad_u64_u32 v[4:5], null, v2, s16, v[4:5]
	v_mad_u64_u32 v[11:12], null, v2, s17, v[11:12]
	v_mov_b32_e32 v2, v3
	s_cbranch_scc1 .LBB25_1127
.LBB25_1128:
	s_andn2_b32 vcc_lo, exec_lo, s8
	s_cbranch_vccnz .LBB25_1131
; %bb.1129:
	s_clause 0x1
	s_load_dwordx4 s[8:11], s[2:3], 0x4
	s_load_dwordx2 s[0:1], s[2:3], 0xc4
	s_cmp_lt_u32 s24, 2
	s_waitcnt lgkmcnt(0)
	v_mul_hi_u32 v2, s9, v1
	v_add_nc_u32_e32 v2, v1, v2
	v_lshrrev_b32_e32 v2, s10, v2
	s_waitcnt vmcnt(0)
	v_mul_lo_u32 v3, v2, s8
	v_sub_nc_u32_e32 v1, v1, v3
	v_mul_lo_u32 v4, v1, s0
	v_mul_lo_u32 v11, v1, s1
	s_cbranch_scc1 .LBB25_1131
; %bb.1130:
	s_clause 0x1
	s_load_dwordx4 s[8:11], s[2:3], 0x10
	s_load_dwordx2 s[0:1], s[2:3], 0xcc
	s_waitcnt lgkmcnt(0)
	v_mul_hi_u32 v1, s9, v2
	v_add_nc_u32_e32 v1, v2, v1
	v_lshrrev_b32_e32 v1, s10, v1
	v_mul_lo_u32 v1, v1, s8
	v_sub_nc_u32_e32 v1, v2, v1
	v_mad_u64_u32 v[4:5], null, v1, s0, v[4:5]
	v_mad_u64_u32 v[11:12], null, v1, s1, v[11:12]
.LBB25_1131:
	v_cmp_ne_u32_e32 vcc_lo, 1, v0
	v_add_nc_u32_e32 v1, 0x100, v8
	s_cbranch_vccnz .LBB25_1137
; %bb.1132:
	s_cmp_lg_u32 s24, 0
	s_mov_b32 s8, 0
	s_cbranch_scc0 .LBB25_1138
; %bb.1133:
	s_min_u32 s10, s25, 15
	s_add_i32 s10, s10, 1
	s_cmp_eq_u32 s25, 2
	s_cbranch_scc1 .LBB25_1139
; %bb.1134:
	v_mov_b32_e32 v9, 0
	v_mov_b32_e32 v2, 0
	s_waitcnt vmcnt(0)
	v_mov_b32_e32 v3, v1
	s_and_b32 s9, s10, 28
	s_add_u32 s0, s2, 0xc4
	s_addc_u32 s1, s3, 0
	s_mov_b32 s11, 0
	s_mov_b64 s[6:7], s[2:3]
.LBB25_1135:                            ; =>This Inner Loop Header: Depth=1
	s_clause 0x1
	s_load_dwordx8 s[16:23], s[6:7], 0x4
	s_load_dwordx4 s[28:31], s[6:7], 0x24
	s_load_dwordx8 s[36:43], s[0:1], 0x0
	s_add_u32 s6, s6, 48
	s_addc_u32 s7, s7, 0
	s_add_i32 s11, s11, 4
	s_add_u32 s0, s0, 32
	s_addc_u32 s1, s1, 0
	s_cmp_lg_u32 s9, s11
	s_waitcnt lgkmcnt(0)
	v_mul_hi_u32 v5, s17, v3
	v_add_nc_u32_e32 v5, v3, v5
	v_lshrrev_b32_e32 v5, s18, v5
	v_mul_hi_u32 v7, s20, v5
	v_mul_lo_u32 v10, v5, s16
	v_add_nc_u32_e32 v7, v5, v7
	v_sub_nc_u32_e32 v3, v3, v10
	v_lshrrev_b32_e32 v7, s21, v7
	v_mul_lo_u32 v10, v3, s36
	v_mul_lo_u32 v14, v3, s37
	v_mul_hi_u32 v8, s23, v7
	v_add_nc_u32_e32 v8, v7, v8
	v_lshrrev_b32_e32 v8, s28, v8
	v_mul_hi_u32 v12, s30, v8
	v_mul_lo_u32 v16, v8, s22
	v_add_nc_u32_e32 v3, v8, v12
	v_mul_lo_u32 v12, v7, s19
	v_sub_nc_u32_e32 v7, v7, v16
	v_lshrrev_b32_e32 v3, s31, v3
	v_mul_lo_u32 v16, v7, s40
	v_mul_lo_u32 v7, v7, s41
	v_sub_nc_u32_e32 v5, v5, v12
	v_mul_lo_u32 v17, v3, s29
	v_mul_lo_u32 v12, v5, s38
	;; [unrolled: 1-line block ×3, first 2 shown]
	v_sub_nc_u32_e32 v8, v8, v17
	v_add3_u32 v2, v10, v2, v12
	v_mul_lo_u32 v17, v8, s42
	v_mul_lo_u32 v8, v8, s43
	v_add3_u32 v5, v14, v9, v5
	v_add3_u32 v2, v16, v2, v17
	v_add3_u32 v9, v7, v5, v8
	s_cbranch_scc1 .LBB25_1135
; %bb.1136:
	s_and_b32 s10, s10, 3
	s_cmp_eq_u32 s10, 0
	s_cbranch_scc0 .LBB25_1140
	s_branch .LBB25_1142
.LBB25_1137:
	s_mov_b32 s8, -1
                                        ; implicit-def: $vgpr2
                                        ; implicit-def: $vgpr9
	s_branch .LBB25_1142
.LBB25_1138:
	v_mov_b32_e32 v2, 0
	v_mov_b32_e32 v9, 0
	s_branch .LBB25_1142
.LBB25_1139:
	v_mov_b32_e32 v2, 0
	v_mov_b32_e32 v9, 0
	s_waitcnt vmcnt(0)
	v_mov_b32_e32 v3, v1
	s_mov_b32 s9, 0
	s_and_b32 s10, s10, 3
	s_cmp_eq_u32 s10, 0
	s_cbranch_scc1 .LBB25_1142
.LBB25_1140:
	s_lshl_b32 s0, s9, 3
	s_mul_i32 s6, s9, 12
	s_add_u32 s0, s2, s0
	s_addc_u32 s1, s3, 0
	s_add_u32 s0, s0, 0xc4
	s_addc_u32 s1, s1, 0
	;; [unrolled: 2-line block ×3, first 2 shown]
	.p2align	6
.LBB25_1141:                            ; =>This Inner Loop Header: Depth=1
	s_clause 0x1
	s_load_dwordx2 s[14:15], s[6:7], 0x4
	s_load_dword s9, s[6:7], 0xc
	s_load_dwordx2 s[16:17], s[0:1], 0x0
	s_add_u32 s6, s6, 12
	s_addc_u32 s7, s7, 0
	s_add_u32 s0, s0, 8
	s_addc_u32 s1, s1, 0
	s_add_i32 s10, s10, -1
	s_cmp_lg_u32 s10, 0
	s_waitcnt lgkmcnt(0)
	v_mul_hi_u32 v5, s15, v3
	v_add_nc_u32_e32 v5, v3, v5
	v_lshrrev_b32_e32 v5, s9, v5
	v_mul_lo_u32 v7, v5, s14
	v_sub_nc_u32_e32 v7, v3, v7
	v_mad_u64_u32 v[2:3], null, v7, s16, v[2:3]
	v_mad_u64_u32 v[9:10], null, v7, s17, v[9:10]
	v_mov_b32_e32 v3, v5
	s_cbranch_scc1 .LBB25_1141
.LBB25_1142:
	s_andn2_b32 vcc_lo, exec_lo, s8
	s_cbranch_vccnz .LBB25_1145
; %bb.1143:
	s_clause 0x1
	s_load_dwordx4 s[8:11], s[2:3], 0x4
	s_load_dwordx2 s[0:1], s[2:3], 0xc4
	s_cmp_lt_u32 s24, 2
	s_waitcnt lgkmcnt(0)
	v_mul_hi_u32 v2, s9, v1
	v_add_nc_u32_e32 v2, v1, v2
	s_waitcnt vmcnt(0)
	v_lshrrev_b32_e32 v3, s10, v2
	v_mul_lo_u32 v2, v3, s8
	v_sub_nc_u32_e32 v1, v1, v2
	v_mul_lo_u32 v2, v1, s0
	v_mul_lo_u32 v9, v1, s1
	s_cbranch_scc1 .LBB25_1145
; %bb.1144:
	s_clause 0x1
	s_load_dwordx4 s[8:11], s[2:3], 0x10
	s_load_dwordx2 s[0:1], s[2:3], 0xcc
	s_waitcnt lgkmcnt(0)
	v_mul_hi_u32 v1, s9, v3
	v_add_nc_u32_e32 v1, v3, v1
	v_lshrrev_b32_e32 v1, s10, v1
	v_mul_lo_u32 v1, v1, s8
	v_sub_nc_u32_e32 v1, v3, v1
	v_mad_u64_u32 v[2:3], null, v1, s0, v[2:3]
	v_mad_u64_u32 v[9:10], null, v1, s1, v[9:10]
.LBB25_1145:
	v_cmp_ne_u32_e32 vcc_lo, 1, v0
	s_cbranch_vccnz .LBB25_1151
; %bb.1146:
	s_cmp_lg_u32 s24, 0
	s_mov_b32 s8, 0
	s_cbranch_scc0 .LBB25_1152
; %bb.1147:
	s_min_u32 s10, s25, 15
	s_add_i32 s10, s10, 1
	s_cmp_eq_u32 s25, 2
	s_cbranch_scc1 .LBB25_1153
; %bb.1148:
	v_mov_b32_e32 v7, 0
	v_mov_b32_e32 v0, 0
	v_mov_b32_e32 v1, v15
	s_and_b32 s9, s10, 28
	s_add_u32 s0, s2, 0xc4
	s_addc_u32 s1, s3, 0
	s_mov_b32 s11, 0
	s_mov_b64 s[6:7], s[2:3]
.LBB25_1149:                            ; =>This Inner Loop Header: Depth=1
	s_clause 0x1
	s_load_dwordx8 s[16:23], s[6:7], 0x4
	s_load_dwordx4 s[28:31], s[6:7], 0x24
	s_load_dwordx8 s[36:43], s[0:1], 0x0
	s_add_u32 s6, s6, 48
	s_addc_u32 s7, s7, 0
	s_add_i32 s11, s11, 4
	s_add_u32 s0, s0, 32
	s_addc_u32 s1, s1, 0
	s_cmp_lg_u32 s9, s11
	s_waitcnt vmcnt(0) lgkmcnt(0)
	v_mul_hi_u32 v3, s17, v1
	v_add_nc_u32_e32 v3, v1, v3
	v_lshrrev_b32_e32 v3, s18, v3
	v_mul_hi_u32 v5, s20, v3
	v_mul_lo_u32 v10, v3, s16
	v_add_nc_u32_e32 v5, v3, v5
	v_sub_nc_u32_e32 v1, v1, v10
	v_lshrrev_b32_e32 v5, s21, v5
	v_mul_lo_u32 v10, v1, s36
	v_mul_lo_u32 v14, v1, s37
	v_mul_hi_u32 v8, s23, v5
	v_add_nc_u32_e32 v8, v5, v8
	v_lshrrev_b32_e32 v8, s28, v8
	v_mul_hi_u32 v12, s30, v8
	v_mul_lo_u32 v16, v8, s22
	v_add_nc_u32_e32 v1, v8, v12
	v_mul_lo_u32 v12, v5, s19
	v_sub_nc_u32_e32 v5, v5, v16
	v_lshrrev_b32_e32 v1, s31, v1
	v_mul_lo_u32 v16, v5, s40
	v_mul_lo_u32 v5, v5, s41
	v_sub_nc_u32_e32 v3, v3, v12
	v_mul_lo_u32 v17, v1, s29
	v_mul_lo_u32 v12, v3, s38
	v_mul_lo_u32 v3, v3, s39
	v_sub_nc_u32_e32 v8, v8, v17
	v_add3_u32 v0, v10, v0, v12
	v_mul_lo_u32 v17, v8, s42
	v_mul_lo_u32 v8, v8, s43
	v_add3_u32 v3, v14, v7, v3
	v_add3_u32 v0, v16, v0, v17
	;; [unrolled: 1-line block ×3, first 2 shown]
	s_cbranch_scc1 .LBB25_1149
; %bb.1150:
	s_and_b32 s10, s10, 3
	s_cmp_eq_u32 s10, 0
	s_cbranch_scc0 .LBB25_1154
	s_branch .LBB25_1156
.LBB25_1151:
	s_mov_b32 s8, -1
                                        ; implicit-def: $vgpr0
                                        ; implicit-def: $vgpr7
	s_branch .LBB25_1156
.LBB25_1152:
	v_mov_b32_e32 v0, 0
	v_mov_b32_e32 v7, 0
	s_branch .LBB25_1156
.LBB25_1153:
	v_mov_b32_e32 v0, 0
	v_mov_b32_e32 v7, 0
	;; [unrolled: 1-line block ×3, first 2 shown]
	s_mov_b32 s9, 0
	s_and_b32 s10, s10, 3
	s_cmp_eq_u32 s10, 0
	s_cbranch_scc1 .LBB25_1156
.LBB25_1154:
	s_lshl_b32 s0, s9, 3
	s_mul_i32 s6, s9, 12
	s_add_u32 s0, s2, s0
	s_addc_u32 s1, s3, 0
	s_add_u32 s0, s0, 0xc4
	s_addc_u32 s1, s1, 0
	;; [unrolled: 2-line block ×3, first 2 shown]
	.p2align	6
.LBB25_1155:                            ; =>This Inner Loop Header: Depth=1
	s_clause 0x1
	s_load_dwordx2 s[14:15], s[6:7], 0x4
	s_load_dword s9, s[6:7], 0xc
	s_load_dwordx2 s[16:17], s[0:1], 0x0
	s_add_u32 s6, s6, 12
	s_addc_u32 s7, s7, 0
	s_add_u32 s0, s0, 8
	s_addc_u32 s1, s1, 0
	s_add_i32 s10, s10, -1
	s_cmp_lg_u32 s10, 0
	s_waitcnt vmcnt(0) lgkmcnt(0)
	v_mul_hi_u32 v3, s15, v1
	v_add_nc_u32_e32 v3, v1, v3
	v_lshrrev_b32_e32 v3, s9, v3
	v_mul_lo_u32 v5, v3, s14
	v_sub_nc_u32_e32 v5, v1, v5
	v_mad_u64_u32 v[0:1], null, v5, s16, v[0:1]
	v_mad_u64_u32 v[7:8], null, v5, s17, v[7:8]
	v_mov_b32_e32 v1, v3
	s_cbranch_scc1 .LBB25_1155
.LBB25_1156:
	s_andn2_b32 vcc_lo, exec_lo, s8
	s_cbranch_vccnz .LBB25_1159
; %bb.1157:
	s_clause 0x1
	s_load_dwordx4 s[8:11], s[2:3], 0x4
	s_load_dwordx2 s[0:1], s[2:3], 0xc4
	s_cmp_lt_u32 s24, 2
	s_waitcnt lgkmcnt(0)
	v_mul_hi_u32 v0, s9, v15
	v_add_nc_u32_e32 v0, v15, v0
	v_lshrrev_b32_e32 v1, s10, v0
	v_mul_lo_u32 v0, v1, s8
	s_waitcnt vmcnt(0)
	v_sub_nc_u32_e32 v3, v15, v0
	v_mul_lo_u32 v0, v3, s0
	v_mul_lo_u32 v7, v3, s1
	s_cbranch_scc1 .LBB25_1159
; %bb.1158:
	s_clause 0x1
	s_load_dwordx4 s[8:11], s[2:3], 0x10
	s_load_dwordx2 s[0:1], s[2:3], 0xcc
	s_waitcnt lgkmcnt(0)
	v_mul_hi_u32 v3, s9, v1
	v_add_nc_u32_e32 v3, v1, v3
	v_lshrrev_b32_e32 v3, s10, v3
	v_mul_lo_u32 v3, v3, s8
	v_sub_nc_u32_e32 v3, v1, v3
	v_mad_u64_u32 v[0:1], null, v3, s0, v[0:1]
	v_mad_u64_u32 v[7:8], null, v3, s1, v[7:8]
.LBB25_1159:
	s_clause 0x1
	s_load_dwordx4 s[8:11], s[2:3], 0x148
	s_load_dword s3, s[4:5], 0x160
	s_waitcnt lgkmcnt(0)
	v_add_co_u32 v12, s0, s10, v13
	v_add_co_ci_u32_e64 v13, null, s11, 0, s0
	s_bfe_u32 s0, s3, 0x80010
	s_cmp_lt_i32 s0, 11
	s_cbranch_scc1 .LBB25_1166
; %bb.1160:
	s_and_b32 s1, 0xffff, s0
	s_mov_b32 s4, 0
	s_cmp_gt_i32 s1, 25
	s_cbranch_scc0 .LBB25_1168
; %bb.1161:
	s_cmp_gt_i32 s1, 28
	s_cbranch_scc0 .LBB25_1169
; %bb.1162:
	;; [unrolled: 3-line block ×4, first 2 shown]
	s_cmp_eq_u32 s1, 46
	s_mov_b32 s6, 0
	s_cbranch_scc0 .LBB25_1174
; %bb.1165:
	global_load_dword v1, v[12:13], off
	s_mov_b32 s2, 0
	s_mov_b32 s5, -1
	s_waitcnt vmcnt(0)
	v_lshlrev_b32_e32 v1, 16, v1
	v_cvt_f16_f32_e32 v1, v1
	s_branch .LBB25_1176
.LBB25_1166:
	s_mov_b32 s5, 0
	s_mov_b32 s2, s12
                                        ; implicit-def: $vgpr1
	s_cbranch_execnz .LBB25_1239
.LBB25_1167:
	s_andn2_b32 vcc_lo, exec_lo, s5
	s_cbranch_vccz .LBB25_1284
	s_branch .LBB25_2121
.LBB25_1168:
	s_mov_b32 s5, 0
	s_mov_b32 s2, 0
                                        ; implicit-def: $vgpr1
	s_cbranch_execnz .LBB25_1204
	s_branch .LBB25_1235
.LBB25_1169:
	s_mov_b32 s6, -1
	s_mov_b32 s5, 0
	s_mov_b32 s2, 0
                                        ; implicit-def: $vgpr1
	s_branch .LBB25_1185
.LBB25_1170:
	s_mov_b32 s5, 0
	s_mov_b32 s2, 0
                                        ; implicit-def: $vgpr1
	s_cbranch_execnz .LBB25_1181
	s_branch .LBB25_1184
.LBB25_1171:
	s_mov_b32 s6, -1
	s_mov_b32 s5, 0
	s_mov_b32 s2, 0
	s_branch .LBB25_1175
.LBB25_1172:
	s_andn2_saveexec_b32 s11, s11
	s_cbranch_execz .LBB25_1012
.LBB25_1173:
	v_add_f32_e64 v4, 0x46000000, |v0|
	s_andn2_b32 s10, s10, exec_lo
	v_and_b32_e32 v4, 0xff, v4
	v_cmp_ne_u32_e32 vcc_lo, 0, v4
	s_and_b32 s12, vcc_lo, exec_lo
	s_or_b32 s10, s10, s12
	s_or_b32 exec_lo, exec_lo, s11
	v_mov_b32_e32 v5, 0
	s_and_saveexec_b32 s11, s10
	s_cbranch_execnz .LBB25_1013
	s_branch .LBB25_1014
.LBB25_1174:
	s_mov_b32 s2, -1
	s_mov_b32 s5, 0
.LBB25_1175:
                                        ; implicit-def: $vgpr1
.LBB25_1176:
	s_and_b32 vcc_lo, exec_lo, s6
	s_cbranch_vccz .LBB25_1179
; %bb.1177:
	s_cmp_eq_u32 s1, 44
	s_cbranch_scc0 .LBB25_1180
; %bb.1178:
	global_load_ubyte v1, v[12:13], off
	s_mov_b32 s2, 0
	s_mov_b32 s5, -1
	s_waitcnt vmcnt(0)
	v_lshlrev_b32_e32 v3, 23, v1
	v_cmp_ne_u32_e32 vcc_lo, 0xff, v1
	v_cvt_f16_f32_e32 v3, v3
	v_cndmask_b32_e32 v3, 0x7e00, v3, vcc_lo
	v_cmp_ne_u32_e32 vcc_lo, 0, v1
	v_cndmask_b32_e32 v1, 0, v3, vcc_lo
.LBB25_1179:
	s_branch .LBB25_1184
.LBB25_1180:
	s_mov_b32 s2, -1
                                        ; implicit-def: $vgpr1
	s_branch .LBB25_1184
.LBB25_1181:
	s_cmp_eq_u32 s1, 29
	s_cbranch_scc0 .LBB25_1183
; %bb.1182:
	global_load_dwordx2 v[14:15], v[12:13], off
	s_mov_b32 s2, 0
	s_mov_b32 s5, -1
	s_mov_b32 s6, 0
	s_waitcnt vmcnt(0)
	v_ffbh_u32_e32 v1, v15
	v_min_u32_e32 v1, 32, v1
	v_lshlrev_b64 v[14:15], v1, v[14:15]
	v_sub_nc_u32_e32 v1, 32, v1
	v_min_u32_e32 v3, 1, v14
	v_or_b32_e32 v3, v15, v3
	v_cvt_f32_u32_e32 v3, v3
	v_ldexp_f32 v1, v3, v1
	v_cvt_f16_f32_e32 v1, v1
	s_branch .LBB25_1185
.LBB25_1183:
	s_mov_b32 s2, -1
                                        ; implicit-def: $vgpr1
.LBB25_1184:
	s_mov_b32 s6, 0
.LBB25_1185:
	s_and_b32 vcc_lo, exec_lo, s6
	s_cbranch_vccz .LBB25_1203
; %bb.1186:
	s_cmp_lt_i32 s1, 27
	s_cbranch_scc1 .LBB25_1189
; %bb.1187:
	s_cmp_gt_i32 s1, 27
	s_cbranch_scc0 .LBB25_1190
; %bb.1188:
	global_load_dword v1, v[12:13], off
	s_mov_b32 s5, 0
	s_waitcnt vmcnt(0)
	v_cvt_f32_u32_e32 v1, v1
	v_cvt_f16_f32_e32 v1, v1
	s_branch .LBB25_1191
.LBB25_1189:
	s_mov_b32 s5, -1
                                        ; implicit-def: $vgpr1
	s_branch .LBB25_1194
.LBB25_1190:
	s_mov_b32 s5, -1
                                        ; implicit-def: $vgpr1
.LBB25_1191:
	s_andn2_b32 vcc_lo, exec_lo, s5
	s_cbranch_vccnz .LBB25_1193
; %bb.1192:
	global_load_ushort v1, v[12:13], off
	s_waitcnt vmcnt(0)
	v_cvt_f16_u16_e32 v1, v1
.LBB25_1193:
	s_mov_b32 s5, 0
.LBB25_1194:
	s_andn2_b32 vcc_lo, exec_lo, s5
	s_cbranch_vccnz .LBB25_1202
; %bb.1195:
	global_load_ubyte v3, v[12:13], off
	s_mov_b32 s5, 0
	s_mov_b32 s6, exec_lo
	s_waitcnt vmcnt(0)
	v_cmpx_lt_i16_e32 0x7f, v3
	s_xor_b32 s6, exec_lo, s6
	s_cbranch_execz .LBB25_1215
; %bb.1196:
	s_mov_b32 s5, -1
	s_mov_b32 s7, exec_lo
	v_cmpx_eq_u16_e32 0x80, v3
; %bb.1197:
	s_xor_b32 s5, exec_lo, -1
; %bb.1198:
	s_or_b32 exec_lo, exec_lo, s7
	s_and_b32 s5, s5, exec_lo
	s_or_saveexec_b32 s6, s6
	v_mov_b32_e32 v1, 0x7e00
	s_xor_b32 exec_lo, exec_lo, s6
	s_cbranch_execnz .LBB25_1216
.LBB25_1199:
	s_or_b32 exec_lo, exec_lo, s6
	s_and_saveexec_b32 s6, s5
	s_cbranch_execz .LBB25_1201
.LBB25_1200:
	v_and_b32_e32 v1, 0xffff, v3
	v_lshlrev_b32_e32 v3, 24, v3
	v_and_b32_e32 v5, 7, v1
	v_bfe_u32 v14, v1, 3, 4
	v_and_b32_e32 v3, 0x80000000, v3
	v_ffbh_u32_e32 v8, v5
	v_cmp_eq_u32_e32 vcc_lo, 0, v14
	v_min_u32_e32 v8, 32, v8
	v_subrev_nc_u32_e32 v10, 28, v8
	v_sub_nc_u32_e32 v8, 29, v8
	v_lshlrev_b32_e32 v1, v10, v1
	v_cndmask_b32_e32 v8, v14, v8, vcc_lo
	v_and_b32_e32 v1, 7, v1
	v_cndmask_b32_e32 v1, v5, v1, vcc_lo
	v_lshl_add_u32 v5, v8, 23, 0x3b800000
	v_lshlrev_b32_e32 v1, 20, v1
	v_or3_b32 v1, v3, v5, v1
	v_cvt_f16_f32_e32 v1, v1
.LBB25_1201:
	s_or_b32 exec_lo, exec_lo, s6
.LBB25_1202:
	s_mov_b32 s5, -1
.LBB25_1203:
	s_branch .LBB25_1235
.LBB25_1204:
	s_cmp_gt_i32 s1, 22
	s_cbranch_scc0 .LBB25_1214
; %bb.1205:
	s_cmp_lt_i32 s1, 24
	s_cbranch_scc1 .LBB25_1217
; %bb.1206:
	s_cmp_gt_i32 s1, 24
	s_cbranch_scc0 .LBB25_1218
; %bb.1207:
	global_load_ubyte v3, v[12:13], off
	s_mov_b32 s5, exec_lo
	s_waitcnt vmcnt(0)
	v_cmpx_lt_i16_e32 0x7f, v3
	s_xor_b32 s5, exec_lo, s5
	s_cbranch_execz .LBB25_1229
; %bb.1208:
	s_mov_b32 s4, -1
	s_mov_b32 s6, exec_lo
	v_cmpx_eq_u16_e32 0x80, v3
; %bb.1209:
	s_xor_b32 s4, exec_lo, -1
; %bb.1210:
	s_or_b32 exec_lo, exec_lo, s6
	s_and_b32 s4, s4, exec_lo
	s_or_saveexec_b32 s5, s5
	v_mov_b32_e32 v1, 0x7e00
	s_xor_b32 exec_lo, exec_lo, s5
	s_cbranch_execnz .LBB25_1230
.LBB25_1211:
	s_or_b32 exec_lo, exec_lo, s5
	s_and_saveexec_b32 s5, s4
	s_cbranch_execz .LBB25_1213
.LBB25_1212:
	v_and_b32_e32 v1, 0xffff, v3
	v_lshlrev_b32_e32 v3, 24, v3
	v_and_b32_e32 v5, 3, v1
	v_bfe_u32 v14, v1, 2, 5
	v_and_b32_e32 v3, 0x80000000, v3
	v_ffbh_u32_e32 v8, v5
	v_cmp_eq_u32_e32 vcc_lo, 0, v14
	v_min_u32_e32 v8, 32, v8
	v_subrev_nc_u32_e32 v10, 29, v8
	v_sub_nc_u32_e32 v8, 30, v8
	v_lshlrev_b32_e32 v1, v10, v1
	v_cndmask_b32_e32 v8, v14, v8, vcc_lo
	v_and_b32_e32 v1, 3, v1
	v_cndmask_b32_e32 v1, v5, v1, vcc_lo
	v_lshl_add_u32 v5, v8, 23, 0x37800000
	v_lshlrev_b32_e32 v1, 21, v1
	v_or3_b32 v1, v3, v5, v1
	v_cvt_f16_f32_e32 v1, v1
.LBB25_1213:
	s_or_b32 exec_lo, exec_lo, s5
	s_mov_b32 s4, 0
	s_branch .LBB25_1219
.LBB25_1214:
                                        ; implicit-def: $vgpr1
	s_mov_b32 s4, 0
	s_branch .LBB25_1225
.LBB25_1215:
	s_or_saveexec_b32 s6, s6
	v_mov_b32_e32 v1, 0x7e00
	s_xor_b32 exec_lo, exec_lo, s6
	s_cbranch_execz .LBB25_1199
.LBB25_1216:
	v_cmp_ne_u16_e32 vcc_lo, 0, v3
	v_mov_b32_e32 v1, v3
	s_andn2_b32 s5, s5, exec_lo
	s_and_b32 s7, vcc_lo, exec_lo
	s_or_b32 s5, s5, s7
	s_or_b32 exec_lo, exec_lo, s6
	s_and_saveexec_b32 s6, s5
	s_cbranch_execnz .LBB25_1200
	s_branch .LBB25_1201
.LBB25_1217:
	s_mov_b32 s4, -1
                                        ; implicit-def: $vgpr1
	s_branch .LBB25_1222
.LBB25_1218:
	s_mov_b32 s4, -1
                                        ; implicit-def: $vgpr1
.LBB25_1219:
	s_and_b32 vcc_lo, exec_lo, s4
	s_cbranch_vccz .LBB25_1221
; %bb.1220:
	global_load_ubyte v1, v[12:13], off
	s_waitcnt vmcnt(0)
	v_lshlrev_b32_e32 v1, 24, v1
	v_and_b32_e32 v3, 0x7f000000, v1
	v_ffbh_u32_e32 v5, v3
	v_add_nc_u32_e32 v10, 0x1000000, v3
	v_cmp_ne_u32_e32 vcc_lo, 0, v3
	v_min_u32_e32 v5, 32, v5
	v_sub_nc_u32_e64 v5, v5, 4 clamp
	v_lshlrev_b32_e32 v8, v5, v3
	v_lshlrev_b32_e32 v5, 23, v5
	v_lshrrev_b32_e32 v8, 4, v8
	v_sub_nc_u32_e32 v5, v8, v5
	v_ashrrev_i32_e32 v8, 8, v10
	v_add_nc_u32_e32 v5, 0x3c000000, v5
	v_and_or_b32 v5, 0x7f800000, v8, v5
	v_cndmask_b32_e32 v3, 0, v5, vcc_lo
	v_and_or_b32 v1, 0x80000000, v1, v3
	v_cvt_f16_f32_e32 v1, v1
.LBB25_1221:
	s_mov_b32 s4, 0
.LBB25_1222:
	s_andn2_b32 vcc_lo, exec_lo, s4
	s_cbranch_vccnz .LBB25_1224
; %bb.1223:
	global_load_ubyte v1, v[12:13], off
	s_waitcnt vmcnt(0)
	v_lshlrev_b32_e32 v3, 25, v1
	v_lshlrev_b16 v1, 8, v1
	v_lshrrev_b32_e32 v5, 4, v3
	v_and_or_b32 v8, 0x7f00, v1, 0.5
	v_cmp_gt_u32_e32 vcc_lo, 0x8000000, v3
	v_bfe_i32 v1, v1, 0, 16
	v_or_b32_e32 v5, 0x70000000, v5
	v_add_f32_e32 v8, -0.5, v8
	v_mul_f32_e32 v5, 0x7800000, v5
	v_cndmask_b32_e32 v3, v5, v8, vcc_lo
	v_and_or_b32 v1, 0x80000000, v1, v3
	v_cvt_f16_f32_e32 v1, v1
.LBB25_1224:
	s_mov_b32 s5, -1
	s_mov_b32 s4, 0
	s_cbranch_execnz .LBB25_1235
.LBB25_1225:
	s_cmp_gt_i32 s1, 14
	s_cbranch_scc0 .LBB25_1228
; %bb.1226:
	s_cmp_eq_u32 s1, 15
	s_cbranch_scc0 .LBB25_1231
; %bb.1227:
	global_load_ushort v1, v[12:13], off
	s_mov_b32 s2, 0
	s_mov_b32 s5, -1
	s_waitcnt vmcnt(0)
	v_lshlrev_b32_e32 v1, 16, v1
	v_cvt_f16_f32_e32 v1, v1
	s_branch .LBB25_1233
.LBB25_1228:
	s_mov_b32 s4, -1
	s_branch .LBB25_1232
.LBB25_1229:
	s_or_saveexec_b32 s5, s5
	v_mov_b32_e32 v1, 0x7e00
	s_xor_b32 exec_lo, exec_lo, s5
	s_cbranch_execz .LBB25_1211
.LBB25_1230:
	v_cmp_ne_u16_e32 vcc_lo, 0, v3
	v_mov_b32_e32 v1, v3
	s_andn2_b32 s4, s4, exec_lo
	s_and_b32 s6, vcc_lo, exec_lo
	s_or_b32 s4, s4, s6
	s_or_b32 exec_lo, exec_lo, s5
	s_and_saveexec_b32 s5, s4
	s_cbranch_execnz .LBB25_1212
	s_branch .LBB25_1213
.LBB25_1231:
	s_mov_b32 s2, -1
.LBB25_1232:
                                        ; implicit-def: $vgpr1
.LBB25_1233:
	s_and_b32 vcc_lo, exec_lo, s4
	s_mov_b32 s4, 0
	s_cbranch_vccz .LBB25_1235
; %bb.1234:
	s_cmp_lg_u32 s1, 11
	s_mov_b32 s4, -1
	s_cselect_b32 s2, -1, 0
.LBB25_1235:
	s_and_b32 vcc_lo, exec_lo, s2
	s_mov_b32 s2, s12
	s_cbranch_vccnz .LBB25_1300
; %bb.1236:
	s_andn2_b32 vcc_lo, exec_lo, s4
	s_cbranch_vccnz .LBB25_1238
.LBB25_1237:
	global_load_ubyte v1, v[12:13], off
	s_mov_b32 s5, -1
	s_waitcnt vmcnt(0)
	v_cmp_ne_u16_e32 vcc_lo, 0, v1
	v_cndmask_b32_e64 v1, 0, 0x3c00, vcc_lo
.LBB25_1238:
	s_branch .LBB25_1167
.LBB25_1239:
	s_and_b32 s0, 0xffff, s0
	s_cmp_lt_i32 s0, 5
	s_cbranch_scc1 .LBB25_1244
; %bb.1240:
	s_cmp_lt_i32 s0, 8
	s_cbranch_scc1 .LBB25_1245
; %bb.1241:
	;; [unrolled: 3-line block ×3, first 2 shown]
	s_cmp_gt_i32 s0, 9
	s_cbranch_scc0 .LBB25_1247
; %bb.1243:
	global_load_dwordx2 v[14:15], v[12:13], off
	s_mov_b32 s1, 0
	s_waitcnt vmcnt(0)
	v_and_or_b32 v1, 0x1ff, v15, v14
	v_lshrrev_b32_e32 v3, 8, v15
	v_bfe_u32 v5, v15, 20, 11
	v_cmp_ne_u32_e32 vcc_lo, 0, v1
	v_sub_nc_u32_e32 v8, 0x3f1, v5
	v_add_nc_u32_e32 v5, 0xfffffc10, v5
	v_cndmask_b32_e64 v1, 0, 1, vcc_lo
	v_and_or_b32 v1, 0xffe, v3, v1
	v_med3_i32 v3, v8, 0, 13
	v_or_b32_e32 v8, 0x1000, v1
	v_lshrrev_b32_e32 v10, v3, v8
	v_lshlrev_b32_e32 v3, v3, v10
	v_cmp_ne_u32_e32 vcc_lo, v3, v8
	v_lshl_or_b32 v8, v5, 12, v1
	v_cndmask_b32_e64 v3, 0, 1, vcc_lo
	v_cmp_gt_i32_e32 vcc_lo, 1, v5
	v_or_b32_e32 v3, v10, v3
	v_cndmask_b32_e32 v3, v8, v3, vcc_lo
	v_and_b32_e32 v8, 7, v3
	v_lshrrev_b32_e32 v3, 2, v3
	v_cmp_lt_i32_e32 vcc_lo, 5, v8
	v_cndmask_b32_e64 v10, 0, 1, vcc_lo
	v_cmp_eq_u32_e32 vcc_lo, 3, v8
	v_cndmask_b32_e64 v8, 0, 1, vcc_lo
	v_cmp_ne_u32_e32 vcc_lo, 0, v1
	v_or_b32_e32 v8, v8, v10
	v_mov_b32_e32 v10, 0x7e00
	v_add_nc_u32_e32 v3, v3, v8
	v_cndmask_b32_e32 v1, 0x7c00, v10, vcc_lo
	v_cmp_gt_i32_e32 vcc_lo, 31, v5
	v_cndmask_b32_e32 v3, 0x7c00, v3, vcc_lo
	v_cmp_eq_u32_e32 vcc_lo, 0x40f, v5
	v_cndmask_b32_e32 v1, v3, v1, vcc_lo
	v_lshrrev_b32_e32 v3, 16, v15
	v_and_or_b32 v1, 0x8000, v3, v1
	s_branch .LBB25_1248
.LBB25_1244:
                                        ; implicit-def: $vgpr1
	s_branch .LBB25_1265
.LBB25_1245:
                                        ; implicit-def: $vgpr1
	s_branch .LBB25_1254
.LBB25_1246:
	s_mov_b32 s1, -1
                                        ; implicit-def: $vgpr1
	s_branch .LBB25_1251
.LBB25_1247:
	s_mov_b32 s1, -1
                                        ; implicit-def: $vgpr1
.LBB25_1248:
	s_andn2_b32 vcc_lo, exec_lo, s1
	s_cbranch_vccnz .LBB25_1250
; %bb.1249:
	global_load_dword v1, v[12:13], off
	s_waitcnt vmcnt(0)
	v_cvt_f16_f32_e32 v1, v1
.LBB25_1250:
	s_mov_b32 s1, 0
.LBB25_1251:
	s_andn2_b32 vcc_lo, exec_lo, s1
	s_cbranch_vccnz .LBB25_1253
; %bb.1252:
	global_load_dword v1, v[12:13], off
.LBB25_1253:
	s_cbranch_execnz .LBB25_1264
.LBB25_1254:
	s_cmp_lt_i32 s0, 6
	s_cbranch_scc1 .LBB25_1257
; %bb.1255:
	s_cmp_gt_i32 s0, 6
	s_cbranch_scc0 .LBB25_1258
; %bb.1256:
	global_load_dwordx2 v[14:15], v[12:13], off
	s_mov_b32 s1, 0
	s_waitcnt vmcnt(0)
	v_and_or_b32 v1, 0x1ff, v15, v14
	v_lshrrev_b32_e32 v3, 8, v15
	v_bfe_u32 v5, v15, 20, 11
	v_cmp_ne_u32_e32 vcc_lo, 0, v1
	v_sub_nc_u32_e32 v8, 0x3f1, v5
	v_add_nc_u32_e32 v5, 0xfffffc10, v5
	v_cndmask_b32_e64 v1, 0, 1, vcc_lo
	v_and_or_b32 v1, 0xffe, v3, v1
	v_med3_i32 v3, v8, 0, 13
	v_or_b32_e32 v8, 0x1000, v1
	v_lshrrev_b32_e32 v10, v3, v8
	v_lshlrev_b32_e32 v3, v3, v10
	v_cmp_ne_u32_e32 vcc_lo, v3, v8
	v_lshl_or_b32 v8, v5, 12, v1
	v_cndmask_b32_e64 v3, 0, 1, vcc_lo
	v_cmp_gt_i32_e32 vcc_lo, 1, v5
	v_or_b32_e32 v3, v10, v3
	v_cndmask_b32_e32 v3, v8, v3, vcc_lo
	v_and_b32_e32 v8, 7, v3
	v_lshrrev_b32_e32 v3, 2, v3
	v_cmp_lt_i32_e32 vcc_lo, 5, v8
	v_cndmask_b32_e64 v10, 0, 1, vcc_lo
	v_cmp_eq_u32_e32 vcc_lo, 3, v8
	v_cndmask_b32_e64 v8, 0, 1, vcc_lo
	v_cmp_ne_u32_e32 vcc_lo, 0, v1
	v_or_b32_e32 v8, v8, v10
	v_mov_b32_e32 v10, 0x7e00
	v_add_nc_u32_e32 v3, v3, v8
	v_cndmask_b32_e32 v1, 0x7c00, v10, vcc_lo
	v_cmp_gt_i32_e32 vcc_lo, 31, v5
	v_cndmask_b32_e32 v3, 0x7c00, v3, vcc_lo
	v_cmp_eq_u32_e32 vcc_lo, 0x40f, v5
	v_cndmask_b32_e32 v1, v3, v1, vcc_lo
	v_lshrrev_b32_e32 v3, 16, v15
	v_and_or_b32 v1, 0x8000, v3, v1
	s_branch .LBB25_1259
.LBB25_1257:
	s_mov_b32 s1, -1
                                        ; implicit-def: $vgpr1
	s_branch .LBB25_1262
.LBB25_1258:
	s_mov_b32 s1, -1
                                        ; implicit-def: $vgpr1
.LBB25_1259:
	s_andn2_b32 vcc_lo, exec_lo, s1
	s_cbranch_vccnz .LBB25_1261
; %bb.1260:
	global_load_dword v1, v[12:13], off
	s_waitcnt vmcnt(0)
	v_cvt_f16_f32_e32 v1, v1
.LBB25_1261:
	s_mov_b32 s1, 0
.LBB25_1262:
	s_andn2_b32 vcc_lo, exec_lo, s1
	s_cbranch_vccnz .LBB25_1264
; %bb.1263:
	global_load_ushort v1, v[12:13], off
.LBB25_1264:
	s_cbranch_execnz .LBB25_1283
.LBB25_1265:
	s_cmp_lt_i32 s0, 2
	s_cbranch_scc1 .LBB25_1269
; %bb.1266:
	s_cmp_lt_i32 s0, 3
	s_cbranch_scc1 .LBB25_1270
; %bb.1267:
	s_cmp_gt_i32 s0, 3
	s_cbranch_scc0 .LBB25_1271
; %bb.1268:
	global_load_dwordx2 v[14:15], v[12:13], off
	s_mov_b32 s1, 0
	s_waitcnt vmcnt(0)
	v_xor_b32_e32 v1, v14, v15
	v_ffbh_i32_e32 v3, v15
	v_ashrrev_i32_e32 v1, 31, v1
	v_add_nc_u32_e32 v3, -1, v3
	v_add_nc_u32_e32 v1, 32, v1
	v_min_u32_e32 v1, v3, v1
	v_lshlrev_b64 v[14:15], v1, v[14:15]
	v_sub_nc_u32_e32 v1, 32, v1
	v_min_u32_e32 v3, 1, v14
	v_or_b32_e32 v3, v15, v3
	v_cvt_f32_i32_e32 v3, v3
	v_ldexp_f32 v1, v3, v1
	v_cvt_f16_f32_e32 v1, v1
	s_branch .LBB25_1272
.LBB25_1269:
                                        ; implicit-def: $vgpr1
	s_branch .LBB25_1278
.LBB25_1270:
	s_mov_b32 s1, -1
                                        ; implicit-def: $vgpr1
	s_branch .LBB25_1275
.LBB25_1271:
	s_mov_b32 s1, -1
                                        ; implicit-def: $vgpr1
.LBB25_1272:
	s_andn2_b32 vcc_lo, exec_lo, s1
	s_cbranch_vccnz .LBB25_1274
; %bb.1273:
	global_load_dword v1, v[12:13], off
	s_waitcnt vmcnt(0)
	v_cvt_f32_i32_e32 v1, v1
	v_cvt_f16_f32_e32 v1, v1
.LBB25_1274:
	s_mov_b32 s1, 0
.LBB25_1275:
	s_andn2_b32 vcc_lo, exec_lo, s1
	s_cbranch_vccnz .LBB25_1277
; %bb.1276:
	global_load_ushort v1, v[12:13], off
	s_waitcnt vmcnt(0)
	v_cvt_f16_i16_e32 v1, v1
.LBB25_1277:
	s_cbranch_execnz .LBB25_1283
.LBB25_1278:
	s_cmp_gt_i32 s0, 0
	s_mov_b32 s0, 0
	s_cbranch_scc0 .LBB25_1280
; %bb.1279:
	global_load_sbyte v1, v[12:13], off
	s_waitcnt vmcnt(0)
	v_cvt_f16_i16_e32 v1, v1
	s_branch .LBB25_1281
.LBB25_1280:
	s_mov_b32 s0, -1
                                        ; implicit-def: $vgpr1
.LBB25_1281:
	s_andn2_b32 vcc_lo, exec_lo, s0
	s_cbranch_vccnz .LBB25_1283
; %bb.1282:
	global_load_ubyte v1, v[12:13], off
	s_waitcnt vmcnt(0)
	v_cvt_f16_u16_e32 v1, v1
.LBB25_1283:
.LBB25_1284:
	s_waitcnt vmcnt(0)
	v_cvt_f32_f16_e32 v1, v1
                                        ; implicit-def: $vgpr12
                                        ; implicit-def: $vgpr5
	s_mov_b32 s1, exec_lo
	v_and_b32_e32 v3, 0x7fffffff, v1
	v_cmpx_ngt_f32_e64 0x48000000, |v1|
	s_xor_b32 s4, exec_lo, s1
	s_cbranch_execz .LBB25_1286
; %bb.1285:
	s_mov_b32 s0, 0x7fffff
	v_mov_b32_e32 v14, 0
	v_and_or_b32 v5, v3, s0, 0x800000
	v_lshrrev_b32_e32 v8, 23, v3
	v_mad_u64_u32 v[12:13], null, 0xfe5163ab, v5, 0
	v_add_nc_u32_e32 v8, 0xffffff88, v8
	v_cmp_lt_u32_e32 vcc_lo, 63, v8
	v_mad_u64_u32 v[15:16], null, 0x3c439041, v5, v[13:14]
	v_cndmask_b32_e64 v10, 0, 0xffffffc0, vcc_lo
	v_mov_b32_e32 v13, v16
	v_add_nc_u32_e32 v8, v10, v8
	v_mad_u64_u32 v[16:17], null, 0xdb629599, v5, v[13:14]
	v_cmp_lt_u32_e64 s0, 31, v8
	v_cndmask_b32_e64 v10, 0, 0xffffffe0, s0
	v_mov_b32_e32 v13, v17
	v_cndmask_b32_e32 v12, v16, v12, vcc_lo
	v_add_nc_u32_e32 v8, v10, v8
	v_mad_u64_u32 v[17:18], null, 0xf534ddc0, v5, v[13:14]
	v_cmp_lt_u32_e64 s1, 31, v8
	v_mov_b32_e32 v13, v18
	v_mad_u64_u32 v[18:19], null, 0xfc2757d1, v5, v[13:14]
	v_mov_b32_e32 v13, v19
	v_mad_u64_u32 v[19:20], null, 0x4e441529, v5, v[13:14]
	v_mov_b32_e32 v13, v20
	v_cndmask_b32_e32 v10, v19, v17, vcc_lo
	v_mad_u64_u32 v[13:14], null, 0xa2f9836e, v5, v[13:14]
	v_cndmask_b32_e64 v5, 0, 0xffffffe0, s1
	v_add_nc_u32_e32 v5, v5, v8
	v_cndmask_b32_e32 v13, v13, v18, vcc_lo
	v_cndmask_b32_e32 v14, v14, v19, vcc_lo
	;; [unrolled: 1-line block ×4, first 2 shown]
	v_cmp_eq_u32_e32 vcc_lo, 0, v5
	v_cndmask_b32_e64 v15, v13, v10, s0
	v_cndmask_b32_e64 v13, v14, v13, s0
	v_cndmask_b32_e64 v10, v10, v18, s0
	v_sub_nc_u32_e32 v14, 32, v5
	v_cndmask_b32_e64 v17, v18, v8, s0
	v_cndmask_b32_e64 v8, v8, v12, s0
	v_cndmask_b32_e64 v13, v13, v15, s1
	v_cndmask_b32_e64 v15, v15, v10, s1
	v_cndmask_b32_e64 v10, v10, v17, s1
	v_cndmask_b32_e64 v8, v17, v8, s1
	v_alignbit_b32 v18, v13, v15, v14
	v_alignbit_b32 v16, v15, v10, v14
	;; [unrolled: 1-line block ×3, first 2 shown]
	v_cndmask_b32_e32 v5, v18, v13, vcc_lo
	v_cndmask_b32_e32 v12, v16, v15, vcc_lo
	;; [unrolled: 1-line block ×3, first 2 shown]
	v_bfe_u32 v13, v5, 29, 1
	v_alignbit_b32 v15, v5, v12, 30
	v_alignbit_b32 v12, v12, v10, 30
	;; [unrolled: 1-line block ×3, first 2 shown]
	v_sub_nc_u32_e32 v16, 0, v13
	v_xor_b32_e32 v15, v15, v16
	v_xor_b32_e32 v10, v12, v16
	;; [unrolled: 1-line block ×3, first 2 shown]
	v_lshrrev_b32_e32 v16, 29, v5
	v_ffbh_u32_e32 v14, v15
	v_min_u32_e32 v14, 32, v14
	v_sub_nc_u32_e32 v12, 31, v14
	v_lshlrev_b32_e32 v17, 23, v14
	v_alignbit_b32 v15, v15, v10, v12
	v_alignbit_b32 v8, v10, v8, v12
	v_lshlrev_b32_e32 v10, 31, v16
	v_alignbit_b32 v12, v15, v8, 9
	v_or_b32_e32 v16, 0.5, v10
	v_lshrrev_b32_e32 v15, 9, v15
	v_or_b32_e32 v10, 0x33000000, v10
	v_ffbh_u32_e32 v18, v12
	v_sub_nc_u32_e32 v16, v16, v17
	v_min_u32_e32 v17, 32, v18
	v_or_b32_e32 v15, v15, v16
	v_not_b32_e32 v16, v17
	v_mul_f32_e32 v18, 0x3fc90fda, v15
	v_add_lshl_u32 v14, v17, v14, 23
	v_alignbit_b32 v8, v12, v8, v16
	v_fma_f32 v12, 0x3fc90fda, v15, -v18
	v_sub_nc_u32_e32 v10, v10, v14
	v_lshrrev_b32_e32 v8, 9, v8
	v_fmamk_f32 v12, v15, 0x33a22168, v12
	v_or_b32_e32 v8, v10, v8
	v_fmac_f32_e32 v12, 0x3fc90fda, v8
	v_lshrrev_b32_e32 v8, 30, v5
	v_add_f32_e32 v5, v18, v12
	v_add_nc_u32_e32 v12, v13, v8
.LBB25_1286:
	s_andn2_saveexec_b32 s0, s4
; %bb.1287:
	v_mul_f32_e64 v5, 0x3f22f983, |v1|
	v_rndne_f32_e32 v8, v5
	v_fma_f32 v5, 0xbfc90fda, v8, |v1|
	v_cvt_i32_f32_e32 v12, v8
	v_fmamk_f32 v5, v8, 0xb3a22168, v5
	v_fmamk_f32 v5, v8, 0xa7c234c4, v5
; %bb.1288:
	s_or_b32 exec_lo, exec_lo, s0
	v_add_co_u32 v10, s1, s10, v11
	s_lshr_b32 s0, s3, 16
	v_add_co_ci_u32_e64 v11, null, s11, 0, s1
	s_and_b32 s4, s0, 0xff
	s_cmp_lt_i32 s4, 11
	s_cbranch_scc1 .LBB25_1295
; %bb.1289:
	s_and_b32 s0, 0xffff, s4
	s_mov_b32 s5, 0
	s_cmp_gt_i32 s0, 25
	s_cbranch_scc0 .LBB25_1297
; %bb.1290:
	s_cmp_gt_i32 s0, 28
	s_cbranch_scc0 .LBB25_1298
; %bb.1291:
	s_cmp_gt_i32 s0, 43
	s_cbranch_scc0 .LBB25_1299
; %bb.1292:
	s_cmp_gt_i32 s0, 45
	s_cbranch_scc0 .LBB25_1301
; %bb.1293:
	s_cmp_eq_u32 s0, 46
	s_mov_b32 s7, 0
	s_cbranch_scc0 .LBB25_1304
; %bb.1294:
	global_load_dword v8, v[10:11], off
	s_mov_b32 s1, 0
	s_mov_b32 s6, -1
	s_waitcnt vmcnt(0)
	v_lshlrev_b32_e32 v8, 16, v8
	v_cvt_f16_f32_e32 v8, v8
	s_branch .LBB25_1306
.LBB25_1295:
	s_mov_b32 s6, 0
                                        ; implicit-def: $vgpr8
	s_cbranch_execnz .LBB25_1371
.LBB25_1296:
	s_andn2_b32 vcc_lo, exec_lo, s6
	s_cbranch_vccz .LBB25_1418
	s_branch .LBB25_2121
.LBB25_1297:
	s_mov_b32 s6, 0
	s_mov_b32 s1, 0
                                        ; implicit-def: $vgpr8
	s_cbranch_execnz .LBB25_1335
	s_branch .LBB25_1367
.LBB25_1298:
	s_mov_b32 s7, -1
	s_mov_b32 s6, 0
	s_mov_b32 s1, 0
                                        ; implicit-def: $vgpr8
	s_branch .LBB25_1316
.LBB25_1299:
	s_mov_b32 s7, -1
	s_mov_b32 s6, 0
	s_mov_b32 s1, 0
                                        ; implicit-def: $vgpr8
	s_branch .LBB25_1311
.LBB25_1300:
	s_or_b32 s2, s12, exec_lo
	s_trap 2
	s_cbranch_execz .LBB25_1237
	s_branch .LBB25_1238
.LBB25_1301:
	s_mov_b32 s7, -1
	s_mov_b32 s6, 0
	s_mov_b32 s1, 0
	s_branch .LBB25_1305
.LBB25_1302:
	s_andn2_saveexec_b32 s12, s12
	s_cbranch_execz .LBB25_1024
.LBB25_1303:
	v_add_f32_e64 v4, 0x42800000, |v0|
	s_andn2_b32 s11, s11, exec_lo
	v_and_b32_e32 v4, 0xff, v4
	v_cmp_ne_u32_e32 vcc_lo, 0, v4
	s_and_b32 s13, vcc_lo, exec_lo
	s_or_b32 s11, s11, s13
	s_or_b32 exec_lo, exec_lo, s12
	v_mov_b32_e32 v5, 0
	s_and_saveexec_b32 s12, s11
	s_cbranch_execnz .LBB25_1025
	s_branch .LBB25_1026
.LBB25_1304:
	s_mov_b32 s1, -1
	s_mov_b32 s6, 0
.LBB25_1305:
                                        ; implicit-def: $vgpr8
.LBB25_1306:
	s_and_b32 vcc_lo, exec_lo, s7
	s_cbranch_vccz .LBB25_1310
; %bb.1307:
	s_cmp_eq_u32 s0, 44
	s_cbranch_scc0 .LBB25_1309
; %bb.1308:
	global_load_ubyte v8, v[10:11], off
	s_mov_b32 s1, 0
	s_mov_b32 s6, -1
	s_waitcnt vmcnt(0)
	v_lshlrev_b32_e32 v13, 23, v8
	v_cmp_ne_u32_e32 vcc_lo, 0xff, v8
	v_cvt_f16_f32_e32 v13, v13
	v_cndmask_b32_e32 v13, 0x7e00, v13, vcc_lo
	v_cmp_ne_u32_e32 vcc_lo, 0, v8
	v_cndmask_b32_e32 v8, 0, v13, vcc_lo
	s_branch .LBB25_1310
.LBB25_1309:
	s_mov_b32 s1, -1
                                        ; implicit-def: $vgpr8
.LBB25_1310:
	s_mov_b32 s7, 0
.LBB25_1311:
	s_and_b32 vcc_lo, exec_lo, s7
	s_cbranch_vccz .LBB25_1315
; %bb.1312:
	s_cmp_eq_u32 s0, 29
	s_cbranch_scc0 .LBB25_1314
; %bb.1313:
	global_load_dwordx2 v[13:14], v[10:11], off
	s_mov_b32 s1, 0
	s_mov_b32 s6, -1
	s_mov_b32 s7, 0
	s_waitcnt vmcnt(0)
	v_ffbh_u32_e32 v8, v14
	v_min_u32_e32 v8, 32, v8
	v_lshlrev_b64 v[13:14], v8, v[13:14]
	v_sub_nc_u32_e32 v8, 32, v8
	v_min_u32_e32 v13, 1, v13
	v_or_b32_e32 v13, v14, v13
	v_cvt_f32_u32_e32 v13, v13
	v_ldexp_f32 v8, v13, v8
	v_cvt_f16_f32_e32 v8, v8
	s_branch .LBB25_1316
.LBB25_1314:
	s_mov_b32 s1, -1
                                        ; implicit-def: $vgpr8
.LBB25_1315:
	s_mov_b32 s7, 0
.LBB25_1316:
	s_and_b32 vcc_lo, exec_lo, s7
	s_cbranch_vccz .LBB25_1334
; %bb.1317:
	s_cmp_lt_i32 s0, 27
	s_cbranch_scc1 .LBB25_1320
; %bb.1318:
	s_cmp_gt_i32 s0, 27
	s_cbranch_scc0 .LBB25_1321
; %bb.1319:
	global_load_dword v8, v[10:11], off
	s_mov_b32 s6, 0
	s_waitcnt vmcnt(0)
	v_cvt_f32_u32_e32 v8, v8
	v_cvt_f16_f32_e32 v8, v8
	s_branch .LBB25_1322
.LBB25_1320:
	s_mov_b32 s6, -1
                                        ; implicit-def: $vgpr8
	s_branch .LBB25_1325
.LBB25_1321:
	s_mov_b32 s6, -1
                                        ; implicit-def: $vgpr8
.LBB25_1322:
	s_andn2_b32 vcc_lo, exec_lo, s6
	s_cbranch_vccnz .LBB25_1324
; %bb.1323:
	global_load_ushort v8, v[10:11], off
	s_waitcnt vmcnt(0)
	v_cvt_f16_u16_e32 v8, v8
.LBB25_1324:
	s_mov_b32 s6, 0
.LBB25_1325:
	s_andn2_b32 vcc_lo, exec_lo, s6
	s_cbranch_vccnz .LBB25_1333
; %bb.1326:
	global_load_ubyte v13, v[10:11], off
	s_mov_b32 s6, 0
	s_mov_b32 s7, exec_lo
	s_waitcnt vmcnt(0)
	v_cmpx_lt_i16_e32 0x7f, v13
	s_xor_b32 s7, exec_lo, s7
	s_cbranch_execz .LBB25_1346
; %bb.1327:
	s_mov_b32 s6, -1
	s_mov_b32 s14, exec_lo
	v_cmpx_eq_u16_e32 0x80, v13
; %bb.1328:
	s_xor_b32 s6, exec_lo, -1
; %bb.1329:
	s_or_b32 exec_lo, exec_lo, s14
	s_and_b32 s6, s6, exec_lo
	s_or_saveexec_b32 s7, s7
	v_mov_b32_e32 v8, 0x7e00
	s_xor_b32 exec_lo, exec_lo, s7
	s_cbranch_execnz .LBB25_1347
.LBB25_1330:
	s_or_b32 exec_lo, exec_lo, s7
	s_and_saveexec_b32 s7, s6
	s_cbranch_execz .LBB25_1332
.LBB25_1331:
	v_and_b32_e32 v8, 0xffff, v13
	v_lshlrev_b32_e32 v13, 24, v13
	v_and_b32_e32 v14, 7, v8
	v_bfe_u32 v17, v8, 3, 4
	v_and_b32_e32 v13, 0x80000000, v13
	v_ffbh_u32_e32 v15, v14
	v_cmp_eq_u32_e32 vcc_lo, 0, v17
	v_min_u32_e32 v15, 32, v15
	v_subrev_nc_u32_e32 v16, 28, v15
	v_sub_nc_u32_e32 v15, 29, v15
	v_lshlrev_b32_e32 v8, v16, v8
	v_cndmask_b32_e32 v15, v17, v15, vcc_lo
	v_and_b32_e32 v8, 7, v8
	v_cndmask_b32_e32 v8, v14, v8, vcc_lo
	v_lshl_add_u32 v14, v15, 23, 0x3b800000
	v_lshlrev_b32_e32 v8, 20, v8
	v_or3_b32 v8, v13, v14, v8
	v_cvt_f16_f32_e32 v8, v8
.LBB25_1332:
	s_or_b32 exec_lo, exec_lo, s7
.LBB25_1333:
	s_mov_b32 s6, -1
.LBB25_1334:
	s_branch .LBB25_1367
.LBB25_1335:
	s_cmp_gt_i32 s0, 22
	s_cbranch_scc0 .LBB25_1345
; %bb.1336:
	s_cmp_lt_i32 s0, 24
	s_cbranch_scc1 .LBB25_1348
; %bb.1337:
	s_cmp_gt_i32 s0, 24
	s_cbranch_scc0 .LBB25_1349
; %bb.1338:
	global_load_ubyte v13, v[10:11], off
	s_mov_b32 s6, exec_lo
	s_waitcnt vmcnt(0)
	v_cmpx_lt_i16_e32 0x7f, v13
	s_xor_b32 s6, exec_lo, s6
	s_cbranch_execz .LBB25_1361
; %bb.1339:
	s_mov_b32 s5, -1
	s_mov_b32 s7, exec_lo
	v_cmpx_eq_u16_e32 0x80, v13
; %bb.1340:
	s_xor_b32 s5, exec_lo, -1
; %bb.1341:
	s_or_b32 exec_lo, exec_lo, s7
	s_and_b32 s5, s5, exec_lo
	s_or_saveexec_b32 s6, s6
	v_mov_b32_e32 v8, 0x7e00
	s_xor_b32 exec_lo, exec_lo, s6
	s_cbranch_execnz .LBB25_1362
.LBB25_1342:
	s_or_b32 exec_lo, exec_lo, s6
	s_and_saveexec_b32 s6, s5
	s_cbranch_execz .LBB25_1344
.LBB25_1343:
	v_and_b32_e32 v8, 0xffff, v13
	v_lshlrev_b32_e32 v13, 24, v13
	v_and_b32_e32 v14, 3, v8
	v_bfe_u32 v17, v8, 2, 5
	v_and_b32_e32 v13, 0x80000000, v13
	v_ffbh_u32_e32 v15, v14
	v_cmp_eq_u32_e32 vcc_lo, 0, v17
	v_min_u32_e32 v15, 32, v15
	v_subrev_nc_u32_e32 v16, 29, v15
	v_sub_nc_u32_e32 v15, 30, v15
	v_lshlrev_b32_e32 v8, v16, v8
	v_cndmask_b32_e32 v15, v17, v15, vcc_lo
	v_and_b32_e32 v8, 3, v8
	v_cndmask_b32_e32 v8, v14, v8, vcc_lo
	v_lshl_add_u32 v14, v15, 23, 0x37800000
	v_lshlrev_b32_e32 v8, 21, v8
	v_or3_b32 v8, v13, v14, v8
	v_cvt_f16_f32_e32 v8, v8
.LBB25_1344:
	s_or_b32 exec_lo, exec_lo, s6
	s_mov_b32 s5, 0
	s_branch .LBB25_1350
.LBB25_1345:
	s_mov_b32 s5, -1
                                        ; implicit-def: $vgpr8
	s_branch .LBB25_1356
.LBB25_1346:
	s_or_saveexec_b32 s7, s7
	v_mov_b32_e32 v8, 0x7e00
	s_xor_b32 exec_lo, exec_lo, s7
	s_cbranch_execz .LBB25_1330
.LBB25_1347:
	v_cmp_ne_u16_e32 vcc_lo, 0, v13
	v_mov_b32_e32 v8, v13
	s_andn2_b32 s6, s6, exec_lo
	s_and_b32 s14, vcc_lo, exec_lo
	s_or_b32 s6, s6, s14
	s_or_b32 exec_lo, exec_lo, s7
	s_and_saveexec_b32 s7, s6
	s_cbranch_execnz .LBB25_1331
	s_branch .LBB25_1332
.LBB25_1348:
	s_mov_b32 s5, -1
                                        ; implicit-def: $vgpr8
	s_branch .LBB25_1353
.LBB25_1349:
	s_mov_b32 s5, -1
                                        ; implicit-def: $vgpr8
.LBB25_1350:
	s_and_b32 vcc_lo, exec_lo, s5
	s_cbranch_vccz .LBB25_1352
; %bb.1351:
	global_load_ubyte v8, v[10:11], off
	s_waitcnt vmcnt(0)
	v_lshlrev_b32_e32 v8, 24, v8
	v_and_b32_e32 v13, 0x7f000000, v8
	v_ffbh_u32_e32 v14, v13
	v_add_nc_u32_e32 v16, 0x1000000, v13
	v_cmp_ne_u32_e32 vcc_lo, 0, v13
	v_min_u32_e32 v14, 32, v14
	v_sub_nc_u32_e64 v14, v14, 4 clamp
	v_lshlrev_b32_e32 v15, v14, v13
	v_lshlrev_b32_e32 v14, 23, v14
	v_lshrrev_b32_e32 v15, 4, v15
	v_sub_nc_u32_e32 v14, v15, v14
	v_ashrrev_i32_e32 v15, 8, v16
	v_add_nc_u32_e32 v14, 0x3c000000, v14
	v_and_or_b32 v14, 0x7f800000, v15, v14
	v_cndmask_b32_e32 v13, 0, v14, vcc_lo
	v_and_or_b32 v8, 0x80000000, v8, v13
	v_cvt_f16_f32_e32 v8, v8
.LBB25_1352:
	s_mov_b32 s5, 0
.LBB25_1353:
	s_andn2_b32 vcc_lo, exec_lo, s5
	s_cbranch_vccnz .LBB25_1355
; %bb.1354:
	global_load_ubyte v8, v[10:11], off
	s_waitcnt vmcnt(0)
	v_lshlrev_b32_e32 v13, 25, v8
	v_lshlrev_b16 v8, 8, v8
	v_lshrrev_b32_e32 v14, 4, v13
	v_and_or_b32 v15, 0x7f00, v8, 0.5
	v_cmp_gt_u32_e32 vcc_lo, 0x8000000, v13
	v_bfe_i32 v8, v8, 0, 16
	v_or_b32_e32 v14, 0x70000000, v14
	v_add_f32_e32 v15, -0.5, v15
	v_mul_f32_e32 v14, 0x7800000, v14
	v_cndmask_b32_e32 v13, v14, v15, vcc_lo
	v_and_or_b32 v8, 0x80000000, v8, v13
	v_cvt_f16_f32_e32 v8, v8
.LBB25_1355:
	s_mov_b32 s5, 0
	s_mov_b32 s6, -1
.LBB25_1356:
	s_andn2_b32 vcc_lo, exec_lo, s5
	s_mov_b32 s5, 0
	s_cbranch_vccnz .LBB25_1367
; %bb.1357:
	s_cmp_gt_i32 s0, 14
	s_cbranch_scc0 .LBB25_1360
; %bb.1358:
	s_cmp_eq_u32 s0, 15
	s_cbranch_scc0 .LBB25_1363
; %bb.1359:
	global_load_ushort v8, v[10:11], off
	s_mov_b32 s1, 0
	s_mov_b32 s6, -1
	s_waitcnt vmcnt(0)
	v_lshlrev_b32_e32 v8, 16, v8
	v_cvt_f16_f32_e32 v8, v8
	s_branch .LBB25_1365
.LBB25_1360:
	s_mov_b32 s5, -1
	s_branch .LBB25_1364
.LBB25_1361:
	s_or_saveexec_b32 s6, s6
	v_mov_b32_e32 v8, 0x7e00
	s_xor_b32 exec_lo, exec_lo, s6
	s_cbranch_execz .LBB25_1342
.LBB25_1362:
	v_cmp_ne_u16_e32 vcc_lo, 0, v13
	v_mov_b32_e32 v8, v13
	s_andn2_b32 s5, s5, exec_lo
	s_and_b32 s7, vcc_lo, exec_lo
	s_or_b32 s5, s5, s7
	s_or_b32 exec_lo, exec_lo, s6
	s_and_saveexec_b32 s6, s5
	s_cbranch_execnz .LBB25_1343
	s_branch .LBB25_1344
.LBB25_1363:
	s_mov_b32 s1, -1
.LBB25_1364:
                                        ; implicit-def: $vgpr8
.LBB25_1365:
	s_and_b32 vcc_lo, exec_lo, s5
	s_mov_b32 s5, 0
	s_cbranch_vccz .LBB25_1367
; %bb.1366:
	s_cmp_lg_u32 s0, 11
	s_mov_b32 s5, -1
	s_cselect_b32 s1, -1, 0
.LBB25_1367:
	s_and_b32 vcc_lo, exec_lo, s1
	s_cbranch_vccnz .LBB25_1434
; %bb.1368:
	s_andn2_b32 vcc_lo, exec_lo, s5
	s_cbranch_vccnz .LBB25_1370
.LBB25_1369:
	global_load_ubyte v8, v[10:11], off
	s_mov_b32 s6, -1
	s_waitcnt vmcnt(0)
	v_cmp_ne_u16_e32 vcc_lo, 0, v8
	v_cndmask_b32_e64 v8, 0, 0x3c00, vcc_lo
.LBB25_1370:
	s_branch .LBB25_1296
.LBB25_1371:
	s_and_b32 s0, 0xffff, s4
	s_cmp_lt_i32 s0, 5
	s_cbranch_scc1 .LBB25_1376
; %bb.1372:
	s_cmp_lt_i32 s0, 8
	s_cbranch_scc1 .LBB25_1377
; %bb.1373:
	;; [unrolled: 3-line block ×3, first 2 shown]
	s_cmp_gt_i32 s0, 9
	s_cbranch_scc0 .LBB25_1379
; %bb.1375:
	global_load_dwordx2 v[13:14], v[10:11], off
	s_mov_b32 s1, 0
	s_waitcnt vmcnt(0)
	v_and_or_b32 v8, 0x1ff, v14, v13
	v_lshrrev_b32_e32 v13, 8, v14
	v_bfe_u32 v15, v14, 20, 11
	v_cmp_ne_u32_e32 vcc_lo, 0, v8
	v_sub_nc_u32_e32 v16, 0x3f1, v15
	v_add_nc_u32_e32 v15, 0xfffffc10, v15
	v_cndmask_b32_e64 v8, 0, 1, vcc_lo
	v_and_or_b32 v8, 0xffe, v13, v8
	v_med3_i32 v13, v16, 0, 13
	v_or_b32_e32 v16, 0x1000, v8
	v_lshrrev_b32_e32 v17, v13, v16
	v_lshlrev_b32_e32 v13, v13, v17
	v_cmp_ne_u32_e32 vcc_lo, v13, v16
	v_lshl_or_b32 v16, v15, 12, v8
	v_cndmask_b32_e64 v13, 0, 1, vcc_lo
	v_cmp_gt_i32_e32 vcc_lo, 1, v15
	v_or_b32_e32 v13, v17, v13
	v_cndmask_b32_e32 v13, v16, v13, vcc_lo
	v_and_b32_e32 v16, 7, v13
	v_lshrrev_b32_e32 v13, 2, v13
	v_cmp_lt_i32_e32 vcc_lo, 5, v16
	v_cndmask_b32_e64 v17, 0, 1, vcc_lo
	v_cmp_eq_u32_e32 vcc_lo, 3, v16
	v_cndmask_b32_e64 v16, 0, 1, vcc_lo
	v_cmp_ne_u32_e32 vcc_lo, 0, v8
	v_or_b32_e32 v16, v16, v17
	v_mov_b32_e32 v17, 0x7e00
	v_add_nc_u32_e32 v13, v13, v16
	v_cndmask_b32_e32 v8, 0x7c00, v17, vcc_lo
	v_cmp_gt_i32_e32 vcc_lo, 31, v15
	v_cndmask_b32_e32 v13, 0x7c00, v13, vcc_lo
	v_cmp_eq_u32_e32 vcc_lo, 0x40f, v15
	v_cndmask_b32_e32 v8, v13, v8, vcc_lo
	v_lshrrev_b32_e32 v13, 16, v14
	v_and_or_b32 v8, 0x8000, v13, v8
	s_branch .LBB25_1380
.LBB25_1376:
                                        ; implicit-def: $vgpr8
	s_branch .LBB25_1398
.LBB25_1377:
	s_mov_b32 s1, -1
                                        ; implicit-def: $vgpr8
	s_branch .LBB25_1386
.LBB25_1378:
	s_mov_b32 s1, -1
                                        ; implicit-def: $vgpr8
	s_branch .LBB25_1383
.LBB25_1379:
	s_mov_b32 s1, -1
                                        ; implicit-def: $vgpr8
.LBB25_1380:
	s_andn2_b32 vcc_lo, exec_lo, s1
	s_cbranch_vccnz .LBB25_1382
; %bb.1381:
	global_load_dword v8, v[10:11], off
	s_waitcnt vmcnt(0)
	v_cvt_f16_f32_e32 v8, v8
.LBB25_1382:
	s_mov_b32 s1, 0
.LBB25_1383:
	s_andn2_b32 vcc_lo, exec_lo, s1
	s_cbranch_vccnz .LBB25_1385
; %bb.1384:
	global_load_dword v8, v[10:11], off
.LBB25_1385:
	s_mov_b32 s1, 0
.LBB25_1386:
	s_andn2_b32 vcc_lo, exec_lo, s1
	s_cbranch_vccnz .LBB25_1397
; %bb.1387:
	s_cmp_lt_i32 s0, 6
	s_cbranch_scc1 .LBB25_1390
; %bb.1388:
	s_cmp_gt_i32 s0, 6
	s_cbranch_scc0 .LBB25_1391
; %bb.1389:
	global_load_dwordx2 v[13:14], v[10:11], off
	s_mov_b32 s1, 0
	s_waitcnt vmcnt(0)
	v_and_or_b32 v8, 0x1ff, v14, v13
	v_lshrrev_b32_e32 v13, 8, v14
	v_bfe_u32 v15, v14, 20, 11
	v_cmp_ne_u32_e32 vcc_lo, 0, v8
	v_sub_nc_u32_e32 v16, 0x3f1, v15
	v_add_nc_u32_e32 v15, 0xfffffc10, v15
	v_cndmask_b32_e64 v8, 0, 1, vcc_lo
	v_and_or_b32 v8, 0xffe, v13, v8
	v_med3_i32 v13, v16, 0, 13
	v_or_b32_e32 v16, 0x1000, v8
	v_lshrrev_b32_e32 v17, v13, v16
	v_lshlrev_b32_e32 v13, v13, v17
	v_cmp_ne_u32_e32 vcc_lo, v13, v16
	v_lshl_or_b32 v16, v15, 12, v8
	v_cndmask_b32_e64 v13, 0, 1, vcc_lo
	v_cmp_gt_i32_e32 vcc_lo, 1, v15
	v_or_b32_e32 v13, v17, v13
	v_cndmask_b32_e32 v13, v16, v13, vcc_lo
	v_and_b32_e32 v16, 7, v13
	v_lshrrev_b32_e32 v13, 2, v13
	v_cmp_lt_i32_e32 vcc_lo, 5, v16
	v_cndmask_b32_e64 v17, 0, 1, vcc_lo
	v_cmp_eq_u32_e32 vcc_lo, 3, v16
	v_cndmask_b32_e64 v16, 0, 1, vcc_lo
	v_cmp_ne_u32_e32 vcc_lo, 0, v8
	v_or_b32_e32 v16, v16, v17
	v_mov_b32_e32 v17, 0x7e00
	v_add_nc_u32_e32 v13, v13, v16
	v_cndmask_b32_e32 v8, 0x7c00, v17, vcc_lo
	v_cmp_gt_i32_e32 vcc_lo, 31, v15
	v_cndmask_b32_e32 v13, 0x7c00, v13, vcc_lo
	v_cmp_eq_u32_e32 vcc_lo, 0x40f, v15
	v_cndmask_b32_e32 v8, v13, v8, vcc_lo
	v_lshrrev_b32_e32 v13, 16, v14
	v_and_or_b32 v8, 0x8000, v13, v8
	s_branch .LBB25_1392
.LBB25_1390:
	s_mov_b32 s1, -1
                                        ; implicit-def: $vgpr8
	s_branch .LBB25_1395
.LBB25_1391:
	s_mov_b32 s1, -1
                                        ; implicit-def: $vgpr8
.LBB25_1392:
	s_andn2_b32 vcc_lo, exec_lo, s1
	s_cbranch_vccnz .LBB25_1394
; %bb.1393:
	global_load_dword v8, v[10:11], off
	s_waitcnt vmcnt(0)
	v_cvt_f16_f32_e32 v8, v8
.LBB25_1394:
	s_mov_b32 s1, 0
.LBB25_1395:
	s_andn2_b32 vcc_lo, exec_lo, s1
	s_cbranch_vccnz .LBB25_1397
; %bb.1396:
	global_load_ushort v8, v[10:11], off
.LBB25_1397:
	s_cbranch_execnz .LBB25_1417
.LBB25_1398:
	s_cmp_lt_i32 s0, 2
	s_cbranch_scc1 .LBB25_1402
; %bb.1399:
	s_cmp_lt_i32 s0, 3
	s_cbranch_scc1 .LBB25_1403
; %bb.1400:
	s_cmp_gt_i32 s0, 3
	s_cbranch_scc0 .LBB25_1404
; %bb.1401:
	global_load_dwordx2 v[13:14], v[10:11], off
	s_mov_b32 s1, 0
	s_waitcnt vmcnt(0)
	v_xor_b32_e32 v8, v13, v14
	v_ffbh_i32_e32 v15, v14
	v_ashrrev_i32_e32 v8, 31, v8
	v_add_nc_u32_e32 v15, -1, v15
	v_add_nc_u32_e32 v8, 32, v8
	v_min_u32_e32 v8, v15, v8
	v_lshlrev_b64 v[13:14], v8, v[13:14]
	v_sub_nc_u32_e32 v8, 32, v8
	v_min_u32_e32 v13, 1, v13
	v_or_b32_e32 v13, v14, v13
	v_cvt_f32_i32_e32 v13, v13
	v_ldexp_f32 v8, v13, v8
	v_cvt_f16_f32_e32 v8, v8
	s_branch .LBB25_1405
.LBB25_1402:
	s_mov_b32 s1, -1
                                        ; implicit-def: $vgpr8
	s_branch .LBB25_1411
.LBB25_1403:
	s_mov_b32 s1, -1
                                        ; implicit-def: $vgpr8
	s_branch .LBB25_1408
.LBB25_1404:
	s_mov_b32 s1, -1
                                        ; implicit-def: $vgpr8
.LBB25_1405:
	s_andn2_b32 vcc_lo, exec_lo, s1
	s_cbranch_vccnz .LBB25_1407
; %bb.1406:
	global_load_dword v8, v[10:11], off
	s_waitcnt vmcnt(0)
	v_cvt_f32_i32_e32 v8, v8
	v_cvt_f16_f32_e32 v8, v8
.LBB25_1407:
	s_mov_b32 s1, 0
.LBB25_1408:
	s_andn2_b32 vcc_lo, exec_lo, s1
	s_cbranch_vccnz .LBB25_1410
; %bb.1409:
	global_load_ushort v8, v[10:11], off
	s_waitcnt vmcnt(0)
	v_cvt_f16_i16_e32 v8, v8
.LBB25_1410:
	s_mov_b32 s1, 0
.LBB25_1411:
	s_andn2_b32 vcc_lo, exec_lo, s1
	s_cbranch_vccnz .LBB25_1417
; %bb.1412:
	s_cmp_gt_i32 s0, 0
	s_mov_b32 s0, 0
	s_cbranch_scc0 .LBB25_1414
; %bb.1413:
	global_load_sbyte v8, v[10:11], off
	s_waitcnt vmcnt(0)
	v_cvt_f16_i16_e32 v8, v8
	s_branch .LBB25_1415
.LBB25_1414:
	s_mov_b32 s0, -1
                                        ; implicit-def: $vgpr8
.LBB25_1415:
	s_andn2_b32 vcc_lo, exec_lo, s0
	s_cbranch_vccnz .LBB25_1417
; %bb.1416:
	global_load_ubyte v8, v[10:11], off
	s_waitcnt vmcnt(0)
	v_cvt_f16_u16_e32 v8, v8
.LBB25_1417:
.LBB25_1418:
	s_waitcnt vmcnt(0)
	v_cvt_f32_f16_e32 v10, v8
                                        ; implicit-def: $vgpr14
                                        ; implicit-def: $vgpr13
	s_mov_b32 s1, exec_lo
	v_and_b32_e32 v11, 0x7fffffff, v10
	v_cmpx_ngt_f32_e64 0x48000000, |v10|
	s_xor_b32 s5, exec_lo, s1
	s_cbranch_execz .LBB25_1420
; %bb.1419:
	s_mov_b32 s0, 0x7fffff
	v_mov_b32_e32 v15, 0
	v_and_or_b32 v8, v11, s0, 0x800000
	v_lshrrev_b32_e32 v20, 23, v11
	v_mad_u64_u32 v[13:14], null, 0xfe5163ab, v8, 0
	v_add_nc_u32_e32 v21, 0xffffff88, v20
	v_cmp_lt_u32_e32 vcc_lo, 63, v21
	v_mad_u64_u32 v[16:17], null, 0x3c439041, v8, v[14:15]
	v_cndmask_b32_e64 v22, 0, 0xffffffc0, vcc_lo
	v_mov_b32_e32 v14, v17
	v_add_nc_u32_e32 v22, v22, v21
	v_mad_u64_u32 v[17:18], null, 0xdb629599, v8, v[14:15]
	v_cmp_lt_u32_e64 s0, 31, v22
	v_cndmask_b32_e64 v23, 0, 0xffffffe0, s0
	v_mov_b32_e32 v14, v18
	v_cndmask_b32_e32 v13, v17, v13, vcc_lo
	v_mad_u64_u32 v[18:19], null, 0xf534ddc0, v8, v[14:15]
	v_mov_b32_e32 v14, v19
	v_cndmask_b32_e32 v16, v18, v16, vcc_lo
	v_mad_u64_u32 v[19:20], null, 0xfc2757d1, v8, v[14:15]
	v_cndmask_b32_e64 v13, v16, v13, s0
	v_mov_b32_e32 v14, v20
	v_mad_u64_u32 v[20:21], null, 0x4e441529, v8, v[14:15]
	v_mov_b32_e32 v14, v21
	v_add_nc_u32_e32 v21, v23, v22
	v_cndmask_b32_e32 v22, v20, v18, vcc_lo
	v_mad_u64_u32 v[14:15], null, 0xa2f9836e, v8, v[14:15]
	v_cmp_lt_u32_e64 s1, 31, v21
	v_cndmask_b32_e64 v8, 0, 0xffffffe0, s1
	v_cndmask_b32_e32 v14, v14, v19, vcc_lo
	v_cndmask_b32_e32 v15, v15, v20, vcc_lo
	;; [unrolled: 1-line block ×3, first 2 shown]
	v_add_nc_u32_e32 v8, v8, v21
	v_cndmask_b32_e64 v18, v14, v22, s0
	v_cndmask_b32_e64 v14, v15, v14, s0
	;; [unrolled: 1-line block ×4, first 2 shown]
	v_sub_nc_u32_e32 v20, 32, v8
	v_cmp_eq_u32_e32 vcc_lo, 0, v8
	v_cndmask_b32_e64 v14, v14, v18, s1
	v_cndmask_b32_e64 v18, v18, v15, s1
	v_cndmask_b32_e64 v15, v15, v19, s1
	v_cndmask_b32_e64 v13, v19, v13, s1
	v_alignbit_b32 v21, v14, v18, v20
	v_alignbit_b32 v17, v18, v15, v20
	;; [unrolled: 1-line block ×3, first 2 shown]
	v_cndmask_b32_e32 v8, v21, v14, vcc_lo
	v_cndmask_b32_e32 v14, v17, v18, vcc_lo
	;; [unrolled: 1-line block ×3, first 2 shown]
	v_bfe_u32 v16, v8, 29, 1
	v_alignbit_b32 v17, v8, v14, 30
	v_alignbit_b32 v14, v14, v15, 30
	;; [unrolled: 1-line block ×3, first 2 shown]
	v_sub_nc_u32_e32 v18, 0, v16
	v_xor_b32_e32 v17, v17, v18
	v_xor_b32_e32 v14, v14, v18
	;; [unrolled: 1-line block ×3, first 2 shown]
	v_lshrrev_b32_e32 v18, 29, v8
	v_lshrrev_b32_e32 v8, 30, v8
	v_ffbh_u32_e32 v19, v17
	v_min_u32_e32 v19, 32, v19
	v_sub_nc_u32_e32 v15, 31, v19
	v_lshlrev_b32_e32 v20, 23, v19
	v_alignbit_b32 v17, v17, v14, v15
	v_alignbit_b32 v13, v14, v13, v15
	v_lshlrev_b32_e32 v14, 31, v18
	v_alignbit_b32 v15, v17, v13, 9
	v_or_b32_e32 v18, 0.5, v14
	v_lshrrev_b32_e32 v17, 9, v17
	v_or_b32_e32 v14, 0x33000000, v14
	v_ffbh_u32_e32 v21, v15
	v_sub_nc_u32_e32 v18, v18, v20
	v_min_u32_e32 v20, 32, v21
	v_or_b32_e32 v17, v17, v18
	v_not_b32_e32 v18, v20
	v_mul_f32_e32 v21, 0x3fc90fda, v17
	v_add_lshl_u32 v19, v20, v19, 23
	v_alignbit_b32 v13, v15, v13, v18
	v_fma_f32 v15, 0x3fc90fda, v17, -v21
	v_sub_nc_u32_e32 v14, v14, v19
	v_lshrrev_b32_e32 v13, 9, v13
	v_fmamk_f32 v15, v17, 0x33a22168, v15
	v_or_b32_e32 v13, v14, v13
	v_add_nc_u32_e32 v14, v16, v8
	v_fmac_f32_e32 v15, 0x3fc90fda, v13
	v_add_f32_e32 v13, v21, v15
.LBB25_1420:
	s_andn2_saveexec_b32 s0, s5
; %bb.1421:
	v_mul_f32_e64 v8, 0x3f22f983, |v10|
	v_rndne_f32_e32 v8, v8
	v_fma_f32 v13, 0xbfc90fda, v8, |v10|
	v_cvt_i32_f32_e32 v14, v8
	v_fmamk_f32 v13, v8, 0xb3a22168, v13
	v_fmamk_f32 v13, v8, 0xa7c234c4, v13
; %bb.1422:
	s_or_b32 exec_lo, exec_lo, s0
	v_add_co_u32 v8, s0, s10, v9
	v_add_co_ci_u32_e64 v9, null, s11, 0, s0
	s_cmp_lt_i32 s4, 11
	s_cbranch_scc1 .LBB25_1429
; %bb.1423:
	s_and_b32 s0, 0xffff, s4
	s_mov_b32 s5, 0
	s_cmp_gt_i32 s0, 25
	s_cbranch_scc0 .LBB25_1431
; %bb.1424:
	s_cmp_gt_i32 s0, 28
	s_cbranch_scc0 .LBB25_1432
; %bb.1425:
	;; [unrolled: 3-line block ×4, first 2 shown]
	s_cmp_eq_u32 s0, 46
	s_mov_b32 s7, 0
	s_cbranch_scc0 .LBB25_1436
; %bb.1428:
	global_load_dword v15, v[8:9], off
	s_mov_b32 s1, 0
	s_mov_b32 s6, -1
	s_waitcnt vmcnt(0)
	v_lshlrev_b32_e32 v15, 16, v15
	v_cvt_f16_f32_e32 v15, v15
	s_branch .LBB25_1438
.LBB25_1429:
	s_mov_b32 s6, 0
                                        ; implicit-def: $vgpr15
	s_cbranch_execnz .LBB25_1504
.LBB25_1430:
	s_andn2_b32 vcc_lo, exec_lo, s6
	s_cbranch_vccz .LBB25_1552
	s_branch .LBB25_2121
.LBB25_1431:
	s_mov_b32 s7, -1
	s_mov_b32 s6, 0
	s_mov_b32 s1, 0
                                        ; implicit-def: $vgpr15
	s_branch .LBB25_1467
.LBB25_1432:
	s_mov_b32 s7, -1
	s_mov_b32 s6, 0
	s_mov_b32 s1, 0
                                        ; implicit-def: $vgpr15
	s_branch .LBB25_1448
.LBB25_1433:
	s_mov_b32 s7, -1
	s_mov_b32 s6, 0
	s_mov_b32 s1, 0
                                        ; implicit-def: $vgpr15
	s_branch .LBB25_1443
.LBB25_1434:
	s_or_b32 s2, s2, exec_lo
	s_trap 2
	s_cbranch_execz .LBB25_1369
	s_branch .LBB25_1370
.LBB25_1435:
	s_mov_b32 s7, -1
	s_mov_b32 s6, 0
	s_mov_b32 s1, 0
	s_branch .LBB25_1437
.LBB25_1436:
	s_mov_b32 s1, -1
	s_mov_b32 s6, 0
.LBB25_1437:
                                        ; implicit-def: $vgpr15
.LBB25_1438:
	s_and_b32 vcc_lo, exec_lo, s7
	s_cbranch_vccz .LBB25_1442
; %bb.1439:
	s_cmp_eq_u32 s0, 44
	s_cbranch_scc0 .LBB25_1441
; %bb.1440:
	global_load_ubyte v15, v[8:9], off
	s_mov_b32 s1, 0
	s_mov_b32 s6, -1
	s_waitcnt vmcnt(0)
	v_lshlrev_b32_e32 v16, 23, v15
	v_cmp_ne_u32_e32 vcc_lo, 0xff, v15
	v_cvt_f16_f32_e32 v16, v16
	v_cndmask_b32_e32 v16, 0x7e00, v16, vcc_lo
	v_cmp_ne_u32_e32 vcc_lo, 0, v15
	v_cndmask_b32_e32 v15, 0, v16, vcc_lo
	s_branch .LBB25_1442
.LBB25_1441:
	s_mov_b32 s1, -1
                                        ; implicit-def: $vgpr15
.LBB25_1442:
	s_mov_b32 s7, 0
.LBB25_1443:
	s_and_b32 vcc_lo, exec_lo, s7
	s_cbranch_vccz .LBB25_1447
; %bb.1444:
	s_cmp_eq_u32 s0, 29
	s_cbranch_scc0 .LBB25_1446
; %bb.1445:
	global_load_dwordx2 v[15:16], v[8:9], off
	s_mov_b32 s1, 0
	s_mov_b32 s6, -1
	s_mov_b32 s7, 0
	s_waitcnt vmcnt(0)
	v_ffbh_u32_e32 v17, v16
	v_min_u32_e32 v17, 32, v17
	v_lshlrev_b64 v[15:16], v17, v[15:16]
	v_min_u32_e32 v15, 1, v15
	v_or_b32_e32 v15, v16, v15
	v_sub_nc_u32_e32 v16, 32, v17
	v_cvt_f32_u32_e32 v15, v15
	v_ldexp_f32 v15, v15, v16
	v_cvt_f16_f32_e32 v15, v15
	s_branch .LBB25_1448
.LBB25_1446:
	s_mov_b32 s1, -1
                                        ; implicit-def: $vgpr15
.LBB25_1447:
	s_mov_b32 s7, 0
.LBB25_1448:
	s_and_b32 vcc_lo, exec_lo, s7
	s_cbranch_vccz .LBB25_1466
; %bb.1449:
	s_cmp_lt_i32 s0, 27
	s_cbranch_scc1 .LBB25_1452
; %bb.1450:
	s_cmp_gt_i32 s0, 27
	s_cbranch_scc0 .LBB25_1453
; %bb.1451:
	global_load_dword v15, v[8:9], off
	s_mov_b32 s6, 0
	s_waitcnt vmcnt(0)
	v_cvt_f32_u32_e32 v15, v15
	v_cvt_f16_f32_e32 v15, v15
	s_branch .LBB25_1454
.LBB25_1452:
	s_mov_b32 s6, -1
                                        ; implicit-def: $vgpr15
	s_branch .LBB25_1457
.LBB25_1453:
	s_mov_b32 s6, -1
                                        ; implicit-def: $vgpr15
.LBB25_1454:
	s_andn2_b32 vcc_lo, exec_lo, s6
	s_cbranch_vccnz .LBB25_1456
; %bb.1455:
	global_load_ushort v15, v[8:9], off
	s_waitcnt vmcnt(0)
	v_cvt_f16_u16_e32 v15, v15
.LBB25_1456:
	s_mov_b32 s6, 0
.LBB25_1457:
	s_andn2_b32 vcc_lo, exec_lo, s6
	s_cbranch_vccnz .LBB25_1465
; %bb.1458:
	global_load_ubyte v16, v[8:9], off
	s_mov_b32 s6, 0
	s_mov_b32 s7, exec_lo
	s_waitcnt vmcnt(0)
	v_cmpx_lt_i16_e32 0x7f, v16
	s_xor_b32 s7, exec_lo, s7
	s_cbranch_execz .LBB25_1479
; %bb.1459:
	s_mov_b32 s6, -1
	s_mov_b32 s14, exec_lo
	v_cmpx_eq_u16_e32 0x80, v16
; %bb.1460:
	s_xor_b32 s6, exec_lo, -1
; %bb.1461:
	s_or_b32 exec_lo, exec_lo, s14
	s_and_b32 s6, s6, exec_lo
	s_or_saveexec_b32 s7, s7
	v_mov_b32_e32 v15, 0x7e00
	s_xor_b32 exec_lo, exec_lo, s7
	s_cbranch_execnz .LBB25_1480
.LBB25_1462:
	s_or_b32 exec_lo, exec_lo, s7
	s_and_saveexec_b32 s7, s6
	s_cbranch_execz .LBB25_1464
.LBB25_1463:
	v_and_b32_e32 v15, 0xffff, v16
	v_lshlrev_b32_e32 v16, 24, v16
	v_and_b32_e32 v17, 7, v15
	v_bfe_u32 v20, v15, 3, 4
	v_and_b32_e32 v16, 0x80000000, v16
	v_ffbh_u32_e32 v18, v17
	v_cmp_eq_u32_e32 vcc_lo, 0, v20
	v_min_u32_e32 v18, 32, v18
	v_subrev_nc_u32_e32 v19, 28, v18
	v_sub_nc_u32_e32 v18, 29, v18
	v_lshlrev_b32_e32 v15, v19, v15
	v_cndmask_b32_e32 v18, v20, v18, vcc_lo
	v_and_b32_e32 v15, 7, v15
	v_cndmask_b32_e32 v15, v17, v15, vcc_lo
	v_lshl_add_u32 v17, v18, 23, 0x3b800000
	v_lshlrev_b32_e32 v15, 20, v15
	v_or3_b32 v15, v16, v17, v15
	v_cvt_f16_f32_e32 v15, v15
.LBB25_1464:
	s_or_b32 exec_lo, exec_lo, s7
.LBB25_1465:
	s_mov_b32 s6, -1
.LBB25_1466:
	s_mov_b32 s7, 0
.LBB25_1467:
	s_and_b32 vcc_lo, exec_lo, s7
	s_cbranch_vccz .LBB25_1500
; %bb.1468:
	s_cmp_gt_i32 s0, 22
	s_cbranch_scc0 .LBB25_1478
; %bb.1469:
	s_cmp_lt_i32 s0, 24
	s_cbranch_scc1 .LBB25_1481
; %bb.1470:
	s_cmp_gt_i32 s0, 24
	s_cbranch_scc0 .LBB25_1482
; %bb.1471:
	global_load_ubyte v16, v[8:9], off
	s_mov_b32 s6, exec_lo
	s_waitcnt vmcnt(0)
	v_cmpx_lt_i16_e32 0x7f, v16
	s_xor_b32 s6, exec_lo, s6
	s_cbranch_execz .LBB25_1494
; %bb.1472:
	s_mov_b32 s5, -1
	s_mov_b32 s7, exec_lo
	v_cmpx_eq_u16_e32 0x80, v16
; %bb.1473:
	s_xor_b32 s5, exec_lo, -1
; %bb.1474:
	s_or_b32 exec_lo, exec_lo, s7
	s_and_b32 s5, s5, exec_lo
	s_or_saveexec_b32 s6, s6
	v_mov_b32_e32 v15, 0x7e00
	s_xor_b32 exec_lo, exec_lo, s6
	s_cbranch_execnz .LBB25_1495
.LBB25_1475:
	s_or_b32 exec_lo, exec_lo, s6
	s_and_saveexec_b32 s6, s5
	s_cbranch_execz .LBB25_1477
.LBB25_1476:
	v_and_b32_e32 v15, 0xffff, v16
	v_lshlrev_b32_e32 v16, 24, v16
	v_and_b32_e32 v17, 3, v15
	v_bfe_u32 v20, v15, 2, 5
	v_and_b32_e32 v16, 0x80000000, v16
	v_ffbh_u32_e32 v18, v17
	v_cmp_eq_u32_e32 vcc_lo, 0, v20
	v_min_u32_e32 v18, 32, v18
	v_subrev_nc_u32_e32 v19, 29, v18
	v_sub_nc_u32_e32 v18, 30, v18
	v_lshlrev_b32_e32 v15, v19, v15
	v_cndmask_b32_e32 v18, v20, v18, vcc_lo
	v_and_b32_e32 v15, 3, v15
	v_cndmask_b32_e32 v15, v17, v15, vcc_lo
	v_lshl_add_u32 v17, v18, 23, 0x37800000
	v_lshlrev_b32_e32 v15, 21, v15
	v_or3_b32 v15, v16, v17, v15
	v_cvt_f16_f32_e32 v15, v15
.LBB25_1477:
	s_or_b32 exec_lo, exec_lo, s6
	s_mov_b32 s5, 0
	s_branch .LBB25_1483
.LBB25_1478:
	s_mov_b32 s5, -1
                                        ; implicit-def: $vgpr15
	s_branch .LBB25_1489
.LBB25_1479:
	s_or_saveexec_b32 s7, s7
	v_mov_b32_e32 v15, 0x7e00
	s_xor_b32 exec_lo, exec_lo, s7
	s_cbranch_execz .LBB25_1462
.LBB25_1480:
	v_cmp_ne_u16_e32 vcc_lo, 0, v16
	v_mov_b32_e32 v15, v16
	s_andn2_b32 s6, s6, exec_lo
	s_and_b32 s14, vcc_lo, exec_lo
	s_or_b32 s6, s6, s14
	s_or_b32 exec_lo, exec_lo, s7
	s_and_saveexec_b32 s7, s6
	s_cbranch_execnz .LBB25_1463
	s_branch .LBB25_1464
.LBB25_1481:
	s_mov_b32 s5, -1
                                        ; implicit-def: $vgpr15
	s_branch .LBB25_1486
.LBB25_1482:
	s_mov_b32 s5, -1
                                        ; implicit-def: $vgpr15
.LBB25_1483:
	s_and_b32 vcc_lo, exec_lo, s5
	s_cbranch_vccz .LBB25_1485
; %bb.1484:
	global_load_ubyte v15, v[8:9], off
	s_waitcnt vmcnt(0)
	v_lshlrev_b32_e32 v15, 24, v15
	v_and_b32_e32 v16, 0x7f000000, v15
	v_ffbh_u32_e32 v17, v16
	v_add_nc_u32_e32 v19, 0x1000000, v16
	v_cmp_ne_u32_e32 vcc_lo, 0, v16
	v_min_u32_e32 v17, 32, v17
	v_sub_nc_u32_e64 v17, v17, 4 clamp
	v_lshlrev_b32_e32 v18, v17, v16
	v_lshlrev_b32_e32 v17, 23, v17
	v_lshrrev_b32_e32 v18, 4, v18
	v_sub_nc_u32_e32 v17, v18, v17
	v_ashrrev_i32_e32 v18, 8, v19
	v_add_nc_u32_e32 v17, 0x3c000000, v17
	v_and_or_b32 v17, 0x7f800000, v18, v17
	v_cndmask_b32_e32 v16, 0, v17, vcc_lo
	v_and_or_b32 v15, 0x80000000, v15, v16
	v_cvt_f16_f32_e32 v15, v15
.LBB25_1485:
	s_mov_b32 s5, 0
.LBB25_1486:
	s_andn2_b32 vcc_lo, exec_lo, s5
	s_cbranch_vccnz .LBB25_1488
; %bb.1487:
	global_load_ubyte v15, v[8:9], off
	s_waitcnt vmcnt(0)
	v_lshlrev_b32_e32 v16, 25, v15
	v_lshlrev_b16 v15, 8, v15
	v_lshrrev_b32_e32 v17, 4, v16
	v_and_or_b32 v18, 0x7f00, v15, 0.5
	v_cmp_gt_u32_e32 vcc_lo, 0x8000000, v16
	v_bfe_i32 v15, v15, 0, 16
	v_or_b32_e32 v17, 0x70000000, v17
	v_add_f32_e32 v18, -0.5, v18
	v_mul_f32_e32 v17, 0x7800000, v17
	v_cndmask_b32_e32 v16, v17, v18, vcc_lo
	v_and_or_b32 v15, 0x80000000, v15, v16
	v_cvt_f16_f32_e32 v15, v15
.LBB25_1488:
	s_mov_b32 s5, 0
	s_mov_b32 s6, -1
.LBB25_1489:
	s_andn2_b32 vcc_lo, exec_lo, s5
	s_mov_b32 s5, 0
	s_cbranch_vccnz .LBB25_1500
; %bb.1490:
	s_cmp_gt_i32 s0, 14
	s_cbranch_scc0 .LBB25_1493
; %bb.1491:
	s_cmp_eq_u32 s0, 15
	s_cbranch_scc0 .LBB25_1496
; %bb.1492:
	global_load_ushort v15, v[8:9], off
	s_mov_b32 s1, 0
	s_mov_b32 s6, -1
	s_waitcnt vmcnt(0)
	v_lshlrev_b32_e32 v15, 16, v15
	v_cvt_f16_f32_e32 v15, v15
	s_branch .LBB25_1498
.LBB25_1493:
	s_mov_b32 s5, -1
	s_branch .LBB25_1497
.LBB25_1494:
	s_or_saveexec_b32 s6, s6
	v_mov_b32_e32 v15, 0x7e00
	s_xor_b32 exec_lo, exec_lo, s6
	s_cbranch_execz .LBB25_1475
.LBB25_1495:
	v_cmp_ne_u16_e32 vcc_lo, 0, v16
	v_mov_b32_e32 v15, v16
	s_andn2_b32 s5, s5, exec_lo
	s_and_b32 s7, vcc_lo, exec_lo
	s_or_b32 s5, s5, s7
	s_or_b32 exec_lo, exec_lo, s6
	s_and_saveexec_b32 s6, s5
	s_cbranch_execnz .LBB25_1476
	s_branch .LBB25_1477
.LBB25_1496:
	s_mov_b32 s1, -1
.LBB25_1497:
                                        ; implicit-def: $vgpr15
.LBB25_1498:
	s_and_b32 vcc_lo, exec_lo, s5
	s_mov_b32 s5, 0
	s_cbranch_vccz .LBB25_1500
; %bb.1499:
	s_cmp_lg_u32 s0, 11
	s_mov_b32 s5, -1
	s_cselect_b32 s1, -1, 0
.LBB25_1500:
	s_and_b32 vcc_lo, exec_lo, s1
	s_cbranch_vccnz .LBB25_1567
; %bb.1501:
	s_andn2_b32 vcc_lo, exec_lo, s5
	s_cbranch_vccnz .LBB25_1503
.LBB25_1502:
	global_load_ubyte v15, v[8:9], off
	s_mov_b32 s6, -1
	s_waitcnt vmcnt(0)
	v_cmp_ne_u16_e32 vcc_lo, 0, v15
	v_cndmask_b32_e64 v15, 0, 0x3c00, vcc_lo
.LBB25_1503:
	s_branch .LBB25_1430
.LBB25_1504:
	s_and_b32 s0, 0xffff, s4
	s_cmp_lt_i32 s0, 5
	s_cbranch_scc1 .LBB25_1509
; %bb.1505:
	s_cmp_lt_i32 s0, 8
	s_cbranch_scc1 .LBB25_1510
; %bb.1506:
	;; [unrolled: 3-line block ×3, first 2 shown]
	s_cmp_gt_i32 s0, 9
	s_cbranch_scc0 .LBB25_1512
; %bb.1508:
	global_load_dwordx2 v[15:16], v[8:9], off
	s_mov_b32 s1, 0
	s_waitcnt vmcnt(0)
	v_and_or_b32 v15, 0x1ff, v16, v15
	v_lshrrev_b32_e32 v17, 8, v16
	v_bfe_u32 v18, v16, 20, 11
	v_lshrrev_b32_e32 v16, 16, v16
	v_cmp_ne_u32_e32 vcc_lo, 0, v15
	v_sub_nc_u32_e32 v19, 0x3f1, v18
	v_add_nc_u32_e32 v18, 0xfffffc10, v18
	v_cndmask_b32_e64 v15, 0, 1, vcc_lo
	v_and_or_b32 v15, 0xffe, v17, v15
	v_med3_i32 v17, v19, 0, 13
	v_or_b32_e32 v19, 0x1000, v15
	v_lshrrev_b32_e32 v20, v17, v19
	v_lshlrev_b32_e32 v17, v17, v20
	v_cmp_ne_u32_e32 vcc_lo, v17, v19
	v_lshl_or_b32 v19, v18, 12, v15
	v_cndmask_b32_e64 v17, 0, 1, vcc_lo
	v_cmp_gt_i32_e32 vcc_lo, 1, v18
	v_or_b32_e32 v17, v20, v17
	v_cndmask_b32_e32 v17, v19, v17, vcc_lo
	v_and_b32_e32 v19, 7, v17
	v_lshrrev_b32_e32 v17, 2, v17
	v_cmp_lt_i32_e32 vcc_lo, 5, v19
	v_cndmask_b32_e64 v20, 0, 1, vcc_lo
	v_cmp_eq_u32_e32 vcc_lo, 3, v19
	v_cndmask_b32_e64 v19, 0, 1, vcc_lo
	v_cmp_ne_u32_e32 vcc_lo, 0, v15
	v_or_b32_e32 v19, v19, v20
	v_mov_b32_e32 v20, 0x7e00
	v_add_nc_u32_e32 v17, v17, v19
	v_cndmask_b32_e32 v15, 0x7c00, v20, vcc_lo
	v_cmp_gt_i32_e32 vcc_lo, 31, v18
	v_cndmask_b32_e32 v17, 0x7c00, v17, vcc_lo
	v_cmp_eq_u32_e32 vcc_lo, 0x40f, v18
	v_cndmask_b32_e32 v15, v17, v15, vcc_lo
	v_and_or_b32 v15, 0x8000, v16, v15
	s_branch .LBB25_1513
.LBB25_1509:
	s_mov_b32 s1, -1
                                        ; implicit-def: $vgpr15
	s_branch .LBB25_1531
.LBB25_1510:
	s_mov_b32 s1, -1
                                        ; implicit-def: $vgpr15
	s_branch .LBB25_1519
.LBB25_1511:
	s_mov_b32 s1, -1
                                        ; implicit-def: $vgpr15
	s_branch .LBB25_1516
.LBB25_1512:
	s_mov_b32 s1, -1
                                        ; implicit-def: $vgpr15
.LBB25_1513:
	s_andn2_b32 vcc_lo, exec_lo, s1
	s_cbranch_vccnz .LBB25_1515
; %bb.1514:
	global_load_dword v15, v[8:9], off
	s_waitcnt vmcnt(0)
	v_cvt_f16_f32_e32 v15, v15
.LBB25_1515:
	s_mov_b32 s1, 0
.LBB25_1516:
	s_andn2_b32 vcc_lo, exec_lo, s1
	s_cbranch_vccnz .LBB25_1518
; %bb.1517:
	global_load_dword v15, v[8:9], off
.LBB25_1518:
	s_mov_b32 s1, 0
.LBB25_1519:
	s_andn2_b32 vcc_lo, exec_lo, s1
	s_cbranch_vccnz .LBB25_1530
; %bb.1520:
	s_cmp_lt_i32 s0, 6
	s_cbranch_scc1 .LBB25_1523
; %bb.1521:
	s_cmp_gt_i32 s0, 6
	s_cbranch_scc0 .LBB25_1524
; %bb.1522:
	global_load_dwordx2 v[15:16], v[8:9], off
	s_mov_b32 s1, 0
	s_waitcnt vmcnt(0)
	v_and_or_b32 v15, 0x1ff, v16, v15
	v_lshrrev_b32_e32 v17, 8, v16
	v_bfe_u32 v18, v16, 20, 11
	v_lshrrev_b32_e32 v16, 16, v16
	v_cmp_ne_u32_e32 vcc_lo, 0, v15
	v_sub_nc_u32_e32 v19, 0x3f1, v18
	v_add_nc_u32_e32 v18, 0xfffffc10, v18
	v_cndmask_b32_e64 v15, 0, 1, vcc_lo
	v_and_or_b32 v15, 0xffe, v17, v15
	v_med3_i32 v17, v19, 0, 13
	v_or_b32_e32 v19, 0x1000, v15
	v_lshrrev_b32_e32 v20, v17, v19
	v_lshlrev_b32_e32 v17, v17, v20
	v_cmp_ne_u32_e32 vcc_lo, v17, v19
	v_lshl_or_b32 v19, v18, 12, v15
	v_cndmask_b32_e64 v17, 0, 1, vcc_lo
	v_cmp_gt_i32_e32 vcc_lo, 1, v18
	v_or_b32_e32 v17, v20, v17
	v_cndmask_b32_e32 v17, v19, v17, vcc_lo
	v_and_b32_e32 v19, 7, v17
	v_lshrrev_b32_e32 v17, 2, v17
	v_cmp_lt_i32_e32 vcc_lo, 5, v19
	v_cndmask_b32_e64 v20, 0, 1, vcc_lo
	v_cmp_eq_u32_e32 vcc_lo, 3, v19
	v_cndmask_b32_e64 v19, 0, 1, vcc_lo
	v_cmp_ne_u32_e32 vcc_lo, 0, v15
	v_or_b32_e32 v19, v19, v20
	v_mov_b32_e32 v20, 0x7e00
	v_add_nc_u32_e32 v17, v17, v19
	v_cndmask_b32_e32 v15, 0x7c00, v20, vcc_lo
	v_cmp_gt_i32_e32 vcc_lo, 31, v18
	v_cndmask_b32_e32 v17, 0x7c00, v17, vcc_lo
	v_cmp_eq_u32_e32 vcc_lo, 0x40f, v18
	v_cndmask_b32_e32 v15, v17, v15, vcc_lo
	v_and_or_b32 v15, 0x8000, v16, v15
	s_branch .LBB25_1525
.LBB25_1523:
	s_mov_b32 s1, -1
                                        ; implicit-def: $vgpr15
	s_branch .LBB25_1528
.LBB25_1524:
	s_mov_b32 s1, -1
                                        ; implicit-def: $vgpr15
.LBB25_1525:
	s_andn2_b32 vcc_lo, exec_lo, s1
	s_cbranch_vccnz .LBB25_1527
; %bb.1526:
	global_load_dword v15, v[8:9], off
	s_waitcnt vmcnt(0)
	v_cvt_f16_f32_e32 v15, v15
.LBB25_1527:
	s_mov_b32 s1, 0
.LBB25_1528:
	s_andn2_b32 vcc_lo, exec_lo, s1
	s_cbranch_vccnz .LBB25_1530
; %bb.1529:
	global_load_ushort v15, v[8:9], off
.LBB25_1530:
	s_mov_b32 s1, 0
.LBB25_1531:
	s_andn2_b32 vcc_lo, exec_lo, s1
	s_cbranch_vccnz .LBB25_1551
; %bb.1532:
	s_cmp_lt_i32 s0, 2
	s_cbranch_scc1 .LBB25_1536
; %bb.1533:
	s_cmp_lt_i32 s0, 3
	s_cbranch_scc1 .LBB25_1537
; %bb.1534:
	s_cmp_gt_i32 s0, 3
	s_cbranch_scc0 .LBB25_1538
; %bb.1535:
	global_load_dwordx2 v[15:16], v[8:9], off
	s_mov_b32 s1, 0
	s_waitcnt vmcnt(0)
	v_xor_b32_e32 v17, v15, v16
	v_ffbh_i32_e32 v18, v16
	v_ashrrev_i32_e32 v17, 31, v17
	v_add_nc_u32_e32 v18, -1, v18
	v_add_nc_u32_e32 v17, 32, v17
	v_min_u32_e32 v17, v18, v17
	v_lshlrev_b64 v[15:16], v17, v[15:16]
	v_min_u32_e32 v15, 1, v15
	v_or_b32_e32 v15, v16, v15
	v_sub_nc_u32_e32 v16, 32, v17
	v_cvt_f32_i32_e32 v15, v15
	v_ldexp_f32 v15, v15, v16
	v_cvt_f16_f32_e32 v15, v15
	s_branch .LBB25_1539
.LBB25_1536:
	s_mov_b32 s1, -1
                                        ; implicit-def: $vgpr15
	s_branch .LBB25_1545
.LBB25_1537:
	s_mov_b32 s1, -1
                                        ; implicit-def: $vgpr15
	s_branch .LBB25_1542
.LBB25_1538:
	s_mov_b32 s1, -1
                                        ; implicit-def: $vgpr15
.LBB25_1539:
	s_andn2_b32 vcc_lo, exec_lo, s1
	s_cbranch_vccnz .LBB25_1541
; %bb.1540:
	global_load_dword v15, v[8:9], off
	s_waitcnt vmcnt(0)
	v_cvt_f32_i32_e32 v15, v15
	v_cvt_f16_f32_e32 v15, v15
.LBB25_1541:
	s_mov_b32 s1, 0
.LBB25_1542:
	s_andn2_b32 vcc_lo, exec_lo, s1
	s_cbranch_vccnz .LBB25_1544
; %bb.1543:
	global_load_ushort v15, v[8:9], off
	s_waitcnt vmcnt(0)
	v_cvt_f16_i16_e32 v15, v15
.LBB25_1544:
	s_mov_b32 s1, 0
.LBB25_1545:
	s_andn2_b32 vcc_lo, exec_lo, s1
	s_cbranch_vccnz .LBB25_1551
; %bb.1546:
	s_cmp_gt_i32 s0, 0
	s_mov_b32 s0, 0
	s_cbranch_scc0 .LBB25_1548
; %bb.1547:
	global_load_sbyte v15, v[8:9], off
	s_waitcnt vmcnt(0)
	v_cvt_f16_i16_e32 v15, v15
	s_branch .LBB25_1549
.LBB25_1548:
	s_mov_b32 s0, -1
                                        ; implicit-def: $vgpr15
.LBB25_1549:
	s_andn2_b32 vcc_lo, exec_lo, s0
	s_cbranch_vccnz .LBB25_1551
; %bb.1550:
	global_load_ubyte v8, v[8:9], off
	s_waitcnt vmcnt(0)
	v_cvt_f16_u16_e32 v15, v8
.LBB25_1551:
.LBB25_1552:
	s_waitcnt vmcnt(0)
	v_cvt_f32_f16_e32 v9, v15
                                        ; implicit-def: $vgpr17
                                        ; implicit-def: $vgpr16
	s_mov_b32 s1, exec_lo
	v_and_b32_e32 v15, 0x7fffffff, v9
	v_cmpx_ngt_f32_e64 0x48000000, |v9|
	s_xor_b32 s5, exec_lo, s1
	s_cbranch_execz .LBB25_1554
; %bb.1553:
	s_mov_b32 s0, 0x7fffff
	v_mov_b32_e32 v18, 0
	v_and_or_b32 v8, v15, s0, 0x800000
	v_lshrrev_b32_e32 v23, 23, v15
	v_mad_u64_u32 v[16:17], null, 0xfe5163ab, v8, 0
	v_add_nc_u32_e32 v24, 0xffffff88, v23
	v_cmp_lt_u32_e32 vcc_lo, 63, v24
	v_mad_u64_u32 v[19:20], null, 0x3c439041, v8, v[17:18]
	v_cndmask_b32_e64 v25, 0, 0xffffffc0, vcc_lo
	v_mov_b32_e32 v17, v20
	v_add_nc_u32_e32 v25, v25, v24
	v_mad_u64_u32 v[20:21], null, 0xdb629599, v8, v[17:18]
	v_cmp_lt_u32_e64 s0, 31, v25
	v_cndmask_b32_e64 v26, 0, 0xffffffe0, s0
	v_mov_b32_e32 v17, v21
	v_cndmask_b32_e32 v16, v20, v16, vcc_lo
	v_mad_u64_u32 v[21:22], null, 0xf534ddc0, v8, v[17:18]
	v_mov_b32_e32 v17, v22
	v_cndmask_b32_e32 v19, v21, v19, vcc_lo
	v_mad_u64_u32 v[22:23], null, 0xfc2757d1, v8, v[17:18]
	v_cndmask_b32_e64 v16, v19, v16, s0
	v_mov_b32_e32 v17, v23
	v_mad_u64_u32 v[23:24], null, 0x4e441529, v8, v[17:18]
	v_mov_b32_e32 v17, v24
	v_add_nc_u32_e32 v24, v26, v25
	v_cndmask_b32_e32 v25, v23, v21, vcc_lo
	v_mad_u64_u32 v[17:18], null, 0xa2f9836e, v8, v[17:18]
	v_cmp_lt_u32_e64 s1, 31, v24
	v_cndmask_b32_e64 v8, 0, 0xffffffe0, s1
	v_cndmask_b32_e32 v17, v17, v22, vcc_lo
	v_cndmask_b32_e32 v18, v18, v23, vcc_lo
	v_cndmask_b32_e32 v22, v22, v20, vcc_lo
	v_add_nc_u32_e32 v8, v8, v24
	v_cndmask_b32_e64 v21, v17, v25, s0
	v_cndmask_b32_e64 v17, v18, v17, s0
	;; [unrolled: 1-line block ×4, first 2 shown]
	v_sub_nc_u32_e32 v23, 32, v8
	v_cmp_eq_u32_e32 vcc_lo, 0, v8
	v_cndmask_b32_e64 v17, v17, v21, s1
	v_cndmask_b32_e64 v21, v21, v18, s1
	;; [unrolled: 1-line block ×4, first 2 shown]
	v_alignbit_b32 v24, v17, v21, v23
	v_alignbit_b32 v20, v21, v18, v23
	v_alignbit_b32 v22, v18, v16, v23
	v_cndmask_b32_e32 v8, v24, v17, vcc_lo
	v_cndmask_b32_e32 v17, v20, v21, vcc_lo
	;; [unrolled: 1-line block ×3, first 2 shown]
	v_bfe_u32 v19, v8, 29, 1
	v_alignbit_b32 v20, v8, v17, 30
	v_alignbit_b32 v17, v17, v18, 30
	;; [unrolled: 1-line block ×3, first 2 shown]
	v_sub_nc_u32_e32 v21, 0, v19
	v_xor_b32_e32 v20, v20, v21
	v_xor_b32_e32 v17, v17, v21
	;; [unrolled: 1-line block ×3, first 2 shown]
	v_lshrrev_b32_e32 v21, 29, v8
	v_lshrrev_b32_e32 v8, 30, v8
	v_ffbh_u32_e32 v22, v20
	v_min_u32_e32 v22, 32, v22
	v_sub_nc_u32_e32 v18, 31, v22
	v_lshlrev_b32_e32 v23, 23, v22
	v_alignbit_b32 v20, v20, v17, v18
	v_alignbit_b32 v16, v17, v16, v18
	v_lshlrev_b32_e32 v17, 31, v21
	v_alignbit_b32 v18, v20, v16, 9
	v_or_b32_e32 v21, 0.5, v17
	v_lshrrev_b32_e32 v20, 9, v20
	v_or_b32_e32 v17, 0x33000000, v17
	v_ffbh_u32_e32 v24, v18
	v_sub_nc_u32_e32 v21, v21, v23
	v_min_u32_e32 v23, 32, v24
	v_or_b32_e32 v20, v20, v21
	v_not_b32_e32 v21, v23
	v_mul_f32_e32 v24, 0x3fc90fda, v20
	v_add_lshl_u32 v22, v23, v22, 23
	v_alignbit_b32 v16, v18, v16, v21
	v_fma_f32 v18, 0x3fc90fda, v20, -v24
	v_sub_nc_u32_e32 v17, v17, v22
	v_lshrrev_b32_e32 v16, 9, v16
	v_fmamk_f32 v18, v20, 0x33a22168, v18
	v_or_b32_e32 v16, v17, v16
	v_add_nc_u32_e32 v17, v19, v8
	v_fmac_f32_e32 v18, 0x3fc90fda, v16
	v_add_f32_e32 v16, v24, v18
.LBB25_1554:
	s_andn2_saveexec_b32 s0, s5
; %bb.1555:
	v_mul_f32_e64 v8, 0x3f22f983, |v9|
	v_rndne_f32_e32 v8, v8
	v_fma_f32 v16, 0xbfc90fda, v8, |v9|
	v_cvt_i32_f32_e32 v17, v8
	v_fmamk_f32 v16, v8, 0xb3a22168, v16
	v_fmamk_f32 v16, v8, 0xa7c234c4, v16
; %bb.1556:
	s_or_b32 exec_lo, exec_lo, s0
	v_add_co_u32 v7, s0, s10, v7
	v_add_co_ci_u32_e64 v8, null, s11, 0, s0
	s_cmp_lt_i32 s4, 11
	s_cbranch_scc1 .LBB25_1563
; %bb.1557:
	s_and_b32 s0, 0xffff, s4
	s_mov_b32 s5, 0
	s_cmp_gt_i32 s0, 25
	s_cbranch_scc0 .LBB25_1564
; %bb.1558:
	s_cmp_gt_i32 s0, 28
	s_cbranch_scc0 .LBB25_1565
; %bb.1559:
	;; [unrolled: 3-line block ×4, first 2 shown]
	s_cmp_eq_u32 s0, 46
	s_mov_b32 s7, 0
	s_cbranch_scc0 .LBB25_1569
; %bb.1562:
	global_load_dword v18, v[7:8], off
	s_mov_b32 s1, 0
	s_mov_b32 s6, -1
	s_waitcnt vmcnt(0)
	v_lshlrev_b32_e32 v18, 16, v18
	v_cvt_f16_f32_e32 v18, v18
	s_branch .LBB25_1571
.LBB25_1563:
	s_mov_b32 s0, -1
	s_mov_b32 s6, 0
                                        ; implicit-def: $vgpr18
	s_branch .LBB25_1637
.LBB25_1564:
	s_mov_b32 s7, -1
	s_mov_b32 s6, 0
	s_mov_b32 s1, 0
                                        ; implicit-def: $vgpr18
	s_branch .LBB25_1600
.LBB25_1565:
	s_mov_b32 s7, -1
	s_mov_b32 s6, 0
	s_mov_b32 s1, 0
                                        ; implicit-def: $vgpr18
	s_branch .LBB25_1581
.LBB25_1566:
	s_mov_b32 s7, -1
	s_mov_b32 s6, 0
	s_mov_b32 s1, 0
                                        ; implicit-def: $vgpr18
	s_branch .LBB25_1576
.LBB25_1567:
	s_or_b32 s2, s2, exec_lo
	s_trap 2
	s_cbranch_execz .LBB25_1502
	s_branch .LBB25_1503
.LBB25_1568:
	s_mov_b32 s7, -1
	s_mov_b32 s6, 0
	s_mov_b32 s1, 0
	s_branch .LBB25_1570
.LBB25_1569:
	s_mov_b32 s1, -1
	s_mov_b32 s6, 0
.LBB25_1570:
                                        ; implicit-def: $vgpr18
.LBB25_1571:
	s_and_b32 vcc_lo, exec_lo, s7
	s_cbranch_vccz .LBB25_1575
; %bb.1572:
	s_cmp_eq_u32 s0, 44
	s_cbranch_scc0 .LBB25_1574
; %bb.1573:
	global_load_ubyte v18, v[7:8], off
	s_mov_b32 s1, 0
	s_mov_b32 s6, -1
	s_waitcnt vmcnt(0)
	v_lshlrev_b32_e32 v19, 23, v18
	v_cmp_ne_u32_e32 vcc_lo, 0xff, v18
	v_cvt_f16_f32_e32 v19, v19
	v_cndmask_b32_e32 v19, 0x7e00, v19, vcc_lo
	v_cmp_ne_u32_e32 vcc_lo, 0, v18
	v_cndmask_b32_e32 v18, 0, v19, vcc_lo
	s_branch .LBB25_1575
.LBB25_1574:
	s_mov_b32 s1, -1
                                        ; implicit-def: $vgpr18
.LBB25_1575:
	s_mov_b32 s7, 0
.LBB25_1576:
	s_and_b32 vcc_lo, exec_lo, s7
	s_cbranch_vccz .LBB25_1580
; %bb.1577:
	s_cmp_eq_u32 s0, 29
	s_cbranch_scc0 .LBB25_1579
; %bb.1578:
	global_load_dwordx2 v[18:19], v[7:8], off
	s_mov_b32 s1, 0
	s_mov_b32 s6, -1
	s_mov_b32 s7, 0
	s_waitcnt vmcnt(0)
	v_ffbh_u32_e32 v20, v19
	v_min_u32_e32 v20, 32, v20
	v_lshlrev_b64 v[18:19], v20, v[18:19]
	v_min_u32_e32 v18, 1, v18
	v_or_b32_e32 v18, v19, v18
	v_sub_nc_u32_e32 v19, 32, v20
	v_cvt_f32_u32_e32 v18, v18
	v_ldexp_f32 v18, v18, v19
	v_cvt_f16_f32_e32 v18, v18
	s_branch .LBB25_1581
.LBB25_1579:
	s_mov_b32 s1, -1
                                        ; implicit-def: $vgpr18
.LBB25_1580:
	s_mov_b32 s7, 0
.LBB25_1581:
	s_and_b32 vcc_lo, exec_lo, s7
	s_cbranch_vccz .LBB25_1599
; %bb.1582:
	s_cmp_lt_i32 s0, 27
	s_cbranch_scc1 .LBB25_1585
; %bb.1583:
	s_cmp_gt_i32 s0, 27
	s_cbranch_scc0 .LBB25_1586
; %bb.1584:
	global_load_dword v18, v[7:8], off
	s_mov_b32 s6, 0
	s_waitcnt vmcnt(0)
	v_cvt_f32_u32_e32 v18, v18
	v_cvt_f16_f32_e32 v18, v18
	s_branch .LBB25_1587
.LBB25_1585:
	s_mov_b32 s6, -1
                                        ; implicit-def: $vgpr18
	s_branch .LBB25_1590
.LBB25_1586:
	s_mov_b32 s6, -1
                                        ; implicit-def: $vgpr18
.LBB25_1587:
	s_andn2_b32 vcc_lo, exec_lo, s6
	s_cbranch_vccnz .LBB25_1589
; %bb.1588:
	global_load_ushort v18, v[7:8], off
	s_waitcnt vmcnt(0)
	v_cvt_f16_u16_e32 v18, v18
.LBB25_1589:
	s_mov_b32 s6, 0
.LBB25_1590:
	s_andn2_b32 vcc_lo, exec_lo, s6
	s_cbranch_vccnz .LBB25_1598
; %bb.1591:
	global_load_ubyte v19, v[7:8], off
	s_mov_b32 s6, 0
	s_mov_b32 s7, exec_lo
	s_waitcnt vmcnt(0)
	v_cmpx_lt_i16_e32 0x7f, v19
	s_xor_b32 s7, exec_lo, s7
	s_cbranch_execz .LBB25_1612
; %bb.1592:
	s_mov_b32 s6, -1
	s_mov_b32 s10, exec_lo
	v_cmpx_eq_u16_e32 0x80, v19
; %bb.1593:
	s_xor_b32 s6, exec_lo, -1
; %bb.1594:
	s_or_b32 exec_lo, exec_lo, s10
	s_and_b32 s6, s6, exec_lo
	s_or_saveexec_b32 s7, s7
	v_mov_b32_e32 v18, 0x7e00
	s_xor_b32 exec_lo, exec_lo, s7
	s_cbranch_execnz .LBB25_1613
.LBB25_1595:
	s_or_b32 exec_lo, exec_lo, s7
	s_and_saveexec_b32 s7, s6
	s_cbranch_execz .LBB25_1597
.LBB25_1596:
	v_and_b32_e32 v18, 0xffff, v19
	v_lshlrev_b32_e32 v19, 24, v19
	v_and_b32_e32 v20, 7, v18
	v_bfe_u32 v23, v18, 3, 4
	v_and_b32_e32 v19, 0x80000000, v19
	v_ffbh_u32_e32 v21, v20
	v_cmp_eq_u32_e32 vcc_lo, 0, v23
	v_min_u32_e32 v21, 32, v21
	v_subrev_nc_u32_e32 v22, 28, v21
	v_sub_nc_u32_e32 v21, 29, v21
	v_lshlrev_b32_e32 v18, v22, v18
	v_cndmask_b32_e32 v21, v23, v21, vcc_lo
	v_and_b32_e32 v18, 7, v18
	v_cndmask_b32_e32 v18, v20, v18, vcc_lo
	v_lshl_add_u32 v20, v21, 23, 0x3b800000
	v_lshlrev_b32_e32 v18, 20, v18
	v_or3_b32 v18, v19, v20, v18
	v_cvt_f16_f32_e32 v18, v18
.LBB25_1597:
	s_or_b32 exec_lo, exec_lo, s7
.LBB25_1598:
	s_mov_b32 s6, -1
.LBB25_1599:
	s_mov_b32 s7, 0
.LBB25_1600:
	s_and_b32 vcc_lo, exec_lo, s7
	s_cbranch_vccz .LBB25_1633
; %bb.1601:
	s_cmp_gt_i32 s0, 22
	s_cbranch_scc0 .LBB25_1611
; %bb.1602:
	s_cmp_lt_i32 s0, 24
	s_cbranch_scc1 .LBB25_1614
; %bb.1603:
	s_cmp_gt_i32 s0, 24
	s_cbranch_scc0 .LBB25_1615
; %bb.1604:
	global_load_ubyte v19, v[7:8], off
	s_mov_b32 s6, exec_lo
	s_waitcnt vmcnt(0)
	v_cmpx_lt_i16_e32 0x7f, v19
	s_xor_b32 s6, exec_lo, s6
	s_cbranch_execz .LBB25_1627
; %bb.1605:
	s_mov_b32 s5, -1
	s_mov_b32 s7, exec_lo
	v_cmpx_eq_u16_e32 0x80, v19
; %bb.1606:
	s_xor_b32 s5, exec_lo, -1
; %bb.1607:
	s_or_b32 exec_lo, exec_lo, s7
	s_and_b32 s5, s5, exec_lo
	s_or_saveexec_b32 s6, s6
	v_mov_b32_e32 v18, 0x7e00
	s_xor_b32 exec_lo, exec_lo, s6
	s_cbranch_execnz .LBB25_1628
.LBB25_1608:
	s_or_b32 exec_lo, exec_lo, s6
	s_and_saveexec_b32 s6, s5
	s_cbranch_execz .LBB25_1610
.LBB25_1609:
	v_and_b32_e32 v18, 0xffff, v19
	v_lshlrev_b32_e32 v19, 24, v19
	v_and_b32_e32 v20, 3, v18
	v_bfe_u32 v23, v18, 2, 5
	v_and_b32_e32 v19, 0x80000000, v19
	v_ffbh_u32_e32 v21, v20
	v_cmp_eq_u32_e32 vcc_lo, 0, v23
	v_min_u32_e32 v21, 32, v21
	v_subrev_nc_u32_e32 v22, 29, v21
	v_sub_nc_u32_e32 v21, 30, v21
	v_lshlrev_b32_e32 v18, v22, v18
	v_cndmask_b32_e32 v21, v23, v21, vcc_lo
	v_and_b32_e32 v18, 3, v18
	v_cndmask_b32_e32 v18, v20, v18, vcc_lo
	v_lshl_add_u32 v20, v21, 23, 0x37800000
	v_lshlrev_b32_e32 v18, 21, v18
	v_or3_b32 v18, v19, v20, v18
	v_cvt_f16_f32_e32 v18, v18
.LBB25_1610:
	s_or_b32 exec_lo, exec_lo, s6
	s_mov_b32 s5, 0
	s_branch .LBB25_1616
.LBB25_1611:
	s_mov_b32 s5, -1
                                        ; implicit-def: $vgpr18
	s_branch .LBB25_1622
.LBB25_1612:
	s_or_saveexec_b32 s7, s7
	v_mov_b32_e32 v18, 0x7e00
	s_xor_b32 exec_lo, exec_lo, s7
	s_cbranch_execz .LBB25_1595
.LBB25_1613:
	v_cmp_ne_u16_e32 vcc_lo, 0, v19
	v_mov_b32_e32 v18, v19
	s_andn2_b32 s6, s6, exec_lo
	s_and_b32 s10, vcc_lo, exec_lo
	s_or_b32 s6, s6, s10
	s_or_b32 exec_lo, exec_lo, s7
	s_and_saveexec_b32 s7, s6
	s_cbranch_execnz .LBB25_1596
	s_branch .LBB25_1597
.LBB25_1614:
	s_mov_b32 s5, -1
                                        ; implicit-def: $vgpr18
	s_branch .LBB25_1619
.LBB25_1615:
	s_mov_b32 s5, -1
                                        ; implicit-def: $vgpr18
.LBB25_1616:
	s_and_b32 vcc_lo, exec_lo, s5
	s_cbranch_vccz .LBB25_1618
; %bb.1617:
	global_load_ubyte v18, v[7:8], off
	s_waitcnt vmcnt(0)
	v_lshlrev_b32_e32 v18, 24, v18
	v_and_b32_e32 v19, 0x7f000000, v18
	v_ffbh_u32_e32 v20, v19
	v_add_nc_u32_e32 v22, 0x1000000, v19
	v_cmp_ne_u32_e32 vcc_lo, 0, v19
	v_min_u32_e32 v20, 32, v20
	v_sub_nc_u32_e64 v20, v20, 4 clamp
	v_lshlrev_b32_e32 v21, v20, v19
	v_lshlrev_b32_e32 v20, 23, v20
	v_lshrrev_b32_e32 v21, 4, v21
	v_sub_nc_u32_e32 v20, v21, v20
	v_ashrrev_i32_e32 v21, 8, v22
	v_add_nc_u32_e32 v20, 0x3c000000, v20
	v_and_or_b32 v20, 0x7f800000, v21, v20
	v_cndmask_b32_e32 v19, 0, v20, vcc_lo
	v_and_or_b32 v18, 0x80000000, v18, v19
	v_cvt_f16_f32_e32 v18, v18
.LBB25_1618:
	s_mov_b32 s5, 0
.LBB25_1619:
	s_andn2_b32 vcc_lo, exec_lo, s5
	s_cbranch_vccnz .LBB25_1621
; %bb.1620:
	global_load_ubyte v18, v[7:8], off
	s_waitcnt vmcnt(0)
	v_lshlrev_b32_e32 v19, 25, v18
	v_lshlrev_b16 v18, 8, v18
	v_lshrrev_b32_e32 v20, 4, v19
	v_and_or_b32 v21, 0x7f00, v18, 0.5
	v_cmp_gt_u32_e32 vcc_lo, 0x8000000, v19
	v_bfe_i32 v18, v18, 0, 16
	v_or_b32_e32 v20, 0x70000000, v20
	v_add_f32_e32 v21, -0.5, v21
	v_mul_f32_e32 v20, 0x7800000, v20
	v_cndmask_b32_e32 v19, v20, v21, vcc_lo
	v_and_or_b32 v18, 0x80000000, v18, v19
	v_cvt_f16_f32_e32 v18, v18
.LBB25_1621:
	s_mov_b32 s5, 0
	s_mov_b32 s6, -1
.LBB25_1622:
	s_andn2_b32 vcc_lo, exec_lo, s5
	s_mov_b32 s5, 0
	s_cbranch_vccnz .LBB25_1633
; %bb.1623:
	s_cmp_gt_i32 s0, 14
	s_cbranch_scc0 .LBB25_1626
; %bb.1624:
	s_cmp_eq_u32 s0, 15
	s_cbranch_scc0 .LBB25_1629
; %bb.1625:
	global_load_ushort v18, v[7:8], off
	s_mov_b32 s1, 0
	s_mov_b32 s6, -1
	s_waitcnt vmcnt(0)
	v_lshlrev_b32_e32 v18, 16, v18
	v_cvt_f16_f32_e32 v18, v18
	s_branch .LBB25_1631
.LBB25_1626:
	s_mov_b32 s5, -1
	s_branch .LBB25_1630
.LBB25_1627:
	s_or_saveexec_b32 s6, s6
	v_mov_b32_e32 v18, 0x7e00
	s_xor_b32 exec_lo, exec_lo, s6
	s_cbranch_execz .LBB25_1608
.LBB25_1628:
	v_cmp_ne_u16_e32 vcc_lo, 0, v19
	v_mov_b32_e32 v18, v19
	s_andn2_b32 s5, s5, exec_lo
	s_and_b32 s7, vcc_lo, exec_lo
	s_or_b32 s5, s5, s7
	s_or_b32 exec_lo, exec_lo, s6
	s_and_saveexec_b32 s6, s5
	s_cbranch_execnz .LBB25_1609
	s_branch .LBB25_1610
.LBB25_1629:
	s_mov_b32 s1, -1
.LBB25_1630:
                                        ; implicit-def: $vgpr18
.LBB25_1631:
	s_and_b32 vcc_lo, exec_lo, s5
	s_mov_b32 s5, 0
	s_cbranch_vccz .LBB25_1633
; %bb.1632:
	s_cmp_lg_u32 s0, 11
	s_mov_b32 s5, -1
	s_cselect_b32 s1, -1, 0
.LBB25_1633:
	s_and_b32 vcc_lo, exec_lo, s1
	s_cbranch_vccnz .LBB25_2166
; %bb.1634:
	s_andn2_b32 vcc_lo, exec_lo, s5
	s_cbranch_vccnz .LBB25_1636
.LBB25_1635:
	global_load_ubyte v18, v[7:8], off
	s_mov_b32 s6, -1
	s_waitcnt vmcnt(0)
	v_cmp_ne_u16_e32 vcc_lo, 0, v18
	v_cndmask_b32_e64 v18, 0, 0x3c00, vcc_lo
.LBB25_1636:
	s_mov_b32 s0, 0
.LBB25_1637:
	s_and_b32 vcc_lo, exec_lo, s0
	s_cbranch_vccz .LBB25_1686
; %bb.1638:
	s_and_b32 s0, 0xffff, s4
	s_cmp_lt_i32 s0, 5
	s_cbranch_scc1 .LBB25_1643
; %bb.1639:
	s_cmp_lt_i32 s0, 8
	s_cbranch_scc1 .LBB25_1644
; %bb.1640:
	s_cmp_lt_i32 s0, 9
	s_cbranch_scc1 .LBB25_1645
; %bb.1641:
	s_cmp_gt_i32 s0, 9
	s_cbranch_scc0 .LBB25_1646
; %bb.1642:
	global_load_dwordx2 v[18:19], v[7:8], off
	s_mov_b32 s1, 0
	s_waitcnt vmcnt(0)
	v_and_or_b32 v18, 0x1ff, v19, v18
	v_lshrrev_b32_e32 v20, 8, v19
	v_bfe_u32 v21, v19, 20, 11
	v_lshrrev_b32_e32 v19, 16, v19
	v_cmp_ne_u32_e32 vcc_lo, 0, v18
	v_sub_nc_u32_e32 v22, 0x3f1, v21
	v_add_nc_u32_e32 v21, 0xfffffc10, v21
	v_cndmask_b32_e64 v18, 0, 1, vcc_lo
	v_and_or_b32 v18, 0xffe, v20, v18
	v_med3_i32 v20, v22, 0, 13
	v_or_b32_e32 v22, 0x1000, v18
	v_lshrrev_b32_e32 v23, v20, v22
	v_lshlrev_b32_e32 v20, v20, v23
	v_cmp_ne_u32_e32 vcc_lo, v20, v22
	v_lshl_or_b32 v22, v21, 12, v18
	v_cndmask_b32_e64 v20, 0, 1, vcc_lo
	v_cmp_gt_i32_e32 vcc_lo, 1, v21
	v_or_b32_e32 v20, v23, v20
	v_cndmask_b32_e32 v20, v22, v20, vcc_lo
	v_and_b32_e32 v22, 7, v20
	v_lshrrev_b32_e32 v20, 2, v20
	v_cmp_lt_i32_e32 vcc_lo, 5, v22
	v_cndmask_b32_e64 v23, 0, 1, vcc_lo
	v_cmp_eq_u32_e32 vcc_lo, 3, v22
	v_cndmask_b32_e64 v22, 0, 1, vcc_lo
	v_cmp_ne_u32_e32 vcc_lo, 0, v18
	v_or_b32_e32 v22, v22, v23
	v_mov_b32_e32 v23, 0x7e00
	v_add_nc_u32_e32 v20, v20, v22
	v_cndmask_b32_e32 v18, 0x7c00, v23, vcc_lo
	v_cmp_gt_i32_e32 vcc_lo, 31, v21
	v_cndmask_b32_e32 v20, 0x7c00, v20, vcc_lo
	v_cmp_eq_u32_e32 vcc_lo, 0x40f, v21
	v_cndmask_b32_e32 v18, v20, v18, vcc_lo
	v_and_or_b32 v18, 0x8000, v19, v18
	s_branch .LBB25_1647
.LBB25_1643:
	s_mov_b32 s1, -1
                                        ; implicit-def: $vgpr18
	s_branch .LBB25_1665
.LBB25_1644:
	s_mov_b32 s1, -1
                                        ; implicit-def: $vgpr18
	s_branch .LBB25_1653
.LBB25_1645:
	s_mov_b32 s1, -1
                                        ; implicit-def: $vgpr18
	s_branch .LBB25_1650
.LBB25_1646:
	s_mov_b32 s1, -1
                                        ; implicit-def: $vgpr18
.LBB25_1647:
	s_andn2_b32 vcc_lo, exec_lo, s1
	s_cbranch_vccnz .LBB25_1649
; %bb.1648:
	global_load_dword v18, v[7:8], off
	s_waitcnt vmcnt(0)
	v_cvt_f16_f32_e32 v18, v18
.LBB25_1649:
	s_mov_b32 s1, 0
.LBB25_1650:
	s_andn2_b32 vcc_lo, exec_lo, s1
	s_cbranch_vccnz .LBB25_1652
; %bb.1651:
	global_load_dword v18, v[7:8], off
.LBB25_1652:
	s_mov_b32 s1, 0
.LBB25_1653:
	s_andn2_b32 vcc_lo, exec_lo, s1
	s_cbranch_vccnz .LBB25_1664
; %bb.1654:
	s_cmp_lt_i32 s0, 6
	s_cbranch_scc1 .LBB25_1657
; %bb.1655:
	s_cmp_gt_i32 s0, 6
	s_cbranch_scc0 .LBB25_1658
; %bb.1656:
	global_load_dwordx2 v[18:19], v[7:8], off
	s_mov_b32 s1, 0
	s_waitcnt vmcnt(0)
	v_and_or_b32 v18, 0x1ff, v19, v18
	v_lshrrev_b32_e32 v20, 8, v19
	v_bfe_u32 v21, v19, 20, 11
	v_lshrrev_b32_e32 v19, 16, v19
	v_cmp_ne_u32_e32 vcc_lo, 0, v18
	v_sub_nc_u32_e32 v22, 0x3f1, v21
	v_add_nc_u32_e32 v21, 0xfffffc10, v21
	v_cndmask_b32_e64 v18, 0, 1, vcc_lo
	v_and_or_b32 v18, 0xffe, v20, v18
	v_med3_i32 v20, v22, 0, 13
	v_or_b32_e32 v22, 0x1000, v18
	v_lshrrev_b32_e32 v23, v20, v22
	v_lshlrev_b32_e32 v20, v20, v23
	v_cmp_ne_u32_e32 vcc_lo, v20, v22
	v_lshl_or_b32 v22, v21, 12, v18
	v_cndmask_b32_e64 v20, 0, 1, vcc_lo
	v_cmp_gt_i32_e32 vcc_lo, 1, v21
	v_or_b32_e32 v20, v23, v20
	v_cndmask_b32_e32 v20, v22, v20, vcc_lo
	v_and_b32_e32 v22, 7, v20
	v_lshrrev_b32_e32 v20, 2, v20
	v_cmp_lt_i32_e32 vcc_lo, 5, v22
	v_cndmask_b32_e64 v23, 0, 1, vcc_lo
	v_cmp_eq_u32_e32 vcc_lo, 3, v22
	v_cndmask_b32_e64 v22, 0, 1, vcc_lo
	v_cmp_ne_u32_e32 vcc_lo, 0, v18
	v_or_b32_e32 v22, v22, v23
	v_mov_b32_e32 v23, 0x7e00
	v_add_nc_u32_e32 v20, v20, v22
	v_cndmask_b32_e32 v18, 0x7c00, v23, vcc_lo
	v_cmp_gt_i32_e32 vcc_lo, 31, v21
	v_cndmask_b32_e32 v20, 0x7c00, v20, vcc_lo
	v_cmp_eq_u32_e32 vcc_lo, 0x40f, v21
	v_cndmask_b32_e32 v18, v20, v18, vcc_lo
	v_and_or_b32 v18, 0x8000, v19, v18
	s_branch .LBB25_1659
.LBB25_1657:
	s_mov_b32 s1, -1
                                        ; implicit-def: $vgpr18
	s_branch .LBB25_1662
.LBB25_1658:
	s_mov_b32 s1, -1
                                        ; implicit-def: $vgpr18
.LBB25_1659:
	s_andn2_b32 vcc_lo, exec_lo, s1
	s_cbranch_vccnz .LBB25_1661
; %bb.1660:
	global_load_dword v18, v[7:8], off
	s_waitcnt vmcnt(0)
	v_cvt_f16_f32_e32 v18, v18
.LBB25_1661:
	s_mov_b32 s1, 0
.LBB25_1662:
	s_andn2_b32 vcc_lo, exec_lo, s1
	s_cbranch_vccnz .LBB25_1664
; %bb.1663:
	global_load_ushort v18, v[7:8], off
.LBB25_1664:
	s_mov_b32 s1, 0
.LBB25_1665:
	s_andn2_b32 vcc_lo, exec_lo, s1
	s_cbranch_vccnz .LBB25_1685
; %bb.1666:
	s_cmp_lt_i32 s0, 2
	s_cbranch_scc1 .LBB25_1670
; %bb.1667:
	s_cmp_lt_i32 s0, 3
	s_cbranch_scc1 .LBB25_1671
; %bb.1668:
	s_cmp_gt_i32 s0, 3
	s_cbranch_scc0 .LBB25_1672
; %bb.1669:
	global_load_dwordx2 v[18:19], v[7:8], off
	s_mov_b32 s1, 0
	s_waitcnt vmcnt(0)
	v_xor_b32_e32 v20, v18, v19
	v_ffbh_i32_e32 v21, v19
	v_ashrrev_i32_e32 v20, 31, v20
	v_add_nc_u32_e32 v21, -1, v21
	v_add_nc_u32_e32 v20, 32, v20
	v_min_u32_e32 v20, v21, v20
	v_lshlrev_b64 v[18:19], v20, v[18:19]
	v_min_u32_e32 v18, 1, v18
	v_or_b32_e32 v18, v19, v18
	v_sub_nc_u32_e32 v19, 32, v20
	v_cvt_f32_i32_e32 v18, v18
	v_ldexp_f32 v18, v18, v19
	v_cvt_f16_f32_e32 v18, v18
	s_branch .LBB25_1673
.LBB25_1670:
	s_mov_b32 s1, -1
                                        ; implicit-def: $vgpr18
	s_branch .LBB25_1679
.LBB25_1671:
	s_mov_b32 s1, -1
                                        ; implicit-def: $vgpr18
	s_branch .LBB25_1676
.LBB25_1672:
	s_mov_b32 s1, -1
                                        ; implicit-def: $vgpr18
.LBB25_1673:
	s_andn2_b32 vcc_lo, exec_lo, s1
	s_cbranch_vccnz .LBB25_1675
; %bb.1674:
	global_load_dword v18, v[7:8], off
	s_waitcnt vmcnt(0)
	v_cvt_f32_i32_e32 v18, v18
	v_cvt_f16_f32_e32 v18, v18
.LBB25_1675:
	s_mov_b32 s1, 0
.LBB25_1676:
	s_andn2_b32 vcc_lo, exec_lo, s1
	s_cbranch_vccnz .LBB25_1678
; %bb.1677:
	global_load_ushort v18, v[7:8], off
	s_waitcnt vmcnt(0)
	v_cvt_f16_i16_e32 v18, v18
.LBB25_1678:
	s_mov_b32 s1, 0
.LBB25_1679:
	s_andn2_b32 vcc_lo, exec_lo, s1
	s_cbranch_vccnz .LBB25_1685
; %bb.1680:
	s_cmp_gt_i32 s0, 0
	s_mov_b32 s0, 0
	s_cbranch_scc0 .LBB25_1682
; %bb.1681:
	global_load_sbyte v18, v[7:8], off
	s_waitcnt vmcnt(0)
	v_cvt_f16_i16_e32 v18, v18
	s_branch .LBB25_1683
.LBB25_1682:
	s_mov_b32 s0, -1
                                        ; implicit-def: $vgpr18
.LBB25_1683:
	s_andn2_b32 vcc_lo, exec_lo, s0
	s_cbranch_vccnz .LBB25_1685
; %bb.1684:
	global_load_ubyte v7, v[7:8], off
	s_waitcnt vmcnt(0)
	v_cvt_f16_u16_e32 v18, v7
.LBB25_1685:
	s_mov_b32 s6, -1
.LBB25_1686:
	s_andn2_b32 vcc_lo, exec_lo, s6
	s_cbranch_vccnz .LBB25_2121
; %bb.1687:
	s_waitcnt vmcnt(0)
	v_cvt_f32_f16_e32 v7, v18
                                        ; implicit-def: $vgpr19
                                        ; implicit-def: $vgpr18
	s_mov_b32 s1, exec_lo
	v_and_b32_e32 v8, 0x7fffffff, v7
	v_cmpx_ngt_f32_e64 0x48000000, |v7|
	s_xor_b32 s4, exec_lo, s1
	s_cbranch_execz .LBB25_1689
; %bb.1688:
	s_mov_b32 s0, 0x7fffff
	v_mov_b32_e32 v20, 0
	v_and_or_b32 v27, v8, s0, 0x800000
	v_lshrrev_b32_e32 v25, 23, v8
	v_mad_u64_u32 v[18:19], null, 0xfe5163ab, v27, 0
	v_add_nc_u32_e32 v26, 0xffffff88, v25
	v_cmp_lt_u32_e32 vcc_lo, 63, v26
	v_mad_u64_u32 v[21:22], null, 0x3c439041, v27, v[19:20]
	v_cndmask_b32_e64 v28, 0, 0xffffffc0, vcc_lo
	v_mov_b32_e32 v19, v22
	v_add_nc_u32_e32 v28, v28, v26
	v_mad_u64_u32 v[22:23], null, 0xdb629599, v27, v[19:20]
	v_cmp_lt_u32_e64 s0, 31, v28
	v_cndmask_b32_e64 v29, 0, 0xffffffe0, s0
	v_mov_b32_e32 v19, v23
	v_cndmask_b32_e32 v18, v22, v18, vcc_lo
	v_mad_u64_u32 v[23:24], null, 0xf534ddc0, v27, v[19:20]
	v_mov_b32_e32 v19, v24
	v_cndmask_b32_e32 v21, v23, v21, vcc_lo
	v_mad_u64_u32 v[24:25], null, 0xfc2757d1, v27, v[19:20]
	v_cndmask_b32_e64 v18, v21, v18, s0
	v_mov_b32_e32 v19, v25
	v_mad_u64_u32 v[25:26], null, 0x4e441529, v27, v[19:20]
	v_mov_b32_e32 v19, v26
	v_add_nc_u32_e32 v26, v29, v28
	v_cndmask_b32_e32 v28, v25, v23, vcc_lo
	v_mad_u64_u32 v[19:20], null, 0xa2f9836e, v27, v[19:20]
	v_cmp_lt_u32_e64 s1, 31, v26
	v_cndmask_b32_e64 v27, 0, 0xffffffe0, s1
	v_cndmask_b32_e32 v19, v19, v24, vcc_lo
	v_cndmask_b32_e32 v20, v20, v25, vcc_lo
	;; [unrolled: 1-line block ×3, first 2 shown]
	v_add_nc_u32_e32 v25, v27, v26
	v_cndmask_b32_e64 v23, v19, v28, s0
	v_cndmask_b32_e64 v19, v20, v19, s0
	;; [unrolled: 1-line block ×4, first 2 shown]
	v_sub_nc_u32_e32 v26, 32, v25
	v_cmp_eq_u32_e32 vcc_lo, 0, v25
	v_cndmask_b32_e64 v19, v19, v23, s1
	v_cndmask_b32_e64 v23, v23, v20, s1
	v_cndmask_b32_e64 v20, v20, v24, s1
	v_cndmask_b32_e64 v18, v24, v18, s1
	v_alignbit_b32 v27, v19, v23, v26
	v_alignbit_b32 v22, v23, v20, v26
	;; [unrolled: 1-line block ×3, first 2 shown]
	v_cndmask_b32_e32 v19, v27, v19, vcc_lo
	v_cndmask_b32_e32 v21, v22, v23, vcc_lo
	;; [unrolled: 1-line block ×3, first 2 shown]
	v_bfe_u32 v22, v19, 29, 1
	v_alignbit_b32 v23, v19, v21, 30
	v_alignbit_b32 v21, v21, v20, 30
	;; [unrolled: 1-line block ×3, first 2 shown]
	v_sub_nc_u32_e32 v24, 0, v22
	v_xor_b32_e32 v23, v23, v24
	v_xor_b32_e32 v20, v21, v24
	;; [unrolled: 1-line block ×3, first 2 shown]
	v_lshrrev_b32_e32 v24, 29, v19
	v_lshrrev_b32_e32 v19, 30, v19
	v_ffbh_u32_e32 v25, v23
	v_add_nc_u32_e32 v19, v22, v19
	v_min_u32_e32 v25, 32, v25
	v_sub_nc_u32_e32 v21, 31, v25
	v_lshlrev_b32_e32 v26, 23, v25
	v_alignbit_b32 v23, v23, v20, v21
	v_alignbit_b32 v18, v20, v18, v21
	v_lshlrev_b32_e32 v20, 31, v24
	v_alignbit_b32 v21, v23, v18, 9
	v_or_b32_e32 v24, 0.5, v20
	v_lshrrev_b32_e32 v23, 9, v23
	v_or_b32_e32 v20, 0x33000000, v20
	v_ffbh_u32_e32 v27, v21
	v_sub_nc_u32_e32 v24, v24, v26
	v_min_u32_e32 v26, 32, v27
	v_or_b32_e32 v23, v23, v24
	v_not_b32_e32 v24, v26
	v_mul_f32_e32 v27, 0x3fc90fda, v23
	v_add_lshl_u32 v25, v26, v25, 23
	v_alignbit_b32 v18, v21, v18, v24
	v_fma_f32 v21, 0x3fc90fda, v23, -v27
	v_sub_nc_u32_e32 v20, v20, v25
	v_lshrrev_b32_e32 v18, 9, v18
	v_fmamk_f32 v21, v23, 0x33a22168, v21
	v_or_b32_e32 v18, v20, v18
	v_fmac_f32_e32 v21, 0x3fc90fda, v18
	v_add_f32_e32 v18, v27, v21
.LBB25_1689:
	s_andn2_saveexec_b32 s0, s4
; %bb.1690:
	v_mul_f32_e64 v18, 0x3f22f983, |v7|
	v_rndne_f32_e32 v19, v18
	v_fma_f32 v18, 0xbfc90fda, v19, |v7|
	v_fmamk_f32 v18, v19, 0xb3a22168, v18
	v_fmamk_f32 v18, v19, 0xa7c234c4, v18
	v_cvt_i32_f32_e32 v19, v19
; %bb.1691:
	s_or_b32 exec_lo, exec_lo, s0
	v_mul_f32_e32 v20, v5, v5
	s_mov_b32 s0, 0xb94c1982
	s_mov_b32 s1, 0x37d75334
	v_and_b32_e32 v23, 1, v12
	v_lshlrev_b32_e32 v12, 30, v12
	v_fmaak_f32 v21, s0, v20, 0x3c0881c4
	v_fmaak_f32 v22, s1, v20, 0xbab64f3b
	v_xor_b32_e32 v3, v3, v1
	v_cmp_eq_u32_e32 vcc_lo, 0, v23
	v_and_b32_e32 v12, 0x80000000, v12
	v_fmaak_f32 v21, v20, v21, 0xbe2aaa9d
	v_fmaak_f32 v22, v20, v22, 0x3d2aabf7
	s_bfe_u32 s1, s3, 0x80008
	s_mov_b32 s6, 0
	s_cmp_lt_i32 s1, 11
	v_mul_f32_e32 v21, v20, v21
	v_fmaak_f32 v22, v20, v22, 0xbf000004
	v_fmac_f32_e32 v5, v5, v21
	v_fma_f32 v20, v20, v22, 1.0
	v_cndmask_b32_e32 v5, v20, v5, vcc_lo
	v_cmp_class_f32_e64 vcc_lo, v1, 0x1f8
	v_xor3_b32 v3, v3, v12, v5
	v_add_co_u32 v5, s0, s8, v6
	v_add_co_ci_u32_e64 v6, null, s9, 0, s0
	v_cndmask_b32_e32 v1, 0x7fc00000, v3, vcc_lo
	s_mov_b32 s0, -1
	v_cvt_f16_f32_e32 v1, v1
	s_cbranch_scc1 .LBB25_1770
; %bb.1692:
	s_and_b32 s4, 0xffff, s1
	s_mov_b32 s7, -1
	s_mov_b32 s5, 0
	s_cmp_gt_i32 s4, 25
	s_mov_b32 s0, 0
	s_cbranch_scc0 .LBB25_1725
; %bb.1693:
	s_cmp_gt_i32 s4, 28
	s_cbranch_scc0 .LBB25_1708
; %bb.1694:
	s_cmp_gt_i32 s4, 43
	;; [unrolled: 3-line block ×3, first 2 shown]
	s_cbranch_scc0 .LBB25_1698
; %bb.1696:
	s_mov_b32 s0, -1
	s_mov_b32 s7, 0
	s_cmp_eq_u32 s4, 46
	s_cbranch_scc0 .LBB25_1698
; %bb.1697:
	v_cvt_f32_f16_e32 v3, v1
	v_cmp_o_f16_e32 vcc_lo, v1, v1
	s_mov_b32 s0, 0
	s_mov_b32 s6, -1
	v_bfe_u32 v12, v3, 16, 1
	v_add3_u32 v3, v3, v12, 0x7fff
	v_mov_b32_e32 v12, 0x7fc0
	v_cndmask_b32_sdwa v3, v12, v3, vcc_lo dst_sel:DWORD dst_unused:UNUSED_PAD src0_sel:DWORD src1_sel:WORD_1
	global_store_dword v[5:6], v3, off
.LBB25_1698:
	s_and_b32 vcc_lo, exec_lo, s7
	s_cbranch_vccz .LBB25_1703
; %bb.1699:
	s_cmp_eq_u32 s4, 44
	s_mov_b32 s0, -1
	s_cbranch_scc0 .LBB25_1703
; %bb.1700:
	v_cvt_f32_f16_e32 v3, v1
	v_mov_b32_e32 v12, 0xff
	s_mov_b32 s6, exec_lo
	v_bfe_u32 v20, v3, 23, 8
	v_cmpx_ne_u32_e32 0xff, v20
	s_cbranch_execz .LBB25_1702
; %bb.1701:
	v_and_b32_e32 v12, 0x400000, v3
	v_and_or_b32 v20, 0x3fffff, v3, v20
	v_lshrrev_b32_e32 v3, 23, v3
	v_cmp_ne_u32_e32 vcc_lo, 0, v12
	v_cmp_ne_u32_e64 s0, 0, v20
	s_and_b32 s0, vcc_lo, s0
	v_cndmask_b32_e64 v12, 0, 1, s0
	v_add_nc_u32_e32 v12, v3, v12
.LBB25_1702:
	s_or_b32 exec_lo, exec_lo, s6
	s_mov_b32 s0, 0
	s_mov_b32 s6, -1
	global_store_byte v[5:6], v12, off
.LBB25_1703:
	s_mov_b32 s7, 0
.LBB25_1704:
	s_and_b32 vcc_lo, exec_lo, s7
	s_cbranch_vccz .LBB25_1707
; %bb.1705:
	s_cmp_eq_u32 s4, 29
	s_mov_b32 s0, -1
	s_cbranch_scc0 .LBB25_1707
; %bb.1706:
	v_cvt_f32_f16_e32 v3, v1
	v_mov_b32_e32 v21, 0
	s_mov_b32 s0, 0
	s_mov_b32 s6, -1
	v_cvt_u32_f32_e32 v20, v3
	global_store_dwordx2 v[5:6], v[20:21], off
.LBB25_1707:
	s_mov_b32 s7, 0
.LBB25_1708:
	s_and_b32 vcc_lo, exec_lo, s7
	s_cbranch_vccz .LBB25_1724
; %bb.1709:
	s_cmp_lt_i32 s4, 27
	s_mov_b32 s6, -1
	s_cbranch_scc1 .LBB25_1715
; %bb.1710:
	s_cmp_gt_i32 s4, 27
	s_cbranch_scc0 .LBB25_1712
; %bb.1711:
	v_cvt_f32_f16_e32 v3, v1
	s_mov_b32 s6, 0
	v_cvt_u32_f32_e32 v3, v3
	global_store_dword v[5:6], v3, off
.LBB25_1712:
	s_andn2_b32 vcc_lo, exec_lo, s6
	s_cbranch_vccnz .LBB25_1714
; %bb.1713:
	v_cvt_u16_f16_e32 v3, v1
	global_store_short v[5:6], v3, off
.LBB25_1714:
	s_mov_b32 s6, 0
.LBB25_1715:
	s_andn2_b32 vcc_lo, exec_lo, s6
	s_cbranch_vccnz .LBB25_1723
; %bb.1716:
	v_cvt_f32_f16_e32 v3, v1
	v_mov_b32_e32 v20, 0x80
	s_mov_b32 s6, exec_lo
	v_and_b32_e32 v12, 0x7fffffff, v3
	v_cmpx_gt_u32_e32 0x43800000, v12
	s_cbranch_execz .LBB25_1722
; %bb.1717:
	v_cmp_lt_u32_e32 vcc_lo, 0x3bffffff, v12
	s_mov_b32 s7, 0
                                        ; implicit-def: $vgpr12
	s_and_saveexec_b32 s10, vcc_lo
	s_xor_b32 s10, exec_lo, s10
	s_cbranch_execz .LBB25_2167
; %bb.1718:
	v_bfe_u32 v12, v3, 20, 1
	s_mov_b32 s7, exec_lo
	v_add3_u32 v12, v3, v12, 0x487ffff
	v_lshrrev_b32_e32 v12, 20, v12
	s_andn2_saveexec_b32 s10, s10
	s_cbranch_execnz .LBB25_2168
.LBB25_1719:
	s_or_b32 exec_lo, exec_lo, s10
	v_mov_b32_e32 v20, 0
	s_and_saveexec_b32 s10, s7
.LBB25_1720:
	v_lshrrev_b32_e32 v3, 24, v3
	v_and_or_b32 v20, 0x80, v3, v12
.LBB25_1721:
	s_or_b32 exec_lo, exec_lo, s10
.LBB25_1722:
	s_or_b32 exec_lo, exec_lo, s6
	global_store_byte v[5:6], v20, off
.LBB25_1723:
	s_mov_b32 s6, -1
.LBB25_1724:
	s_mov_b32 s7, 0
.LBB25_1725:
	s_and_b32 vcc_lo, exec_lo, s7
	s_cbranch_vccz .LBB25_1765
; %bb.1726:
	s_cmp_gt_i32 s4, 22
	s_mov_b32 s5, -1
	s_cbranch_scc0 .LBB25_1758
; %bb.1727:
	s_cmp_lt_i32 s4, 24
	s_cbranch_scc1 .LBB25_1747
; %bb.1728:
	s_cmp_gt_i32 s4, 24
	s_cbranch_scc0 .LBB25_1736
; %bb.1729:
	v_cvt_f32_f16_e32 v3, v1
	v_mov_b32_e32 v20, 0x80
	s_mov_b32 s5, exec_lo
	v_and_b32_e32 v12, 0x7fffffff, v3
	v_cmpx_gt_u32_e32 0x47800000, v12
	s_cbranch_execz .LBB25_1735
; %bb.1730:
	v_cmp_lt_u32_e32 vcc_lo, 0x37ffffff, v12
	s_mov_b32 s6, 0
                                        ; implicit-def: $vgpr12
	s_and_saveexec_b32 s7, vcc_lo
	s_xor_b32 s7, exec_lo, s7
	s_cbranch_execz .LBB25_2170
; %bb.1731:
	v_bfe_u32 v12, v3, 21, 1
	s_mov_b32 s6, exec_lo
	v_add3_u32 v12, v3, v12, 0x88fffff
	v_lshrrev_b32_e32 v12, 21, v12
	s_andn2_saveexec_b32 s7, s7
	s_cbranch_execnz .LBB25_2171
.LBB25_1732:
	s_or_b32 exec_lo, exec_lo, s7
	v_mov_b32_e32 v20, 0
	s_and_saveexec_b32 s7, s6
.LBB25_1733:
	v_lshrrev_b32_e32 v3, 24, v3
	v_and_or_b32 v20, 0x80, v3, v12
.LBB25_1734:
	s_or_b32 exec_lo, exec_lo, s7
.LBB25_1735:
	s_or_b32 exec_lo, exec_lo, s5
	s_mov_b32 s5, 0
	global_store_byte v[5:6], v20, off
.LBB25_1736:
	s_and_b32 vcc_lo, exec_lo, s5
	s_cbranch_vccz .LBB25_1746
; %bb.1737:
	v_cvt_f32_f16_e32 v3, v1
	s_mov_b32 s5, exec_lo
                                        ; implicit-def: $vgpr12
	v_and_b32_e32 v20, 0x7fffffff, v3
	v_cmpx_gt_u32_e32 0x43f00000, v20
	s_xor_b32 s5, exec_lo, s5
	s_cbranch_execz .LBB25_1743
; %bb.1738:
	s_mov_b32 s6, exec_lo
                                        ; implicit-def: $vgpr12
	v_cmpx_lt_u32_e32 0x3c7fffff, v20
	s_xor_b32 s6, exec_lo, s6
; %bb.1739:
	v_bfe_u32 v12, v3, 20, 1
	v_add3_u32 v12, v3, v12, 0x407ffff
	v_and_b32_e32 v20, 0xff00000, v12
	v_lshrrev_b32_e32 v12, 20, v12
	v_cmp_ne_u32_e32 vcc_lo, 0x7f00000, v20
	v_cndmask_b32_e32 v12, 0x7e, v12, vcc_lo
; %bb.1740:
	s_andn2_saveexec_b32 s6, s6
; %bb.1741:
	v_add_f32_e64 v12, 0x46800000, |v3|
; %bb.1742:
	s_or_b32 exec_lo, exec_lo, s6
                                        ; implicit-def: $vgpr20
.LBB25_1743:
	s_andn2_saveexec_b32 s5, s5
; %bb.1744:
	v_mov_b32_e32 v12, 0x7f
	v_cmp_lt_u32_e32 vcc_lo, 0x7f800000, v20
	v_cndmask_b32_e32 v12, 0x7e, v12, vcc_lo
; %bb.1745:
	s_or_b32 exec_lo, exec_lo, s5
	v_lshrrev_b32_e32 v3, 24, v3
	v_and_or_b32 v3, 0x80, v3, v12
	global_store_byte v[5:6], v3, off
.LBB25_1746:
	s_mov_b32 s5, 0
.LBB25_1747:
	s_andn2_b32 vcc_lo, exec_lo, s5
	s_cbranch_vccnz .LBB25_1757
; %bb.1748:
	v_cvt_f32_f16_e32 v3, v1
	s_mov_b32 s5, exec_lo
                                        ; implicit-def: $vgpr12
	v_and_b32_e32 v20, 0x7fffffff, v3
	v_cmpx_gt_u32_e32 0x47800000, v20
	s_xor_b32 s5, exec_lo, s5
	s_cbranch_execz .LBB25_1754
; %bb.1749:
	s_mov_b32 s6, exec_lo
                                        ; implicit-def: $vgpr12
	v_cmpx_lt_u32_e32 0x387fffff, v20
	s_xor_b32 s6, exec_lo, s6
; %bb.1750:
	v_bfe_u32 v12, v3, 21, 1
	v_add3_u32 v12, v3, v12, 0x80fffff
	v_lshrrev_b32_e32 v12, 21, v12
; %bb.1751:
	s_andn2_saveexec_b32 s6, s6
; %bb.1752:
	v_add_f32_e64 v12, 0x43000000, |v3|
; %bb.1753:
	s_or_b32 exec_lo, exec_lo, s6
                                        ; implicit-def: $vgpr20
.LBB25_1754:
	s_andn2_saveexec_b32 s5, s5
; %bb.1755:
	v_mov_b32_e32 v12, 0x7f
	v_cmp_lt_u32_e32 vcc_lo, 0x7f800000, v20
	v_cndmask_b32_e32 v12, 0x7c, v12, vcc_lo
; %bb.1756:
	s_or_b32 exec_lo, exec_lo, s5
	v_lshrrev_b32_e32 v3, 24, v3
	v_and_or_b32 v3, 0x80, v3, v12
	global_store_byte v[5:6], v3, off
.LBB25_1757:
	s_mov_b32 s5, 0
	s_mov_b32 s6, -1
.LBB25_1758:
	s_andn2_b32 vcc_lo, exec_lo, s5
	s_mov_b32 s5, 0
	s_cbranch_vccnz .LBB25_1765
; %bb.1759:
	s_cmp_gt_i32 s4, 14
	s_mov_b32 s5, -1
	s_cbranch_scc0 .LBB25_1763
; %bb.1760:
	s_cmp_eq_u32 s4, 15
	s_mov_b32 s0, -1
	s_cbranch_scc0 .LBB25_1762
; %bb.1761:
	v_cvt_f32_f16_e32 v3, v1
	v_cmp_o_f16_e32 vcc_lo, v1, v1
	s_mov_b32 s0, 0
	s_mov_b32 s6, -1
	v_bfe_u32 v12, v3, 16, 1
	v_add3_u32 v3, v3, v12, 0x7fff
	v_mov_b32_e32 v12, 0x7fc0
	v_cndmask_b32_sdwa v3, v12, v3, vcc_lo dst_sel:DWORD dst_unused:UNUSED_PAD src0_sel:DWORD src1_sel:WORD_1
	global_store_short v[5:6], v3, off
.LBB25_1762:
	s_mov_b32 s5, 0
.LBB25_1763:
	s_and_b32 vcc_lo, exec_lo, s5
	s_mov_b32 s5, 0
	s_cbranch_vccz .LBB25_1765
; %bb.1764:
	s_cmp_lg_u32 s4, 11
	s_mov_b32 s5, -1
	s_cselect_b32 s0, -1, 0
.LBB25_1765:
	s_and_b32 vcc_lo, exec_lo, s0
	s_cbranch_vccnz .LBB25_2169
; %bb.1766:
	s_andn2_b32 vcc_lo, exec_lo, s5
	s_cbranch_vccnz .LBB25_1768
.LBB25_1767:
	v_cmp_neq_f16_e32 vcc_lo, 0, v1
	s_mov_b32 s6, -1
	v_cndmask_b32_e64 v3, 0, 1, vcc_lo
	global_store_byte v[5:6], v3, off
.LBB25_1768:
.LBB25_1769:
	s_andn2_b32 vcc_lo, exec_lo, s6
	s_cbranch_vccz .LBB25_1809
	s_branch .LBB25_2121
.LBB25_1770:
	s_and_b32 vcc_lo, exec_lo, s0
	s_cbranch_vccz .LBB25_1769
; %bb.1771:
	s_and_b32 s0, 0xffff, s1
	s_mov_b32 s1, -1
	s_cmp_lt_i32 s0, 5
	s_cbranch_scc1 .LBB25_1792
; %bb.1772:
	s_cmp_lt_i32 s0, 8
	s_cbranch_scc1 .LBB25_1782
; %bb.1773:
	;; [unrolled: 3-line block ×3, first 2 shown]
	s_cmp_gt_i32 s0, 9
	s_cbranch_scc0 .LBB25_1776
; %bb.1775:
	v_cvt_f32_f16_e32 v3, v1
	v_mov_b32_e32 v22, 0
	s_mov_b32 s1, 0
	v_cvt_f64_f32_e32 v[20:21], v3
	v_mov_b32_e32 v23, v22
	global_store_dwordx4 v[5:6], v[20:23], off
.LBB25_1776:
	s_andn2_b32 vcc_lo, exec_lo, s1
	s_cbranch_vccnz .LBB25_1778
; %bb.1777:
	v_cvt_f32_f16_e32 v20, v1
	v_mov_b32_e32 v21, 0
	global_store_dwordx2 v[5:6], v[20:21], off
.LBB25_1778:
	s_mov_b32 s1, 0
.LBB25_1779:
	s_andn2_b32 vcc_lo, exec_lo, s1
	s_cbranch_vccnz .LBB25_1781
; %bb.1780:
	v_and_b32_e32 v3, 0xffff, v1
	global_store_dword v[5:6], v3, off
.LBB25_1781:
	s_mov_b32 s1, 0
.LBB25_1782:
	s_andn2_b32 vcc_lo, exec_lo, s1
	s_cbranch_vccnz .LBB25_1791
; %bb.1783:
	s_cmp_lt_i32 s0, 6
	s_mov_b32 s1, -1
	s_cbranch_scc1 .LBB25_1789
; %bb.1784:
	s_cmp_gt_i32 s0, 6
	s_cbranch_scc0 .LBB25_1786
; %bb.1785:
	v_cvt_f32_f16_e32 v3, v1
	s_mov_b32 s1, 0
	v_cvt_f64_f32_e32 v[20:21], v3
	global_store_dwordx2 v[5:6], v[20:21], off
.LBB25_1786:
	s_andn2_b32 vcc_lo, exec_lo, s1
	s_cbranch_vccnz .LBB25_1788
; %bb.1787:
	v_cvt_f32_f16_e32 v3, v1
	global_store_dword v[5:6], v3, off
.LBB25_1788:
	s_mov_b32 s1, 0
.LBB25_1789:
	s_andn2_b32 vcc_lo, exec_lo, s1
	s_cbranch_vccnz .LBB25_1791
; %bb.1790:
	global_store_short v[5:6], v1, off
.LBB25_1791:
	s_mov_b32 s1, 0
.LBB25_1792:
	s_andn2_b32 vcc_lo, exec_lo, s1
	s_cbranch_vccnz .LBB25_1808
; %bb.1793:
	s_cmp_lt_i32 s0, 2
	s_mov_b32 s1, -1
	s_cbranch_scc1 .LBB25_1803
; %bb.1794:
	s_cmp_lt_i32 s0, 3
	s_cbranch_scc1 .LBB25_1800
; %bb.1795:
	s_cmp_gt_i32 s0, 3
	s_cbranch_scc0 .LBB25_1797
; %bb.1796:
	v_cvt_f32_f16_e32 v3, v1
	s_mov_b32 s1, 0
	v_cvt_i32_f32_e32 v20, v3
	v_ashrrev_i32_e32 v21, 31, v20
	global_store_dwordx2 v[5:6], v[20:21], off
.LBB25_1797:
	s_andn2_b32 vcc_lo, exec_lo, s1
	s_cbranch_vccnz .LBB25_1799
; %bb.1798:
	v_cvt_f32_f16_e32 v3, v1
	v_cvt_i32_f32_e32 v3, v3
	global_store_dword v[5:6], v3, off
.LBB25_1799:
	s_mov_b32 s1, 0
.LBB25_1800:
	s_andn2_b32 vcc_lo, exec_lo, s1
	s_cbranch_vccnz .LBB25_1802
; %bb.1801:
	v_cvt_i16_f16_e32 v3, v1
	global_store_short v[5:6], v3, off
.LBB25_1802:
	s_mov_b32 s1, 0
.LBB25_1803:
	s_andn2_b32 vcc_lo, exec_lo, s1
	s_cbranch_vccnz .LBB25_1808
; %bb.1804:
	s_cmp_gt_i32 s0, 0
	s_mov_b32 s0, -1
	s_cbranch_scc0 .LBB25_1806
; %bb.1805:
	v_cvt_i16_f16_e32 v3, v1
	s_mov_b32 s0, 0
	global_store_byte v[5:6], v3, off
.LBB25_1806:
	s_andn2_b32 vcc_lo, exec_lo, s0
	s_cbranch_vccnz .LBB25_1808
; %bb.1807:
	v_cvt_f32_f16_e32 v1, v1
	v_cvt_i32_f32_e32 v1, v1
	global_store_byte v[5:6], v1, off
.LBB25_1808:
.LBB25_1809:
	v_mul_f32_e32 v1, v13, v13
	s_mov_b32 s0, 0xb94c1982
	s_mov_b32 s1, 0x37d75334
	v_and_b32_e32 v6, 1, v14
	v_lshlrev_b32_e32 v12, 30, v14
	v_fmaak_f32 v3, s0, v1, 0x3c0881c4
	v_fmaak_f32 v5, s1, v1, 0xbab64f3b
	s_lshr_b32 s0, s3, 8
	v_cmp_eq_u32_e32 vcc_lo, 0, v6
	s_and_b32 s1, s0, 0xff
	v_fmaak_f32 v3, v1, v3, 0xbe2aaa9d
	v_fmaak_f32 v5, v1, v5, 0x3d2aabf7
	s_mov_b32 s5, 0
	s_cmp_lt_i32 s1, 11
	v_mul_f32_e32 v3, v1, v3
	v_fmaak_f32 v5, v1, v5, 0xbf000004
	v_fmac_f32_e32 v13, v13, v3
	v_fma_f32 v1, v1, v5, 1.0
	v_xor_b32_e32 v3, v11, v10
	v_and_b32_e32 v5, 0x80000000, v12
	v_cndmask_b32_e32 v1, v1, v13, vcc_lo
	v_cmp_class_f32_e64 vcc_lo, v10, 0x1f8
	v_xor3_b32 v1, v3, v5, v1
	v_add_co_u32 v3, s0, s8, v4
	v_add_co_ci_u32_e64 v4, null, s9, 0, s0
	v_cndmask_b32_e32 v1, 0x7fc00000, v1, vcc_lo
	s_mov_b32 s0, -1
	v_cvt_f16_f32_e32 v1, v1
	s_cbranch_scc1 .LBB25_1888
; %bb.1810:
	s_and_b32 s3, 0xffff, s1
	s_mov_b32 s6, -1
	s_mov_b32 s4, 0
	s_cmp_gt_i32 s3, 25
	s_mov_b32 s0, 0
	s_cbranch_scc0 .LBB25_1843
; %bb.1811:
	s_cmp_gt_i32 s3, 28
	s_cbranch_scc0 .LBB25_1826
; %bb.1812:
	s_cmp_gt_i32 s3, 43
	s_cbranch_scc0 .LBB25_1822
; %bb.1813:
	s_cmp_gt_i32 s3, 45
	s_cbranch_scc0 .LBB25_1816
; %bb.1814:
	s_mov_b32 s0, -1
	s_mov_b32 s6, 0
	s_cmp_eq_u32 s3, 46
	s_cbranch_scc0 .LBB25_1816
; %bb.1815:
	v_cvt_f32_f16_e32 v5, v1
	v_cmp_o_f16_e32 vcc_lo, v1, v1
	s_mov_b32 s0, 0
	s_mov_b32 s5, -1
	v_bfe_u32 v6, v5, 16, 1
	v_add3_u32 v5, v5, v6, 0x7fff
	v_mov_b32_e32 v6, 0x7fc0
	v_cndmask_b32_sdwa v5, v6, v5, vcc_lo dst_sel:DWORD dst_unused:UNUSED_PAD src0_sel:DWORD src1_sel:WORD_1
	global_store_dword v[3:4], v5, off
.LBB25_1816:
	s_and_b32 vcc_lo, exec_lo, s6
	s_cbranch_vccz .LBB25_1821
; %bb.1817:
	s_cmp_eq_u32 s3, 44
	s_mov_b32 s0, -1
	s_cbranch_scc0 .LBB25_1821
; %bb.1818:
	v_cvt_f32_f16_e32 v5, v1
	v_mov_b32_e32 v6, 0xff
	s_mov_b32 s5, exec_lo
	v_bfe_u32 v10, v5, 23, 8
	v_cmpx_ne_u32_e32 0xff, v10
	s_cbranch_execz .LBB25_1820
; %bb.1819:
	v_and_b32_e32 v6, 0x400000, v5
	v_and_or_b32 v10, 0x3fffff, v5, v10
	v_lshrrev_b32_e32 v5, 23, v5
	v_cmp_ne_u32_e32 vcc_lo, 0, v6
	v_cmp_ne_u32_e64 s0, 0, v10
	s_and_b32 s0, vcc_lo, s0
	v_cndmask_b32_e64 v6, 0, 1, s0
	v_add_nc_u32_e32 v6, v5, v6
.LBB25_1820:
	s_or_b32 exec_lo, exec_lo, s5
	s_mov_b32 s0, 0
	s_mov_b32 s5, -1
	global_store_byte v[3:4], v6, off
.LBB25_1821:
	s_mov_b32 s6, 0
.LBB25_1822:
	s_and_b32 vcc_lo, exec_lo, s6
	s_cbranch_vccz .LBB25_1825
; %bb.1823:
	s_cmp_eq_u32 s3, 29
	s_mov_b32 s0, -1
	s_cbranch_scc0 .LBB25_1825
; %bb.1824:
	v_cvt_f32_f16_e32 v5, v1
	v_mov_b32_e32 v6, 0
	s_mov_b32 s0, 0
	s_mov_b32 s5, -1
	v_cvt_u32_f32_e32 v5, v5
	global_store_dwordx2 v[3:4], v[5:6], off
.LBB25_1825:
	s_mov_b32 s6, 0
.LBB25_1826:
	s_and_b32 vcc_lo, exec_lo, s6
	s_cbranch_vccz .LBB25_1842
; %bb.1827:
	s_cmp_lt_i32 s3, 27
	s_mov_b32 s5, -1
	s_cbranch_scc1 .LBB25_1833
; %bb.1828:
	s_cmp_gt_i32 s3, 27
	s_cbranch_scc0 .LBB25_1830
; %bb.1829:
	v_cvt_f32_f16_e32 v5, v1
	s_mov_b32 s5, 0
	v_cvt_u32_f32_e32 v5, v5
	global_store_dword v[3:4], v5, off
.LBB25_1830:
	s_andn2_b32 vcc_lo, exec_lo, s5
	s_cbranch_vccnz .LBB25_1832
; %bb.1831:
	v_cvt_u16_f16_e32 v5, v1
	global_store_short v[3:4], v5, off
.LBB25_1832:
	s_mov_b32 s5, 0
.LBB25_1833:
	s_andn2_b32 vcc_lo, exec_lo, s5
	s_cbranch_vccnz .LBB25_1841
; %bb.1834:
	v_cvt_f32_f16_e32 v5, v1
	v_mov_b32_e32 v10, 0x80
	s_mov_b32 s5, exec_lo
	v_and_b32_e32 v6, 0x7fffffff, v5
	v_cmpx_gt_u32_e32 0x43800000, v6
	s_cbranch_execz .LBB25_1840
; %bb.1835:
	v_cmp_lt_u32_e32 vcc_lo, 0x3bffffff, v6
	s_mov_b32 s6, 0
                                        ; implicit-def: $vgpr6
	s_and_saveexec_b32 s7, vcc_lo
	s_xor_b32 s7, exec_lo, s7
	s_cbranch_execz .LBB25_2172
; %bb.1836:
	v_bfe_u32 v6, v5, 20, 1
	s_mov_b32 s6, exec_lo
	v_add3_u32 v6, v5, v6, 0x487ffff
	v_lshrrev_b32_e32 v6, 20, v6
	s_andn2_saveexec_b32 s7, s7
	s_cbranch_execnz .LBB25_2173
.LBB25_1837:
	s_or_b32 exec_lo, exec_lo, s7
	v_mov_b32_e32 v10, 0
	s_and_saveexec_b32 s7, s6
.LBB25_1838:
	v_lshrrev_b32_e32 v5, 24, v5
	v_and_or_b32 v10, 0x80, v5, v6
.LBB25_1839:
	s_or_b32 exec_lo, exec_lo, s7
.LBB25_1840:
	s_or_b32 exec_lo, exec_lo, s5
	global_store_byte v[3:4], v10, off
.LBB25_1841:
	s_mov_b32 s5, -1
.LBB25_1842:
	s_mov_b32 s6, 0
.LBB25_1843:
	s_and_b32 vcc_lo, exec_lo, s6
	s_cbranch_vccz .LBB25_1883
; %bb.1844:
	s_cmp_gt_i32 s3, 22
	s_mov_b32 s4, -1
	s_cbranch_scc0 .LBB25_1876
; %bb.1845:
	s_cmp_lt_i32 s3, 24
	s_cbranch_scc1 .LBB25_1865
; %bb.1846:
	s_cmp_gt_i32 s3, 24
	s_cbranch_scc0 .LBB25_1854
; %bb.1847:
	v_cvt_f32_f16_e32 v5, v1
	v_mov_b32_e32 v10, 0x80
	s_mov_b32 s4, exec_lo
	v_and_b32_e32 v6, 0x7fffffff, v5
	v_cmpx_gt_u32_e32 0x47800000, v6
	s_cbranch_execz .LBB25_1853
; %bb.1848:
	v_cmp_lt_u32_e32 vcc_lo, 0x37ffffff, v6
	s_mov_b32 s5, 0
                                        ; implicit-def: $vgpr6
	s_and_saveexec_b32 s6, vcc_lo
	s_xor_b32 s6, exec_lo, s6
	s_cbranch_execz .LBB25_2175
; %bb.1849:
	v_bfe_u32 v6, v5, 21, 1
	s_mov_b32 s5, exec_lo
	v_add3_u32 v6, v5, v6, 0x88fffff
	v_lshrrev_b32_e32 v6, 21, v6
	s_andn2_saveexec_b32 s6, s6
	s_cbranch_execnz .LBB25_2176
.LBB25_1850:
	s_or_b32 exec_lo, exec_lo, s6
	v_mov_b32_e32 v10, 0
	s_and_saveexec_b32 s6, s5
.LBB25_1851:
	v_lshrrev_b32_e32 v5, 24, v5
	v_and_or_b32 v10, 0x80, v5, v6
.LBB25_1852:
	s_or_b32 exec_lo, exec_lo, s6
.LBB25_1853:
	s_or_b32 exec_lo, exec_lo, s4
	s_mov_b32 s4, 0
	global_store_byte v[3:4], v10, off
.LBB25_1854:
	s_and_b32 vcc_lo, exec_lo, s4
	s_cbranch_vccz .LBB25_1864
; %bb.1855:
	v_cvt_f32_f16_e32 v5, v1
	s_mov_b32 s4, exec_lo
                                        ; implicit-def: $vgpr6
	v_and_b32_e32 v10, 0x7fffffff, v5
	v_cmpx_gt_u32_e32 0x43f00000, v10
	s_xor_b32 s4, exec_lo, s4
	s_cbranch_execz .LBB25_1861
; %bb.1856:
	s_mov_b32 s5, exec_lo
                                        ; implicit-def: $vgpr6
	v_cmpx_lt_u32_e32 0x3c7fffff, v10
	s_xor_b32 s5, exec_lo, s5
; %bb.1857:
	v_bfe_u32 v6, v5, 20, 1
	v_add3_u32 v6, v5, v6, 0x407ffff
	v_and_b32_e32 v10, 0xff00000, v6
	v_lshrrev_b32_e32 v6, 20, v6
	v_cmp_ne_u32_e32 vcc_lo, 0x7f00000, v10
	v_cndmask_b32_e32 v6, 0x7e, v6, vcc_lo
; %bb.1858:
	s_andn2_saveexec_b32 s5, s5
; %bb.1859:
	v_add_f32_e64 v6, 0x46800000, |v5|
; %bb.1860:
	s_or_b32 exec_lo, exec_lo, s5
                                        ; implicit-def: $vgpr10
.LBB25_1861:
	s_andn2_saveexec_b32 s4, s4
; %bb.1862:
	v_mov_b32_e32 v6, 0x7f
	v_cmp_lt_u32_e32 vcc_lo, 0x7f800000, v10
	v_cndmask_b32_e32 v6, 0x7e, v6, vcc_lo
; %bb.1863:
	s_or_b32 exec_lo, exec_lo, s4
	v_lshrrev_b32_e32 v5, 24, v5
	v_and_or_b32 v5, 0x80, v5, v6
	global_store_byte v[3:4], v5, off
.LBB25_1864:
	s_mov_b32 s4, 0
.LBB25_1865:
	s_andn2_b32 vcc_lo, exec_lo, s4
	s_cbranch_vccnz .LBB25_1875
; %bb.1866:
	v_cvt_f32_f16_e32 v5, v1
	s_mov_b32 s4, exec_lo
                                        ; implicit-def: $vgpr6
	v_and_b32_e32 v10, 0x7fffffff, v5
	v_cmpx_gt_u32_e32 0x47800000, v10
	s_xor_b32 s4, exec_lo, s4
	s_cbranch_execz .LBB25_1872
; %bb.1867:
	s_mov_b32 s5, exec_lo
                                        ; implicit-def: $vgpr6
	v_cmpx_lt_u32_e32 0x387fffff, v10
	s_xor_b32 s5, exec_lo, s5
; %bb.1868:
	v_bfe_u32 v6, v5, 21, 1
	v_add3_u32 v6, v5, v6, 0x80fffff
	v_lshrrev_b32_e32 v6, 21, v6
; %bb.1869:
	s_andn2_saveexec_b32 s5, s5
; %bb.1870:
	v_add_f32_e64 v6, 0x43000000, |v5|
; %bb.1871:
	s_or_b32 exec_lo, exec_lo, s5
                                        ; implicit-def: $vgpr10
.LBB25_1872:
	s_andn2_saveexec_b32 s4, s4
; %bb.1873:
	v_mov_b32_e32 v6, 0x7f
	v_cmp_lt_u32_e32 vcc_lo, 0x7f800000, v10
	v_cndmask_b32_e32 v6, 0x7c, v6, vcc_lo
; %bb.1874:
	s_or_b32 exec_lo, exec_lo, s4
	v_lshrrev_b32_e32 v5, 24, v5
	v_and_or_b32 v5, 0x80, v5, v6
	global_store_byte v[3:4], v5, off
.LBB25_1875:
	s_mov_b32 s4, 0
	s_mov_b32 s5, -1
.LBB25_1876:
	s_andn2_b32 vcc_lo, exec_lo, s4
	s_mov_b32 s4, 0
	s_cbranch_vccnz .LBB25_1883
; %bb.1877:
	s_cmp_gt_i32 s3, 14
	s_mov_b32 s4, -1
	s_cbranch_scc0 .LBB25_1881
; %bb.1878:
	s_cmp_eq_u32 s3, 15
	s_mov_b32 s0, -1
	s_cbranch_scc0 .LBB25_1880
; %bb.1879:
	v_cvt_f32_f16_e32 v5, v1
	v_cmp_o_f16_e32 vcc_lo, v1, v1
	s_mov_b32 s0, 0
	s_mov_b32 s5, -1
	v_bfe_u32 v6, v5, 16, 1
	v_add3_u32 v5, v5, v6, 0x7fff
	v_mov_b32_e32 v6, 0x7fc0
	v_cndmask_b32_sdwa v5, v6, v5, vcc_lo dst_sel:DWORD dst_unused:UNUSED_PAD src0_sel:DWORD src1_sel:WORD_1
	global_store_short v[3:4], v5, off
.LBB25_1880:
	s_mov_b32 s4, 0
.LBB25_1881:
	s_and_b32 vcc_lo, exec_lo, s4
	s_mov_b32 s4, 0
	s_cbranch_vccz .LBB25_1883
; %bb.1882:
	s_cmp_lg_u32 s3, 11
	s_mov_b32 s4, -1
	s_cselect_b32 s0, -1, 0
.LBB25_1883:
	s_and_b32 vcc_lo, exec_lo, s0
	s_cbranch_vccnz .LBB25_2174
; %bb.1884:
	s_andn2_b32 vcc_lo, exec_lo, s4
	s_cbranch_vccnz .LBB25_1886
.LBB25_1885:
	v_cmp_neq_f16_e32 vcc_lo, 0, v1
	s_mov_b32 s5, -1
	v_cndmask_b32_e64 v5, 0, 1, vcc_lo
	global_store_byte v[3:4], v5, off
.LBB25_1886:
.LBB25_1887:
	s_andn2_b32 vcc_lo, exec_lo, s5
	s_cbranch_vccz .LBB25_1927
	s_branch .LBB25_2121
.LBB25_1888:
	s_and_b32 vcc_lo, exec_lo, s0
	s_cbranch_vccz .LBB25_1887
; %bb.1889:
	s_and_b32 s0, 0xffff, s1
	s_mov_b32 s3, -1
	s_cmp_lt_i32 s0, 5
	s_cbranch_scc1 .LBB25_1910
; %bb.1890:
	s_cmp_lt_i32 s0, 8
	s_cbranch_scc1 .LBB25_1900
; %bb.1891:
	s_cmp_lt_i32 s0, 9
	s_cbranch_scc1 .LBB25_1897
; %bb.1892:
	s_cmp_gt_i32 s0, 9
	s_cbranch_scc0 .LBB25_1894
; %bb.1893:
	v_cvt_f32_f16_e32 v5, v1
	v_mov_b32_e32 v12, 0
	s_mov_b32 s3, 0
	v_cvt_f64_f32_e32 v[10:11], v5
	v_mov_b32_e32 v13, v12
	global_store_dwordx4 v[3:4], v[10:13], off
.LBB25_1894:
	s_andn2_b32 vcc_lo, exec_lo, s3
	s_cbranch_vccnz .LBB25_1896
; %bb.1895:
	v_cvt_f32_f16_e32 v5, v1
	v_mov_b32_e32 v6, 0
	global_store_dwordx2 v[3:4], v[5:6], off
.LBB25_1896:
	s_mov_b32 s3, 0
.LBB25_1897:
	s_andn2_b32 vcc_lo, exec_lo, s3
	s_cbranch_vccnz .LBB25_1899
; %bb.1898:
	v_and_b32_e32 v5, 0xffff, v1
	global_store_dword v[3:4], v5, off
.LBB25_1899:
	s_mov_b32 s3, 0
.LBB25_1900:
	s_andn2_b32 vcc_lo, exec_lo, s3
	s_cbranch_vccnz .LBB25_1909
; %bb.1901:
	s_cmp_lt_i32 s0, 6
	s_mov_b32 s3, -1
	s_cbranch_scc1 .LBB25_1907
; %bb.1902:
	s_cmp_gt_i32 s0, 6
	s_cbranch_scc0 .LBB25_1904
; %bb.1903:
	v_cvt_f32_f16_e32 v5, v1
	s_mov_b32 s3, 0
	v_cvt_f64_f32_e32 v[5:6], v5
	global_store_dwordx2 v[3:4], v[5:6], off
.LBB25_1904:
	s_andn2_b32 vcc_lo, exec_lo, s3
	s_cbranch_vccnz .LBB25_1906
; %bb.1905:
	v_cvt_f32_f16_e32 v5, v1
	global_store_dword v[3:4], v5, off
.LBB25_1906:
	s_mov_b32 s3, 0
.LBB25_1907:
	s_andn2_b32 vcc_lo, exec_lo, s3
	s_cbranch_vccnz .LBB25_1909
; %bb.1908:
	global_store_short v[3:4], v1, off
.LBB25_1909:
	s_mov_b32 s3, 0
.LBB25_1910:
	s_andn2_b32 vcc_lo, exec_lo, s3
	s_cbranch_vccnz .LBB25_1926
; %bb.1911:
	s_cmp_lt_i32 s0, 2
	s_mov_b32 s3, -1
	s_cbranch_scc1 .LBB25_1921
; %bb.1912:
	s_cmp_lt_i32 s0, 3
	s_cbranch_scc1 .LBB25_1918
; %bb.1913:
	s_cmp_gt_i32 s0, 3
	s_cbranch_scc0 .LBB25_1915
; %bb.1914:
	v_cvt_f32_f16_e32 v5, v1
	s_mov_b32 s3, 0
	v_cvt_i32_f32_e32 v5, v5
	v_ashrrev_i32_e32 v6, 31, v5
	global_store_dwordx2 v[3:4], v[5:6], off
.LBB25_1915:
	s_andn2_b32 vcc_lo, exec_lo, s3
	s_cbranch_vccnz .LBB25_1917
; %bb.1916:
	v_cvt_f32_f16_e32 v5, v1
	v_cvt_i32_f32_e32 v5, v5
	global_store_dword v[3:4], v5, off
.LBB25_1917:
	s_mov_b32 s3, 0
.LBB25_1918:
	s_andn2_b32 vcc_lo, exec_lo, s3
	s_cbranch_vccnz .LBB25_1920
; %bb.1919:
	v_cvt_i16_f16_e32 v5, v1
	global_store_short v[3:4], v5, off
.LBB25_1920:
	s_mov_b32 s3, 0
.LBB25_1921:
	s_andn2_b32 vcc_lo, exec_lo, s3
	s_cbranch_vccnz .LBB25_1926
; %bb.1922:
	s_cmp_gt_i32 s0, 0
	s_mov_b32 s0, -1
	s_cbranch_scc0 .LBB25_1924
; %bb.1923:
	v_cvt_i16_f16_e32 v5, v1
	s_mov_b32 s0, 0
	global_store_byte v[3:4], v5, off
.LBB25_1924:
	s_andn2_b32 vcc_lo, exec_lo, s0
	s_cbranch_vccnz .LBB25_1926
; %bb.1925:
	v_cvt_f32_f16_e32 v1, v1
	v_cvt_i32_f32_e32 v1, v1
	global_store_byte v[3:4], v1, off
.LBB25_1926:
.LBB25_1927:
	v_mul_f32_e32 v1, v16, v16
	s_mov_b32 s0, 0xb94c1982
	s_mov_b32 s3, 0x37d75334
	v_and_b32_e32 v5, 1, v17
	v_lshlrev_b32_e32 v6, 30, v17
	v_fmaak_f32 v3, s0, v1, 0x3c0881c4
	v_fmaak_f32 v4, s3, v1, 0xbab64f3b
	s_mov_b32 s5, 0
	v_cmp_eq_u32_e32 vcc_lo, 0, v5
	s_cmp_lt_i32 s1, 11
	v_fmaak_f32 v3, v1, v3, 0xbe2aaa9d
	v_fmaak_f32 v4, v1, v4, 0x3d2aabf7
	v_mul_f32_e32 v3, v1, v3
	v_fmaak_f32 v4, v1, v4, 0xbf000004
	v_fmac_f32_e32 v16, v16, v3
	v_fma_f32 v1, v1, v4, 1.0
	v_xor_b32_e32 v3, v15, v9
	v_and_b32_e32 v4, 0x80000000, v6
	v_cndmask_b32_e32 v1, v1, v16, vcc_lo
	v_cmp_class_f32_e64 vcc_lo, v9, 0x1f8
	v_xor3_b32 v1, v3, v4, v1
	v_cndmask_b32_e32 v1, 0x7fc00000, v1, vcc_lo
	v_cvt_f16_f32_e32 v3, v1
	v_add_co_u32 v1, s0, s8, v2
	v_add_co_ci_u32_e64 v2, null, s9, 0, s0
	s_mov_b32 s0, -1
	s_cbranch_scc1 .LBB25_2082
; %bb.1928:
	s_and_b32 s3, 0xffff, s1
	s_mov_b32 s6, -1
	s_mov_b32 s4, 0
	s_cmp_gt_i32 s3, 25
	s_mov_b32 s0, 0
	s_cbranch_scc0 .LBB25_1961
; %bb.1929:
	s_cmp_gt_i32 s3, 28
	s_cbranch_scc0 .LBB25_1944
; %bb.1930:
	s_cmp_gt_i32 s3, 43
	;; [unrolled: 3-line block ×3, first 2 shown]
	s_cbranch_scc0 .LBB25_1934
; %bb.1932:
	s_mov_b32 s0, -1
	s_mov_b32 s6, 0
	s_cmp_eq_u32 s3, 46
	s_cbranch_scc0 .LBB25_1934
; %bb.1933:
	v_cvt_f32_f16_e32 v4, v3
	v_cmp_o_f16_e32 vcc_lo, v3, v3
	s_mov_b32 s0, 0
	s_mov_b32 s5, -1
	v_bfe_u32 v5, v4, 16, 1
	v_add3_u32 v4, v4, v5, 0x7fff
	v_mov_b32_e32 v5, 0x7fc0
	v_cndmask_b32_sdwa v4, v5, v4, vcc_lo dst_sel:DWORD dst_unused:UNUSED_PAD src0_sel:DWORD src1_sel:WORD_1
	global_store_dword v[1:2], v4, off
.LBB25_1934:
	s_and_b32 vcc_lo, exec_lo, s6
	s_cbranch_vccz .LBB25_1939
; %bb.1935:
	s_cmp_eq_u32 s3, 44
	s_mov_b32 s0, -1
	s_cbranch_scc0 .LBB25_1939
; %bb.1936:
	v_cvt_f32_f16_e32 v4, v3
	v_mov_b32_e32 v5, 0xff
	s_mov_b32 s5, exec_lo
	v_bfe_u32 v6, v4, 23, 8
	v_cmpx_ne_u32_e32 0xff, v6
	s_cbranch_execz .LBB25_1938
; %bb.1937:
	v_and_b32_e32 v5, 0x400000, v4
	v_and_or_b32 v6, 0x3fffff, v4, v6
	v_lshrrev_b32_e32 v4, 23, v4
	v_cmp_ne_u32_e32 vcc_lo, 0, v5
	v_cmp_ne_u32_e64 s0, 0, v6
	s_and_b32 s0, vcc_lo, s0
	v_cndmask_b32_e64 v5, 0, 1, s0
	v_add_nc_u32_e32 v5, v4, v5
.LBB25_1938:
	s_or_b32 exec_lo, exec_lo, s5
	s_mov_b32 s0, 0
	s_mov_b32 s5, -1
	global_store_byte v[1:2], v5, off
.LBB25_1939:
	s_mov_b32 s6, 0
.LBB25_1940:
	s_and_b32 vcc_lo, exec_lo, s6
	s_cbranch_vccz .LBB25_1943
; %bb.1941:
	s_cmp_eq_u32 s3, 29
	s_mov_b32 s0, -1
	s_cbranch_scc0 .LBB25_1943
; %bb.1942:
	v_cvt_f32_f16_e32 v4, v3
	v_mov_b32_e32 v5, 0
	s_mov_b32 s0, 0
	s_mov_b32 s5, -1
	v_cvt_u32_f32_e32 v4, v4
	global_store_dwordx2 v[1:2], v[4:5], off
.LBB25_1943:
	s_mov_b32 s6, 0
.LBB25_1944:
	s_and_b32 vcc_lo, exec_lo, s6
	s_cbranch_vccz .LBB25_1960
; %bb.1945:
	s_cmp_lt_i32 s3, 27
	s_mov_b32 s5, -1
	s_cbranch_scc1 .LBB25_1951
; %bb.1946:
	s_cmp_gt_i32 s3, 27
	s_cbranch_scc0 .LBB25_1948
; %bb.1947:
	v_cvt_f32_f16_e32 v4, v3
	s_mov_b32 s5, 0
	v_cvt_u32_f32_e32 v4, v4
	global_store_dword v[1:2], v4, off
.LBB25_1948:
	s_andn2_b32 vcc_lo, exec_lo, s5
	s_cbranch_vccnz .LBB25_1950
; %bb.1949:
	v_cvt_u16_f16_e32 v4, v3
	global_store_short v[1:2], v4, off
.LBB25_1950:
	s_mov_b32 s5, 0
.LBB25_1951:
	s_andn2_b32 vcc_lo, exec_lo, s5
	s_cbranch_vccnz .LBB25_1959
; %bb.1952:
	v_cvt_f32_f16_e32 v4, v3
	v_mov_b32_e32 v6, 0x80
	s_mov_b32 s5, exec_lo
	v_and_b32_e32 v5, 0x7fffffff, v4
	v_cmpx_gt_u32_e32 0x43800000, v5
	s_cbranch_execz .LBB25_1958
; %bb.1953:
	v_cmp_lt_u32_e32 vcc_lo, 0x3bffffff, v5
	s_mov_b32 s6, 0
                                        ; implicit-def: $vgpr5
	s_and_saveexec_b32 s7, vcc_lo
	s_xor_b32 s7, exec_lo, s7
	s_cbranch_execz .LBB25_2177
; %bb.1954:
	v_bfe_u32 v5, v4, 20, 1
	s_mov_b32 s6, exec_lo
	v_add3_u32 v5, v4, v5, 0x487ffff
	v_lshrrev_b32_e32 v5, 20, v5
	s_andn2_saveexec_b32 s7, s7
	s_cbranch_execnz .LBB25_2178
.LBB25_1955:
	s_or_b32 exec_lo, exec_lo, s7
	v_mov_b32_e32 v6, 0
	s_and_saveexec_b32 s7, s6
.LBB25_1956:
	v_lshrrev_b32_e32 v4, 24, v4
	v_and_or_b32 v6, 0x80, v4, v5
.LBB25_1957:
	s_or_b32 exec_lo, exec_lo, s7
.LBB25_1958:
	s_or_b32 exec_lo, exec_lo, s5
	global_store_byte v[1:2], v6, off
.LBB25_1959:
	s_mov_b32 s5, -1
.LBB25_1960:
	s_mov_b32 s6, 0
.LBB25_1961:
	s_and_b32 vcc_lo, exec_lo, s6
	s_cbranch_vccz .LBB25_2001
; %bb.1962:
	s_cmp_gt_i32 s3, 22
	s_mov_b32 s4, -1
	s_cbranch_scc0 .LBB25_1994
; %bb.1963:
	s_cmp_lt_i32 s3, 24
	s_cbranch_scc1 .LBB25_1983
; %bb.1964:
	s_cmp_gt_i32 s3, 24
	s_cbranch_scc0 .LBB25_1972
; %bb.1965:
	v_cvt_f32_f16_e32 v4, v3
	v_mov_b32_e32 v6, 0x80
	s_mov_b32 s4, exec_lo
	v_and_b32_e32 v5, 0x7fffffff, v4
	v_cmpx_gt_u32_e32 0x47800000, v5
	s_cbranch_execz .LBB25_1971
; %bb.1966:
	v_cmp_lt_u32_e32 vcc_lo, 0x37ffffff, v5
	s_mov_b32 s5, 0
                                        ; implicit-def: $vgpr5
	s_and_saveexec_b32 s6, vcc_lo
	s_xor_b32 s6, exec_lo, s6
	s_cbranch_execz .LBB25_2180
; %bb.1967:
	v_bfe_u32 v5, v4, 21, 1
	s_mov_b32 s5, exec_lo
	v_add3_u32 v5, v4, v5, 0x88fffff
	v_lshrrev_b32_e32 v5, 21, v5
	s_andn2_saveexec_b32 s6, s6
	s_cbranch_execnz .LBB25_2181
.LBB25_1968:
	s_or_b32 exec_lo, exec_lo, s6
	v_mov_b32_e32 v6, 0
	s_and_saveexec_b32 s6, s5
.LBB25_1969:
	v_lshrrev_b32_e32 v4, 24, v4
	v_and_or_b32 v6, 0x80, v4, v5
.LBB25_1970:
	s_or_b32 exec_lo, exec_lo, s6
.LBB25_1971:
	s_or_b32 exec_lo, exec_lo, s4
	s_mov_b32 s4, 0
	global_store_byte v[1:2], v6, off
.LBB25_1972:
	s_and_b32 vcc_lo, exec_lo, s4
	s_cbranch_vccz .LBB25_1982
; %bb.1973:
	v_cvt_f32_f16_e32 v4, v3
	s_mov_b32 s4, exec_lo
                                        ; implicit-def: $vgpr5
	v_and_b32_e32 v6, 0x7fffffff, v4
	v_cmpx_gt_u32_e32 0x43f00000, v6
	s_xor_b32 s4, exec_lo, s4
	s_cbranch_execz .LBB25_1979
; %bb.1974:
	s_mov_b32 s5, exec_lo
                                        ; implicit-def: $vgpr5
	v_cmpx_lt_u32_e32 0x3c7fffff, v6
	s_xor_b32 s5, exec_lo, s5
; %bb.1975:
	v_bfe_u32 v5, v4, 20, 1
	v_add3_u32 v5, v4, v5, 0x407ffff
	v_and_b32_e32 v6, 0xff00000, v5
	v_lshrrev_b32_e32 v5, 20, v5
	v_cmp_ne_u32_e32 vcc_lo, 0x7f00000, v6
	v_cndmask_b32_e32 v5, 0x7e, v5, vcc_lo
; %bb.1976:
	s_andn2_saveexec_b32 s5, s5
; %bb.1977:
	v_add_f32_e64 v5, 0x46800000, |v4|
; %bb.1978:
	s_or_b32 exec_lo, exec_lo, s5
                                        ; implicit-def: $vgpr6
.LBB25_1979:
	s_andn2_saveexec_b32 s4, s4
; %bb.1980:
	v_mov_b32_e32 v5, 0x7f
	v_cmp_lt_u32_e32 vcc_lo, 0x7f800000, v6
	v_cndmask_b32_e32 v5, 0x7e, v5, vcc_lo
; %bb.1981:
	s_or_b32 exec_lo, exec_lo, s4
	v_lshrrev_b32_e32 v4, 24, v4
	v_and_or_b32 v4, 0x80, v4, v5
	global_store_byte v[1:2], v4, off
.LBB25_1982:
	s_mov_b32 s4, 0
.LBB25_1983:
	s_andn2_b32 vcc_lo, exec_lo, s4
	s_cbranch_vccnz .LBB25_1993
; %bb.1984:
	v_cvt_f32_f16_e32 v4, v3
	s_mov_b32 s4, exec_lo
                                        ; implicit-def: $vgpr5
	v_and_b32_e32 v6, 0x7fffffff, v4
	v_cmpx_gt_u32_e32 0x47800000, v6
	s_xor_b32 s4, exec_lo, s4
	s_cbranch_execz .LBB25_1990
; %bb.1985:
	s_mov_b32 s5, exec_lo
                                        ; implicit-def: $vgpr5
	v_cmpx_lt_u32_e32 0x387fffff, v6
	s_xor_b32 s5, exec_lo, s5
; %bb.1986:
	v_bfe_u32 v5, v4, 21, 1
	v_add3_u32 v5, v4, v5, 0x80fffff
	v_lshrrev_b32_e32 v5, 21, v5
; %bb.1987:
	s_andn2_saveexec_b32 s5, s5
; %bb.1988:
	v_add_f32_e64 v5, 0x43000000, |v4|
; %bb.1989:
	s_or_b32 exec_lo, exec_lo, s5
                                        ; implicit-def: $vgpr6
.LBB25_1990:
	s_andn2_saveexec_b32 s4, s4
; %bb.1991:
	v_mov_b32_e32 v5, 0x7f
	v_cmp_lt_u32_e32 vcc_lo, 0x7f800000, v6
	v_cndmask_b32_e32 v5, 0x7c, v5, vcc_lo
; %bb.1992:
	s_or_b32 exec_lo, exec_lo, s4
	v_lshrrev_b32_e32 v4, 24, v4
	v_and_or_b32 v4, 0x80, v4, v5
	global_store_byte v[1:2], v4, off
.LBB25_1993:
	s_mov_b32 s4, 0
	s_mov_b32 s5, -1
.LBB25_1994:
	s_andn2_b32 vcc_lo, exec_lo, s4
	s_mov_b32 s4, 0
	s_cbranch_vccnz .LBB25_2001
; %bb.1995:
	s_cmp_gt_i32 s3, 14
	s_mov_b32 s4, -1
	s_cbranch_scc0 .LBB25_1999
; %bb.1996:
	s_cmp_eq_u32 s3, 15
	s_mov_b32 s0, -1
	s_cbranch_scc0 .LBB25_1998
; %bb.1997:
	v_cvt_f32_f16_e32 v4, v3
	v_cmp_o_f16_e32 vcc_lo, v3, v3
	s_mov_b32 s0, 0
	s_mov_b32 s5, -1
	v_bfe_u32 v5, v4, 16, 1
	v_add3_u32 v4, v4, v5, 0x7fff
	v_mov_b32_e32 v5, 0x7fc0
	v_cndmask_b32_sdwa v4, v5, v4, vcc_lo dst_sel:DWORD dst_unused:UNUSED_PAD src0_sel:DWORD src1_sel:WORD_1
	global_store_short v[1:2], v4, off
.LBB25_1998:
	s_mov_b32 s4, 0
.LBB25_1999:
	s_and_b32 vcc_lo, exec_lo, s4
	s_mov_b32 s4, 0
	s_cbranch_vccz .LBB25_2001
; %bb.2000:
	s_cmp_lg_u32 s3, 11
	s_mov_b32 s4, -1
	s_cselect_b32 s0, -1, 0
.LBB25_2001:
	s_and_b32 vcc_lo, exec_lo, s0
	s_cbranch_vccnz .LBB25_2179
; %bb.2002:
	s_andn2_b32 vcc_lo, exec_lo, s4
	s_cbranch_vccnz .LBB25_2004
.LBB25_2003:
	v_cmp_neq_f16_e32 vcc_lo, 0, v3
	s_mov_b32 s5, -1
	v_cndmask_b32_e64 v4, 0, 1, vcc_lo
	global_store_byte v[1:2], v4, off
.LBB25_2004:
.LBB25_2005:
	s_andn2_b32 vcc_lo, exec_lo, s5
	s_cbranch_vccnz .LBB25_2121
.LBB25_2006:
	v_mul_f32_e32 v1, v18, v18
	s_mov_b32 s0, 0xb94c1982
	s_mov_b32 s3, 0x37d75334
	v_and_b32_e32 v4, 1, v19
	v_lshlrev_b32_e32 v5, 30, v19
	v_fmaak_f32 v2, s0, v1, 0x3c0881c4
	v_fmaak_f32 v3, s3, v1, 0xbab64f3b
	v_add_co_u32 v0, s0, s8, v0
	v_cmp_eq_u32_e32 vcc_lo, 0, v4
	v_fmaak_f32 v2, v1, v2, 0xbe2aaa9d
	v_fmaak_f32 v3, v1, v3, 0x3d2aabf7
	s_mov_b32 s4, 0
	s_cmp_lt_i32 s1, 11
	v_mul_f32_e32 v2, v1, v2
	v_fmaak_f32 v3, v1, v3, 0xbf000004
	v_fmac_f32_e32 v18, v18, v2
	v_fma_f32 v1, v1, v3, 1.0
	v_xor_b32_e32 v2, v8, v7
	v_and_b32_e32 v3, 0x80000000, v5
	v_cndmask_b32_e32 v1, v1, v18, vcc_lo
	v_cmp_class_f32_e64 vcc_lo, v7, 0x1f8
	v_xor3_b32 v1, v2, v3, v1
	v_cndmask_b32_e32 v1, 0x7fc00000, v1, vcc_lo
	v_cvt_f16_f32_e32 v2, v1
	v_add_co_ci_u32_e64 v1, null, s9, 0, s0
	s_mov_b32 s0, -1
	s_cbranch_scc1 .LBB25_2122
; %bb.2007:
	s_and_b32 s3, 0xffff, s1
	s_mov_b32 s5, -1
	s_cmp_gt_i32 s3, 25
	s_mov_b32 s0, 0
	s_cbranch_scc0 .LBB25_2040
; %bb.2008:
	s_cmp_gt_i32 s3, 28
	s_cbranch_scc0 .LBB25_2024
; %bb.2009:
	s_cmp_gt_i32 s3, 43
	;; [unrolled: 3-line block ×3, first 2 shown]
	s_cbranch_scc0 .LBB25_2014
; %bb.2011:
	s_cmp_eq_u32 s3, 46
	s_mov_b32 s0, -1
	s_cbranch_scc0 .LBB25_2013
; %bb.2012:
	v_cvt_f32_f16_e32 v3, v2
	v_cmp_o_f16_e32 vcc_lo, v2, v2
	s_mov_b32 s0, 0
	v_bfe_u32 v4, v3, 16, 1
	v_add3_u32 v3, v3, v4, 0x7fff
	v_mov_b32_e32 v4, 0x7fc0
	v_cndmask_b32_sdwa v3, v4, v3, vcc_lo dst_sel:DWORD dst_unused:UNUSED_PAD src0_sel:DWORD src1_sel:WORD_1
	global_store_dword v[0:1], v3, off
.LBB25_2013:
	s_mov_b32 s5, 0
.LBB25_2014:
	s_and_b32 vcc_lo, exec_lo, s5
	s_cbranch_vccz .LBB25_2019
; %bb.2015:
	s_cmp_eq_u32 s3, 44
	s_mov_b32 s0, -1
	s_cbranch_scc0 .LBB25_2019
; %bb.2016:
	v_cvt_f32_f16_e32 v3, v2
	v_mov_b32_e32 v4, 0xff
	s_mov_b32 s5, exec_lo
	v_bfe_u32 v5, v3, 23, 8
	v_cmpx_ne_u32_e32 0xff, v5
	s_cbranch_execz .LBB25_2018
; %bb.2017:
	v_and_b32_e32 v4, 0x400000, v3
	v_and_or_b32 v5, 0x3fffff, v3, v5
	v_lshrrev_b32_e32 v3, 23, v3
	v_cmp_ne_u32_e32 vcc_lo, 0, v4
	v_cmp_ne_u32_e64 s0, 0, v5
	s_and_b32 s0, vcc_lo, s0
	v_cndmask_b32_e64 v4, 0, 1, s0
	v_add_nc_u32_e32 v4, v3, v4
.LBB25_2018:
	s_or_b32 exec_lo, exec_lo, s5
	s_mov_b32 s0, 0
	global_store_byte v[0:1], v4, off
.LBB25_2019:
	s_mov_b32 s5, 0
.LBB25_2020:
	s_and_b32 vcc_lo, exec_lo, s5
	s_cbranch_vccz .LBB25_2023
; %bb.2021:
	s_cmp_eq_u32 s3, 29
	s_mov_b32 s0, -1
	s_cbranch_scc0 .LBB25_2023
; %bb.2022:
	v_cvt_f32_f16_e32 v3, v2
	v_mov_b32_e32 v4, 0
	s_mov_b32 s0, 0
	v_cvt_u32_f32_e32 v3, v3
	global_store_dwordx2 v[0:1], v[3:4], off
.LBB25_2023:
	s_mov_b32 s5, 0
.LBB25_2024:
	s_and_b32 vcc_lo, exec_lo, s5
	s_cbranch_vccz .LBB25_2039
; %bb.2025:
	s_cmp_lt_i32 s3, 27
	s_mov_b32 s5, -1
	s_cbranch_scc1 .LBB25_2031
; %bb.2026:
	s_cmp_gt_i32 s3, 27
	s_cbranch_scc0 .LBB25_2028
; %bb.2027:
	v_cvt_f32_f16_e32 v3, v2
	s_mov_b32 s5, 0
	v_cvt_u32_f32_e32 v3, v3
	global_store_dword v[0:1], v3, off
.LBB25_2028:
	s_andn2_b32 vcc_lo, exec_lo, s5
	s_cbranch_vccnz .LBB25_2030
; %bb.2029:
	v_cvt_u16_f16_e32 v3, v2
	global_store_short v[0:1], v3, off
.LBB25_2030:
	s_mov_b32 s5, 0
.LBB25_2031:
	s_andn2_b32 vcc_lo, exec_lo, s5
	s_cbranch_vccnz .LBB25_2039
; %bb.2032:
	v_cvt_f32_f16_e32 v3, v2
	v_mov_b32_e32 v5, 0x80
	s_mov_b32 s5, exec_lo
	v_and_b32_e32 v4, 0x7fffffff, v3
	v_cmpx_gt_u32_e32 0x43800000, v4
	s_cbranch_execz .LBB25_2038
; %bb.2033:
	v_cmp_lt_u32_e32 vcc_lo, 0x3bffffff, v4
	s_mov_b32 s6, 0
                                        ; implicit-def: $vgpr4
	s_and_saveexec_b32 s7, vcc_lo
	s_xor_b32 s7, exec_lo, s7
	s_cbranch_execz .LBB25_2182
; %bb.2034:
	v_bfe_u32 v4, v3, 20, 1
	s_mov_b32 s6, exec_lo
	v_add3_u32 v4, v3, v4, 0x487ffff
	v_lshrrev_b32_e32 v4, 20, v4
	s_andn2_saveexec_b32 s7, s7
	s_cbranch_execnz .LBB25_2183
.LBB25_2035:
	s_or_b32 exec_lo, exec_lo, s7
	v_mov_b32_e32 v5, 0
	s_and_saveexec_b32 s7, s6
.LBB25_2036:
	v_lshrrev_b32_e32 v3, 24, v3
	v_and_or_b32 v5, 0x80, v3, v4
.LBB25_2037:
	s_or_b32 exec_lo, exec_lo, s7
.LBB25_2038:
	s_or_b32 exec_lo, exec_lo, s5
	global_store_byte v[0:1], v5, off
.LBB25_2039:
	s_mov_b32 s5, 0
.LBB25_2040:
	s_and_b32 vcc_lo, exec_lo, s5
	s_cbranch_vccz .LBB25_2080
; %bb.2041:
	s_cmp_gt_i32 s3, 22
	s_mov_b32 s4, -1
	s_cbranch_scc0 .LBB25_2073
; %bb.2042:
	s_cmp_lt_i32 s3, 24
	s_cbranch_scc1 .LBB25_2062
; %bb.2043:
	s_cmp_gt_i32 s3, 24
	s_cbranch_scc0 .LBB25_2051
; %bb.2044:
	v_cvt_f32_f16_e32 v3, v2
	v_mov_b32_e32 v5, 0x80
	s_mov_b32 s4, exec_lo
	v_and_b32_e32 v4, 0x7fffffff, v3
	v_cmpx_gt_u32_e32 0x47800000, v4
	s_cbranch_execz .LBB25_2050
; %bb.2045:
	v_cmp_lt_u32_e32 vcc_lo, 0x37ffffff, v4
	s_mov_b32 s5, 0
                                        ; implicit-def: $vgpr4
	s_and_saveexec_b32 s6, vcc_lo
	s_xor_b32 s6, exec_lo, s6
	s_cbranch_execz .LBB25_2185
; %bb.2046:
	v_bfe_u32 v4, v3, 21, 1
	s_mov_b32 s5, exec_lo
	v_add3_u32 v4, v3, v4, 0x88fffff
	v_lshrrev_b32_e32 v4, 21, v4
	s_andn2_saveexec_b32 s6, s6
	s_cbranch_execnz .LBB25_2186
.LBB25_2047:
	s_or_b32 exec_lo, exec_lo, s6
	v_mov_b32_e32 v5, 0
	s_and_saveexec_b32 s6, s5
.LBB25_2048:
	v_lshrrev_b32_e32 v3, 24, v3
	v_and_or_b32 v5, 0x80, v3, v4
.LBB25_2049:
	s_or_b32 exec_lo, exec_lo, s6
.LBB25_2050:
	s_or_b32 exec_lo, exec_lo, s4
	s_mov_b32 s4, 0
	global_store_byte v[0:1], v5, off
.LBB25_2051:
	s_and_b32 vcc_lo, exec_lo, s4
	s_cbranch_vccz .LBB25_2061
; %bb.2052:
	v_cvt_f32_f16_e32 v3, v2
	s_mov_b32 s4, exec_lo
                                        ; implicit-def: $vgpr4
	v_and_b32_e32 v5, 0x7fffffff, v3
	v_cmpx_gt_u32_e32 0x43f00000, v5
	s_xor_b32 s4, exec_lo, s4
	s_cbranch_execz .LBB25_2058
; %bb.2053:
	s_mov_b32 s5, exec_lo
                                        ; implicit-def: $vgpr4
	v_cmpx_lt_u32_e32 0x3c7fffff, v5
	s_xor_b32 s5, exec_lo, s5
; %bb.2054:
	v_bfe_u32 v4, v3, 20, 1
	v_add3_u32 v4, v3, v4, 0x407ffff
	v_and_b32_e32 v5, 0xff00000, v4
	v_lshrrev_b32_e32 v4, 20, v4
	v_cmp_ne_u32_e32 vcc_lo, 0x7f00000, v5
	v_cndmask_b32_e32 v4, 0x7e, v4, vcc_lo
; %bb.2055:
	s_andn2_saveexec_b32 s5, s5
; %bb.2056:
	v_add_f32_e64 v4, 0x46800000, |v3|
; %bb.2057:
	s_or_b32 exec_lo, exec_lo, s5
                                        ; implicit-def: $vgpr5
.LBB25_2058:
	s_andn2_saveexec_b32 s4, s4
; %bb.2059:
	v_mov_b32_e32 v4, 0x7f
	v_cmp_lt_u32_e32 vcc_lo, 0x7f800000, v5
	v_cndmask_b32_e32 v4, 0x7e, v4, vcc_lo
; %bb.2060:
	s_or_b32 exec_lo, exec_lo, s4
	v_lshrrev_b32_e32 v3, 24, v3
	v_and_or_b32 v3, 0x80, v3, v4
	global_store_byte v[0:1], v3, off
.LBB25_2061:
	s_mov_b32 s4, 0
.LBB25_2062:
	s_andn2_b32 vcc_lo, exec_lo, s4
	s_cbranch_vccnz .LBB25_2072
; %bb.2063:
	v_cvt_f32_f16_e32 v3, v2
	s_mov_b32 s4, exec_lo
                                        ; implicit-def: $vgpr4
	v_and_b32_e32 v5, 0x7fffffff, v3
	v_cmpx_gt_u32_e32 0x47800000, v5
	s_xor_b32 s4, exec_lo, s4
	s_cbranch_execz .LBB25_2069
; %bb.2064:
	s_mov_b32 s5, exec_lo
                                        ; implicit-def: $vgpr4
	v_cmpx_lt_u32_e32 0x387fffff, v5
	s_xor_b32 s5, exec_lo, s5
; %bb.2065:
	v_bfe_u32 v4, v3, 21, 1
	v_add3_u32 v4, v3, v4, 0x80fffff
	v_lshrrev_b32_e32 v4, 21, v4
; %bb.2066:
	s_andn2_saveexec_b32 s5, s5
; %bb.2067:
	v_add_f32_e64 v4, 0x43000000, |v3|
; %bb.2068:
	s_or_b32 exec_lo, exec_lo, s5
                                        ; implicit-def: $vgpr5
.LBB25_2069:
	s_andn2_saveexec_b32 s4, s4
; %bb.2070:
	v_mov_b32_e32 v4, 0x7f
	v_cmp_lt_u32_e32 vcc_lo, 0x7f800000, v5
	v_cndmask_b32_e32 v4, 0x7c, v4, vcc_lo
; %bb.2071:
	s_or_b32 exec_lo, exec_lo, s4
	v_lshrrev_b32_e32 v3, 24, v3
	v_and_or_b32 v3, 0x80, v3, v4
	global_store_byte v[0:1], v3, off
.LBB25_2072:
	s_mov_b32 s4, 0
.LBB25_2073:
	s_andn2_b32 vcc_lo, exec_lo, s4
	s_mov_b32 s4, 0
	s_cbranch_vccnz .LBB25_2080
; %bb.2074:
	s_cmp_gt_i32 s3, 14
	s_mov_b32 s4, -1
	s_cbranch_scc0 .LBB25_2078
; %bb.2075:
	s_cmp_eq_u32 s3, 15
	s_mov_b32 s0, -1
	s_cbranch_scc0 .LBB25_2077
; %bb.2076:
	v_cvt_f32_f16_e32 v3, v2
	v_cmp_o_f16_e32 vcc_lo, v2, v2
	s_mov_b32 s0, 0
	v_bfe_u32 v4, v3, 16, 1
	v_add3_u32 v3, v3, v4, 0x7fff
	v_mov_b32_e32 v4, 0x7fc0
	v_cndmask_b32_sdwa v3, v4, v3, vcc_lo dst_sel:DWORD dst_unused:UNUSED_PAD src0_sel:DWORD src1_sel:WORD_1
	global_store_short v[0:1], v3, off
.LBB25_2077:
	s_mov_b32 s4, 0
.LBB25_2078:
	s_and_b32 vcc_lo, exec_lo, s4
	s_mov_b32 s4, 0
	s_cbranch_vccz .LBB25_2080
; %bb.2079:
	s_cmp_lg_u32 s3, 11
	s_mov_b32 s4, -1
	s_cselect_b32 s0, -1, 0
.LBB25_2080:
	s_and_b32 vcc_lo, exec_lo, s0
	s_cbranch_vccnz .LBB25_2184
.LBB25_2081:
	s_mov_b32 s0, 0
	s_branch .LBB25_2122
.LBB25_2082:
	s_and_b32 vcc_lo, exec_lo, s0
	s_cbranch_vccz .LBB25_2005
; %bb.2083:
	s_and_b32 s0, 0xffff, s1
	s_mov_b32 s3, -1
	s_cmp_lt_i32 s0, 5
	s_cbranch_scc1 .LBB25_2104
; %bb.2084:
	s_cmp_lt_i32 s0, 8
	s_cbranch_scc1 .LBB25_2094
; %bb.2085:
	;; [unrolled: 3-line block ×3, first 2 shown]
	s_cmp_gt_i32 s0, 9
	s_cbranch_scc0 .LBB25_2088
; %bb.2087:
	v_cvt_f32_f16_e32 v4, v3
	v_mov_b32_e32 v11, 0
	s_mov_b32 s3, 0
	v_cvt_f64_f32_e32 v[9:10], v4
	v_mov_b32_e32 v12, v11
	global_store_dwordx4 v[1:2], v[9:12], off
.LBB25_2088:
	s_andn2_b32 vcc_lo, exec_lo, s3
	s_cbranch_vccnz .LBB25_2090
; %bb.2089:
	v_cvt_f32_f16_e32 v4, v3
	v_mov_b32_e32 v5, 0
	global_store_dwordx2 v[1:2], v[4:5], off
.LBB25_2090:
	s_mov_b32 s3, 0
.LBB25_2091:
	s_andn2_b32 vcc_lo, exec_lo, s3
	s_cbranch_vccnz .LBB25_2093
; %bb.2092:
	v_and_b32_e32 v4, 0xffff, v3
	global_store_dword v[1:2], v4, off
.LBB25_2093:
	s_mov_b32 s3, 0
.LBB25_2094:
	s_andn2_b32 vcc_lo, exec_lo, s3
	s_cbranch_vccnz .LBB25_2103
; %bb.2095:
	s_cmp_lt_i32 s0, 6
	s_mov_b32 s3, -1
	s_cbranch_scc1 .LBB25_2101
; %bb.2096:
	s_cmp_gt_i32 s0, 6
	s_cbranch_scc0 .LBB25_2098
; %bb.2097:
	v_cvt_f32_f16_e32 v4, v3
	s_mov_b32 s3, 0
	v_cvt_f64_f32_e32 v[4:5], v4
	global_store_dwordx2 v[1:2], v[4:5], off
.LBB25_2098:
	s_andn2_b32 vcc_lo, exec_lo, s3
	s_cbranch_vccnz .LBB25_2100
; %bb.2099:
	v_cvt_f32_f16_e32 v4, v3
	global_store_dword v[1:2], v4, off
.LBB25_2100:
	s_mov_b32 s3, 0
.LBB25_2101:
	s_andn2_b32 vcc_lo, exec_lo, s3
	s_cbranch_vccnz .LBB25_2103
; %bb.2102:
	global_store_short v[1:2], v3, off
.LBB25_2103:
	s_mov_b32 s3, 0
.LBB25_2104:
	s_andn2_b32 vcc_lo, exec_lo, s3
	s_cbranch_vccnz .LBB25_2120
; %bb.2105:
	s_cmp_lt_i32 s0, 2
	s_mov_b32 s3, -1
	s_cbranch_scc1 .LBB25_2115
; %bb.2106:
	s_cmp_lt_i32 s0, 3
	s_cbranch_scc1 .LBB25_2112
; %bb.2107:
	s_cmp_gt_i32 s0, 3
	s_cbranch_scc0 .LBB25_2109
; %bb.2108:
	v_cvt_f32_f16_e32 v4, v3
	s_mov_b32 s3, 0
	v_cvt_i32_f32_e32 v4, v4
	v_ashrrev_i32_e32 v5, 31, v4
	global_store_dwordx2 v[1:2], v[4:5], off
.LBB25_2109:
	s_andn2_b32 vcc_lo, exec_lo, s3
	s_cbranch_vccnz .LBB25_2111
; %bb.2110:
	v_cvt_f32_f16_e32 v4, v3
	v_cvt_i32_f32_e32 v4, v4
	global_store_dword v[1:2], v4, off
.LBB25_2111:
	s_mov_b32 s3, 0
.LBB25_2112:
	s_andn2_b32 vcc_lo, exec_lo, s3
	s_cbranch_vccnz .LBB25_2114
; %bb.2113:
	v_cvt_i16_f16_e32 v4, v3
	global_store_short v[1:2], v4, off
.LBB25_2114:
	s_mov_b32 s3, 0
.LBB25_2115:
	s_andn2_b32 vcc_lo, exec_lo, s3
	s_cbranch_vccnz .LBB25_2120
; %bb.2116:
	s_cmp_gt_i32 s0, 0
	s_mov_b32 s0, -1
	s_cbranch_scc0 .LBB25_2118
; %bb.2117:
	v_cvt_i16_f16_e32 v4, v3
	s_mov_b32 s0, 0
	global_store_byte v[1:2], v4, off
.LBB25_2118:
	s_andn2_b32 vcc_lo, exec_lo, s0
	s_cbranch_vccnz .LBB25_2120
; %bb.2119:
	v_cvt_f32_f16_e32 v3, v3
	v_cvt_i32_f32_e32 v3, v3
	global_store_byte v[1:2], v3, off
.LBB25_2120:
	s_branch .LBB25_2006
.LBB25_2121:
	s_mov_b32 s0, 0
	s_mov_b32 s4, 0
                                        ; implicit-def: $vgpr0_vgpr1
                                        ; implicit-def: $sgpr1
                                        ; implicit-def: $vgpr2
.LBB25_2122:
	s_andn2_b32 s3, s12, exec_lo
	s_and_b32 s2, s2, exec_lo
	s_and_b32 s0, s0, exec_lo
	;; [unrolled: 1-line block ×3, first 2 shown]
	s_or_b32 s12, s3, s2
.LBB25_2123:
	s_or_b32 exec_lo, exec_lo, s13
	s_and_saveexec_b32 s2, s12
	s_cbranch_execz .LBB25_2126
; %bb.2124:
	; divergent unreachable
	s_or_b32 exec_lo, exec_lo, s2
	s_and_saveexec_b32 s2, s26
	s_xor_b32 s2, exec_lo, s2
	s_cbranch_execnz .LBB25_2127
.LBB25_2125:
	s_or_b32 exec_lo, exec_lo, s2
	s_and_saveexec_b32 s2, s0
	s_cbranch_execnz .LBB25_2128
	s_branch .LBB25_2165
.LBB25_2126:
	s_or_b32 exec_lo, exec_lo, s2
	s_and_saveexec_b32 s2, s26
	s_xor_b32 s2, exec_lo, s2
	s_cbranch_execz .LBB25_2125
.LBB25_2127:
	v_cmp_neq_f16_e32 vcc_lo, 0, v2
	s_waitcnt vmcnt(0)
	v_cndmask_b32_e64 v3, 0, 1, vcc_lo
	global_store_byte v[0:1], v3, off
	s_or_b32 exec_lo, exec_lo, s2
	s_and_saveexec_b32 s2, s0
	s_cbranch_execz .LBB25_2165
.LBB25_2128:
	s_sext_i32_i16 s2, s1
	s_mov_b32 s0, -1
	s_cmp_lt_i32 s2, 5
	s_cbranch_scc1 .LBB25_2149
; %bb.2129:
	s_cmp_lt_i32 s2, 8
	s_cbranch_scc1 .LBB25_2139
; %bb.2130:
	;; [unrolled: 3-line block ×3, first 2 shown]
	s_cmp_gt_i32 s2, 9
	s_cbranch_scc0 .LBB25_2133
; %bb.2132:
	s_waitcnt vmcnt(0)
	v_cvt_f32_f16_e32 v3, v2
	v_mov_b32_e32 v5, 0
	s_mov_b32 s0, 0
	v_cvt_f64_f32_e32 v[3:4], v3
	v_mov_b32_e32 v6, v5
	global_store_dwordx4 v[0:1], v[3:6], off
.LBB25_2133:
	s_andn2_b32 vcc_lo, exec_lo, s0
	s_cbranch_vccnz .LBB25_2135
; %bb.2134:
	s_waitcnt vmcnt(0)
	v_cvt_f32_f16_e32 v3, v2
	v_mov_b32_e32 v4, 0
	global_store_dwordx2 v[0:1], v[3:4], off
.LBB25_2135:
	s_mov_b32 s0, 0
.LBB25_2136:
	s_andn2_b32 vcc_lo, exec_lo, s0
	s_cbranch_vccnz .LBB25_2138
; %bb.2137:
	s_waitcnt vmcnt(0)
	v_and_b32_e32 v3, 0xffff, v2
	global_store_dword v[0:1], v3, off
.LBB25_2138:
	s_mov_b32 s0, 0
.LBB25_2139:
	s_andn2_b32 vcc_lo, exec_lo, s0
	s_cbranch_vccnz .LBB25_2148
; %bb.2140:
	s_sext_i32_i16 s2, s1
	s_mov_b32 s0, -1
	s_cmp_lt_i32 s2, 6
	s_cbranch_scc1 .LBB25_2146
; %bb.2141:
	s_cmp_gt_i32 s2, 6
	s_cbranch_scc0 .LBB25_2143
; %bb.2142:
	s_waitcnt vmcnt(0)
	v_cvt_f32_f16_e32 v3, v2
	s_mov_b32 s0, 0
	v_cvt_f64_f32_e32 v[3:4], v3
	global_store_dwordx2 v[0:1], v[3:4], off
.LBB25_2143:
	s_andn2_b32 vcc_lo, exec_lo, s0
	s_cbranch_vccnz .LBB25_2145
; %bb.2144:
	s_waitcnt vmcnt(0)
	v_cvt_f32_f16_e32 v3, v2
	global_store_dword v[0:1], v3, off
.LBB25_2145:
	s_mov_b32 s0, 0
.LBB25_2146:
	s_andn2_b32 vcc_lo, exec_lo, s0
	s_cbranch_vccnz .LBB25_2148
; %bb.2147:
	s_waitcnt vmcnt(0)
	global_store_short v[0:1], v2, off
.LBB25_2148:
	s_mov_b32 s0, 0
.LBB25_2149:
	s_andn2_b32 vcc_lo, exec_lo, s0
	s_cbranch_vccnz .LBB25_2165
; %bb.2150:
	s_sext_i32_i16 s2, s1
	s_mov_b32 s0, -1
	s_cmp_lt_i32 s2, 2
	s_cbranch_scc1 .LBB25_2160
; %bb.2151:
	s_cmp_lt_i32 s2, 3
	s_cbranch_scc1 .LBB25_2157
; %bb.2152:
	s_cmp_gt_i32 s2, 3
	s_cbranch_scc0 .LBB25_2154
; %bb.2153:
	s_waitcnt vmcnt(0)
	v_cvt_f32_f16_e32 v3, v2
	s_mov_b32 s0, 0
	v_cvt_i32_f32_e32 v3, v3
	v_ashrrev_i32_e32 v4, 31, v3
	global_store_dwordx2 v[0:1], v[3:4], off
.LBB25_2154:
	s_andn2_b32 vcc_lo, exec_lo, s0
	s_cbranch_vccnz .LBB25_2156
; %bb.2155:
	s_waitcnt vmcnt(0)
	v_cvt_f32_f16_e32 v3, v2
	v_cvt_i32_f32_e32 v3, v3
	global_store_dword v[0:1], v3, off
.LBB25_2156:
	s_mov_b32 s0, 0
.LBB25_2157:
	s_andn2_b32 vcc_lo, exec_lo, s0
	s_cbranch_vccnz .LBB25_2159
; %bb.2158:
	s_waitcnt vmcnt(0)
	v_cvt_i16_f16_e32 v3, v2
	global_store_short v[0:1], v3, off
.LBB25_2159:
	s_mov_b32 s0, 0
.LBB25_2160:
	s_andn2_b32 vcc_lo, exec_lo, s0
	s_cbranch_vccnz .LBB25_2165
; %bb.2161:
	s_sext_i32_i16 s0, s1
	s_cmp_gt_i32 s0, 0
	s_mov_b32 s0, -1
	s_cbranch_scc0 .LBB25_2163
; %bb.2162:
	s_waitcnt vmcnt(0)
	v_cvt_i16_f16_e32 v3, v2
	s_mov_b32 s0, 0
	global_store_byte v[0:1], v3, off
.LBB25_2163:
	s_andn2_b32 vcc_lo, exec_lo, s0
	s_cbranch_vccnz .LBB25_2165
; %bb.2164:
	v_cvt_f32_f16_e32 v2, v2
	v_cvt_i32_f32_e32 v2, v2
	s_waitcnt vmcnt(0)
	global_store_byte v[0:1], v2, off
	s_endpgm
.LBB25_2165:
	s_endpgm
.LBB25_2166:
	s_or_b32 s2, s2, exec_lo
	s_trap 2
	s_cbranch_execz .LBB25_1635
	s_branch .LBB25_1636
.LBB25_2167:
	s_andn2_saveexec_b32 s10, s10
	s_cbranch_execz .LBB25_1719
.LBB25_2168:
	v_add_f32_e64 v12, 0x46000000, |v3|
	s_andn2_b32 s7, s7, exec_lo
	v_and_b32_e32 v12, 0xff, v12
	v_cmp_ne_u32_e32 vcc_lo, 0, v12
	s_and_b32 s11, vcc_lo, exec_lo
	s_or_b32 s7, s7, s11
	s_or_b32 exec_lo, exec_lo, s10
	v_mov_b32_e32 v20, 0
	s_and_saveexec_b32 s10, s7
	s_cbranch_execnz .LBB25_1720
	s_branch .LBB25_1721
.LBB25_2169:
	s_or_b32 s2, s2, exec_lo
	s_trap 2
	s_cbranch_execz .LBB25_1767
	s_branch .LBB25_1768
.LBB25_2170:
	s_andn2_saveexec_b32 s7, s7
	s_cbranch_execz .LBB25_1732
.LBB25_2171:
	v_add_f32_e64 v12, 0x42800000, |v3|
	s_andn2_b32 s6, s6, exec_lo
	v_and_b32_e32 v12, 0xff, v12
	v_cmp_ne_u32_e32 vcc_lo, 0, v12
	s_and_b32 s10, vcc_lo, exec_lo
	s_or_b32 s6, s6, s10
	s_or_b32 exec_lo, exec_lo, s7
	v_mov_b32_e32 v20, 0
	s_and_saveexec_b32 s7, s6
	s_cbranch_execnz .LBB25_1733
	s_branch .LBB25_1734
.LBB25_2172:
	s_andn2_saveexec_b32 s7, s7
	s_cbranch_execz .LBB25_1837
.LBB25_2173:
	v_add_f32_e64 v6, 0x46000000, |v5|
	s_andn2_b32 s6, s6, exec_lo
	v_and_b32_e32 v6, 0xff, v6
	v_cmp_ne_u32_e32 vcc_lo, 0, v6
	s_and_b32 s10, vcc_lo, exec_lo
	s_or_b32 s6, s6, s10
	s_or_b32 exec_lo, exec_lo, s7
	v_mov_b32_e32 v10, 0
	s_and_saveexec_b32 s7, s6
	s_cbranch_execnz .LBB25_1838
	s_branch .LBB25_1839
.LBB25_2174:
	s_or_b32 s2, s2, exec_lo
	s_trap 2
	s_cbranch_execz .LBB25_1885
	s_branch .LBB25_1886
.LBB25_2175:
	s_andn2_saveexec_b32 s6, s6
	s_cbranch_execz .LBB25_1850
.LBB25_2176:
	v_add_f32_e64 v6, 0x42800000, |v5|
	s_andn2_b32 s5, s5, exec_lo
	v_and_b32_e32 v6, 0xff, v6
	v_cmp_ne_u32_e32 vcc_lo, 0, v6
	s_and_b32 s7, vcc_lo, exec_lo
	s_or_b32 s5, s5, s7
	s_or_b32 exec_lo, exec_lo, s6
	v_mov_b32_e32 v10, 0
	s_and_saveexec_b32 s6, s5
	s_cbranch_execnz .LBB25_1851
	s_branch .LBB25_1852
.LBB25_2177:
	s_andn2_saveexec_b32 s7, s7
	s_cbranch_execz .LBB25_1955
.LBB25_2178:
	v_add_f32_e64 v5, 0x46000000, |v4|
	s_andn2_b32 s6, s6, exec_lo
	v_and_b32_e32 v5, 0xff, v5
	v_cmp_ne_u32_e32 vcc_lo, 0, v5
	s_and_b32 s10, vcc_lo, exec_lo
	s_or_b32 s6, s6, s10
	s_or_b32 exec_lo, exec_lo, s7
	v_mov_b32_e32 v6, 0
	s_and_saveexec_b32 s7, s6
	s_cbranch_execnz .LBB25_1956
	s_branch .LBB25_1957
.LBB25_2179:
	s_or_b32 s2, s2, exec_lo
	s_trap 2
	s_cbranch_execz .LBB25_2003
	s_branch .LBB25_2004
.LBB25_2180:
	s_andn2_saveexec_b32 s6, s6
	s_cbranch_execz .LBB25_1968
.LBB25_2181:
	v_add_f32_e64 v5, 0x42800000, |v4|
	s_andn2_b32 s5, s5, exec_lo
	v_and_b32_e32 v5, 0xff, v5
	v_cmp_ne_u32_e32 vcc_lo, 0, v5
	s_and_b32 s7, vcc_lo, exec_lo
	s_or_b32 s5, s5, s7
	s_or_b32 exec_lo, exec_lo, s6
	v_mov_b32_e32 v6, 0
	s_and_saveexec_b32 s6, s5
	s_cbranch_execnz .LBB25_1969
	s_branch .LBB25_1970
.LBB25_2182:
	s_andn2_saveexec_b32 s7, s7
	s_cbranch_execz .LBB25_2035
.LBB25_2183:
	v_add_f32_e64 v4, 0x46000000, |v3|
	s_andn2_b32 s6, s6, exec_lo
	v_and_b32_e32 v4, 0xff, v4
	v_cmp_ne_u32_e32 vcc_lo, 0, v4
	s_and_b32 s8, vcc_lo, exec_lo
	s_or_b32 s6, s6, s8
	s_or_b32 exec_lo, exec_lo, s7
	v_mov_b32_e32 v5, 0
	s_and_saveexec_b32 s7, s6
	s_cbranch_execnz .LBB25_2036
	s_branch .LBB25_2037
.LBB25_2184:
	s_mov_b32 s4, 0
	s_or_b32 s2, s2, exec_lo
	s_trap 2
	s_branch .LBB25_2081
.LBB25_2185:
	s_andn2_saveexec_b32 s6, s6
	s_cbranch_execz .LBB25_2047
.LBB25_2186:
	v_add_f32_e64 v4, 0x42800000, |v3|
	s_andn2_b32 s5, s5, exec_lo
	v_and_b32_e32 v4, 0xff, v4
	v_cmp_ne_u32_e32 vcc_lo, 0, v4
	s_and_b32 s7, vcc_lo, exec_lo
	s_or_b32 s5, s5, s7
	s_or_b32 exec_lo, exec_lo, s6
	v_mov_b32_e32 v5, 0
	s_and_saveexec_b32 s6, s5
	s_cbranch_execnz .LBB25_2048
	s_branch .LBB25_2049
	.section	.rodata,"a",@progbits
	.p2align	6, 0x0
	.amdhsa_kernel _ZN2at6native32elementwise_kernel_manual_unrollILi128ELi4EZNS0_15gpu_kernel_implIZZZNS0_15sin_kernel_cudaERNS_18TensorIteratorBaseEENKUlvE0_clEvENKUlvE1_clEvEUlN3c104HalfEE_EEvS4_RKT_EUlibE0_EEviT1_
		.amdhsa_group_segment_fixed_size 0
		.amdhsa_private_segment_fixed_size 0
		.amdhsa_kernarg_size 360
		.amdhsa_user_sgpr_count 6
		.amdhsa_user_sgpr_private_segment_buffer 1
		.amdhsa_user_sgpr_dispatch_ptr 0
		.amdhsa_user_sgpr_queue_ptr 0
		.amdhsa_user_sgpr_kernarg_segment_ptr 1
		.amdhsa_user_sgpr_dispatch_id 0
		.amdhsa_user_sgpr_flat_scratch_init 0
		.amdhsa_user_sgpr_private_segment_size 0
		.amdhsa_wavefront_size32 1
		.amdhsa_uses_dynamic_stack 0
		.amdhsa_system_sgpr_private_segment_wavefront_offset 0
		.amdhsa_system_sgpr_workgroup_id_x 1
		.amdhsa_system_sgpr_workgroup_id_y 0
		.amdhsa_system_sgpr_workgroup_id_z 0
		.amdhsa_system_sgpr_workgroup_info 0
		.amdhsa_system_vgpr_workitem_id 0
		.amdhsa_next_free_vgpr 30
		.amdhsa_next_free_sgpr 68
		.amdhsa_reserve_vcc 1
		.amdhsa_reserve_flat_scratch 0
		.amdhsa_float_round_mode_32 0
		.amdhsa_float_round_mode_16_64 0
		.amdhsa_float_denorm_mode_32 3
		.amdhsa_float_denorm_mode_16_64 3
		.amdhsa_dx10_clamp 1
		.amdhsa_ieee_mode 1
		.amdhsa_fp16_overflow 0
		.amdhsa_workgroup_processor_mode 1
		.amdhsa_memory_ordered 1
		.amdhsa_forward_progress 1
		.amdhsa_shared_vgpr_count 0
		.amdhsa_exception_fp_ieee_invalid_op 0
		.amdhsa_exception_fp_denorm_src 0
		.amdhsa_exception_fp_ieee_div_zero 0
		.amdhsa_exception_fp_ieee_overflow 0
		.amdhsa_exception_fp_ieee_underflow 0
		.amdhsa_exception_fp_ieee_inexact 0
		.amdhsa_exception_int_div_zero 0
	.end_amdhsa_kernel
	.section	.text._ZN2at6native32elementwise_kernel_manual_unrollILi128ELi4EZNS0_15gpu_kernel_implIZZZNS0_15sin_kernel_cudaERNS_18TensorIteratorBaseEENKUlvE0_clEvENKUlvE1_clEvEUlN3c104HalfEE_EEvS4_RKT_EUlibE0_EEviT1_,"axG",@progbits,_ZN2at6native32elementwise_kernel_manual_unrollILi128ELi4EZNS0_15gpu_kernel_implIZZZNS0_15sin_kernel_cudaERNS_18TensorIteratorBaseEENKUlvE0_clEvENKUlvE1_clEvEUlN3c104HalfEE_EEvS4_RKT_EUlibE0_EEviT1_,comdat
.Lfunc_end25:
	.size	_ZN2at6native32elementwise_kernel_manual_unrollILi128ELi4EZNS0_15gpu_kernel_implIZZZNS0_15sin_kernel_cudaERNS_18TensorIteratorBaseEENKUlvE0_clEvENKUlvE1_clEvEUlN3c104HalfEE_EEvS4_RKT_EUlibE0_EEviT1_, .Lfunc_end25-_ZN2at6native32elementwise_kernel_manual_unrollILi128ELi4EZNS0_15gpu_kernel_implIZZZNS0_15sin_kernel_cudaERNS_18TensorIteratorBaseEENKUlvE0_clEvENKUlvE1_clEvEUlN3c104HalfEE_EEvS4_RKT_EUlibE0_EEviT1_
                                        ; -- End function
	.set _ZN2at6native32elementwise_kernel_manual_unrollILi128ELi4EZNS0_15gpu_kernel_implIZZZNS0_15sin_kernel_cudaERNS_18TensorIteratorBaseEENKUlvE0_clEvENKUlvE1_clEvEUlN3c104HalfEE_EEvS4_RKT_EUlibE0_EEviT1_.num_vgpr, 30
	.set _ZN2at6native32elementwise_kernel_manual_unrollILi128ELi4EZNS0_15gpu_kernel_implIZZZNS0_15sin_kernel_cudaERNS_18TensorIteratorBaseEENKUlvE0_clEvENKUlvE1_clEvEUlN3c104HalfEE_EEvS4_RKT_EUlibE0_EEviT1_.num_agpr, 0
	.set _ZN2at6native32elementwise_kernel_manual_unrollILi128ELi4EZNS0_15gpu_kernel_implIZZZNS0_15sin_kernel_cudaERNS_18TensorIteratorBaseEENKUlvE0_clEvENKUlvE1_clEvEUlN3c104HalfEE_EEvS4_RKT_EUlibE0_EEviT1_.numbered_sgpr, 68
	.set _ZN2at6native32elementwise_kernel_manual_unrollILi128ELi4EZNS0_15gpu_kernel_implIZZZNS0_15sin_kernel_cudaERNS_18TensorIteratorBaseEENKUlvE0_clEvENKUlvE1_clEvEUlN3c104HalfEE_EEvS4_RKT_EUlibE0_EEviT1_.num_named_barrier, 0
	.set _ZN2at6native32elementwise_kernel_manual_unrollILi128ELi4EZNS0_15gpu_kernel_implIZZZNS0_15sin_kernel_cudaERNS_18TensorIteratorBaseEENKUlvE0_clEvENKUlvE1_clEvEUlN3c104HalfEE_EEvS4_RKT_EUlibE0_EEviT1_.private_seg_size, 0
	.set _ZN2at6native32elementwise_kernel_manual_unrollILi128ELi4EZNS0_15gpu_kernel_implIZZZNS0_15sin_kernel_cudaERNS_18TensorIteratorBaseEENKUlvE0_clEvENKUlvE1_clEvEUlN3c104HalfEE_EEvS4_RKT_EUlibE0_EEviT1_.uses_vcc, 1
	.set _ZN2at6native32elementwise_kernel_manual_unrollILi128ELi4EZNS0_15gpu_kernel_implIZZZNS0_15sin_kernel_cudaERNS_18TensorIteratorBaseEENKUlvE0_clEvENKUlvE1_clEvEUlN3c104HalfEE_EEvS4_RKT_EUlibE0_EEviT1_.uses_flat_scratch, 0
	.set _ZN2at6native32elementwise_kernel_manual_unrollILi128ELi4EZNS0_15gpu_kernel_implIZZZNS0_15sin_kernel_cudaERNS_18TensorIteratorBaseEENKUlvE0_clEvENKUlvE1_clEvEUlN3c104HalfEE_EEvS4_RKT_EUlibE0_EEviT1_.has_dyn_sized_stack, 0
	.set _ZN2at6native32elementwise_kernel_manual_unrollILi128ELi4EZNS0_15gpu_kernel_implIZZZNS0_15sin_kernel_cudaERNS_18TensorIteratorBaseEENKUlvE0_clEvENKUlvE1_clEvEUlN3c104HalfEE_EEvS4_RKT_EUlibE0_EEviT1_.has_recursion, 0
	.set _ZN2at6native32elementwise_kernel_manual_unrollILi128ELi4EZNS0_15gpu_kernel_implIZZZNS0_15sin_kernel_cudaERNS_18TensorIteratorBaseEENKUlvE0_clEvENKUlvE1_clEvEUlN3c104HalfEE_EEvS4_RKT_EUlibE0_EEviT1_.has_indirect_call, 0
	.section	.AMDGPU.csdata,"",@progbits
; Kernel info:
; codeLenInByte = 46540
; TotalNumSgprs: 70
; NumVgprs: 30
; ScratchSize: 0
; MemoryBound: 0
; FloatMode: 240
; IeeeMode: 1
; LDSByteSize: 0 bytes/workgroup (compile time only)
; SGPRBlocks: 0
; VGPRBlocks: 3
; NumSGPRsForWavesPerEU: 70
; NumVGPRsForWavesPerEU: 30
; Occupancy: 16
; WaveLimiterHint : 1
; COMPUTE_PGM_RSRC2:SCRATCH_EN: 0
; COMPUTE_PGM_RSRC2:USER_SGPR: 6
; COMPUTE_PGM_RSRC2:TRAP_HANDLER: 0
; COMPUTE_PGM_RSRC2:TGID_X_EN: 1
; COMPUTE_PGM_RSRC2:TGID_Y_EN: 0
; COMPUTE_PGM_RSRC2:TGID_Z_EN: 0
; COMPUTE_PGM_RSRC2:TIDIG_COMP_CNT: 0
	.text
	.p2align	2                               ; -- Begin function _ZN2at6native25elementwise_kernel_helperILb0EZZZNS0_15sin_kernel_cudaERNS_18TensorIteratorBaseEENKUlvE0_clEvENKUlvE2_clEvEUlN3c108BFloat16EE_NS0_6memory8policies11unroll_baseILi256ESt5arrayIPcLm2EE23TrivialOffsetCalculatorILi1EjESG_NS9_15LoadWithoutCastENS9_16StoreWithoutCastELi8ELi1EEEEEvT0_T1_
	.type	_ZN2at6native25elementwise_kernel_helperILb0EZZZNS0_15sin_kernel_cudaERNS_18TensorIteratorBaseEENKUlvE0_clEvENKUlvE2_clEvEUlN3c108BFloat16EE_NS0_6memory8policies11unroll_baseILi256ESt5arrayIPcLm2EE23TrivialOffsetCalculatorILi1EjESG_NS9_15LoadWithoutCastENS9_16StoreWithoutCastELi8ELi1EEEEEvT0_T1_,@function
_ZN2at6native25elementwise_kernel_helperILb0EZZZNS0_15sin_kernel_cudaERNS_18TensorIteratorBaseEENKUlvE0_clEvENKUlvE2_clEvEUlN3c108BFloat16EE_NS0_6memory8policies11unroll_baseILi256ESt5arrayIPcLm2EE23TrivialOffsetCalculatorILi1EjESG_NS9_15LoadWithoutCastENS9_16StoreWithoutCastELi8ELi1EEEEEvT0_T1_: ; @_ZN2at6native25elementwise_kernel_helperILb0EZZZNS0_15sin_kernel_cudaERNS_18TensorIteratorBaseEENKUlvE0_clEvENKUlvE2_clEvEUlN3c108BFloat16EE_NS0_6memory8policies11unroll_baseILi256ESt5arrayIPcLm2EE23TrivialOffsetCalculatorILi1EjESG_NS9_15LoadWithoutCastENS9_16StoreWithoutCastELi8ELi1EEEEEvT0_T1_
; %bb.0:
	s_waitcnt vmcnt(0) expcnt(0) lgkmcnt(0)
	v_and_b32_e32 v7, 0x3ff, v31
	s_lshl_b32 s7, s12, 11
	v_mov_b32_e32 v11, 0
	v_mov_b32_e32 v15, 0
	v_cmp_lt_i32_e64 s4, v7, v4
	v_or_b32_e32 v5, s7, v7
	v_add_nc_u32_e32 v8, 0x100, v7
	v_mov_b32_e32 v16, v7
	s_and_saveexec_b32 s5, s4
	s_cbranch_execz .LBB26_2
; %bb.1:
	v_mov_b32_e32 v6, 0
	v_add_nc_u32_e32 v16, 0x100, v7
	v_lshlrev_b64 v[9:10], 1, v[5:6]
	v_add_co_u32 v9, vcc_lo, v2, v9
	v_add_co_ci_u32_e64 v10, null, v3, v10, vcc_lo
	flat_load_ushort v6, v[9:10]
	s_waitcnt vmcnt(0) lgkmcnt(0)
	v_lshlrev_b32_e32 v15, 16, v6
.LBB26_2:
	s_or_b32 exec_lo, exec_lo, s5
	s_mov_b32 s5, exec_lo
	v_cmpx_lt_i32_e64 v16, v4
	s_cbranch_execz .LBB26_4
; %bb.3:
	v_add_nc_u32_e32 v9, s7, v16
	v_mov_b32_e32 v10, 0
	v_add_nc_u32_e32 v16, 0x100, v16
	v_lshlrev_b64 v[9:10], 1, v[9:10]
	v_add_co_u32 v9, vcc_lo, v2, v9
	v_add_co_ci_u32_e64 v10, null, v3, v10, vcc_lo
	flat_load_ushort v6, v[9:10]
	s_waitcnt vmcnt(0) lgkmcnt(0)
	v_lshlrev_b32_e32 v11, 16, v6
.LBB26_4:
	s_or_b32 exec_lo, exec_lo, s5
	v_mov_b32_e32 v13, 0
	v_mov_b32_e32 v14, 0
	s_mov_b32 s5, exec_lo
	v_cmpx_lt_i32_e64 v16, v4
	s_cbranch_execz .LBB26_6
; %bb.5:
	v_add_nc_u32_e32 v9, s7, v16
	v_mov_b32_e32 v10, 0
	v_add_nc_u32_e32 v16, 0x100, v16
	v_lshlrev_b64 v[9:10], 1, v[9:10]
	v_add_co_u32 v9, vcc_lo, v2, v9
	v_add_co_ci_u32_e64 v10, null, v3, v10, vcc_lo
	flat_load_ushort v6, v[9:10]
	s_waitcnt vmcnt(0) lgkmcnt(0)
	v_lshlrev_b32_e32 v14, 16, v6
.LBB26_6:
	s_or_b32 exec_lo, exec_lo, s5
	s_mov_b32 s5, exec_lo
	v_cmpx_lt_i32_e64 v16, v4
	s_cbranch_execz .LBB26_8
; %bb.7:
	v_add_nc_u32_e32 v9, s7, v16
	v_mov_b32_e32 v10, 0
	v_add_nc_u32_e32 v16, 0x100, v16
	v_lshlrev_b64 v[9:10], 1, v[9:10]
	v_add_co_u32 v9, vcc_lo, v2, v9
	v_add_co_ci_u32_e64 v10, null, v3, v10, vcc_lo
	flat_load_ushort v6, v[9:10]
	s_waitcnt vmcnt(0) lgkmcnt(0)
	v_lshlrev_b32_e32 v13, 16, v6
.LBB26_8:
	s_or_b32 exec_lo, exec_lo, s5
	v_mov_b32_e32 v10, 0
	v_mov_b32_e32 v12, 0
	s_mov_b32 s5, exec_lo
	v_cmpx_lt_i32_e64 v16, v4
	s_cbranch_execz .LBB26_10
; %bb.9:
	v_add_nc_u32_e32 v17, s7, v16
	v_mov_b32_e32 v18, 0
	v_add_nc_u32_e32 v16, 0x100, v16
	v_lshlrev_b64 v[17:18], 1, v[17:18]
	v_add_co_u32 v17, vcc_lo, v2, v17
	v_add_co_ci_u32_e64 v18, null, v3, v18, vcc_lo
	flat_load_ushort v6, v[17:18]
	s_waitcnt vmcnt(0) lgkmcnt(0)
	v_lshlrev_b32_e32 v12, 16, v6
.LBB26_10:
	s_or_b32 exec_lo, exec_lo, s5
	s_mov_b32 s5, exec_lo
	v_cmpx_lt_i32_e64 v16, v4
	s_cbranch_execz .LBB26_12
; %bb.11:
	v_add_nc_u32_e32 v9, s7, v16
	v_mov_b32_e32 v10, 0
	v_add_nc_u32_e32 v16, 0x100, v16
	v_lshlrev_b64 v[9:10], 1, v[9:10]
	v_add_co_u32 v9, vcc_lo, v2, v9
	v_add_co_ci_u32_e64 v10, null, v3, v10, vcc_lo
	flat_load_ushort v6, v[9:10]
	s_waitcnt vmcnt(0) lgkmcnt(0)
	v_lshlrev_b32_e32 v10, 16, v6
.LBB26_12:
	s_or_b32 exec_lo, exec_lo, s5
	v_mov_b32_e32 v6, 0
	v_mov_b32_e32 v9, 0
	s_mov_b32 s5, exec_lo
	v_cmpx_lt_i32_e64 v16, v4
	s_cbranch_execz .LBB26_16
; %bb.13:
	v_add_nc_u32_e32 v17, s7, v16
	v_mov_b32_e32 v18, 0
	v_add_nc_u32_e32 v16, 0x100, v16
	v_lshlrev_b64 v[17:18], 1, v[17:18]
	v_add_co_u32 v17, vcc_lo, v2, v17
	v_add_co_ci_u32_e64 v18, null, v3, v18, vcc_lo
	flat_load_ushort v9, v[17:18]
	s_waitcnt vmcnt(0) lgkmcnt(0)
	v_lshlrev_b32_e32 v9, 16, v9
	s_or_b32 exec_lo, exec_lo, s5
	s_mov_b32 s5, exec_lo
	v_cmpx_lt_i32_e64 v16, v4
	s_cbranch_execnz .LBB26_17
.LBB26_14:
	s_or_b32 exec_lo, exec_lo, s5
                                        ; implicit-def: $vgpr2
	s_and_saveexec_b32 s8, s4
	s_cbranch_execnz .LBB26_18
.LBB26_15:
	s_or_b32 exec_lo, exec_lo, s8
	s_mov_b32 s8, exec_lo
                                        ; implicit-def: $vgpr3
	v_cmpx_lt_i32_e64 v8, v4
	s_cbranch_execz .LBB26_28
	s_branch .LBB26_23
.LBB26_16:
	s_or_b32 exec_lo, exec_lo, s5
	s_mov_b32 s5, exec_lo
	v_cmpx_lt_i32_e64 v16, v4
	s_cbranch_execz .LBB26_14
.LBB26_17:
	v_add_nc_u32_e32 v16, s7, v16
	v_mov_b32_e32 v17, 0
	v_lshlrev_b64 v[16:17], 1, v[16:17]
	v_add_co_u32 v2, vcc_lo, v2, v16
	v_add_co_ci_u32_e64 v3, null, v3, v17, vcc_lo
	flat_load_ushort v2, v[2:3]
	s_waitcnt vmcnt(0) lgkmcnt(0)
	v_lshlrev_b32_e32 v6, 16, v2
	s_or_b32 exec_lo, exec_lo, s5
                                        ; implicit-def: $vgpr2
	s_and_saveexec_b32 s8, s4
	s_cbranch_execz .LBB26_15
.LBB26_18:
	v_and_b32_e32 v2, 0x7fffffff, v15
                                        ; implicit-def: $vgpr16
                                        ; implicit-def: $vgpr3
	s_mov_b32 s6, exec_lo
	v_cmpx_ngt_f32_e64 0x48000000, |v15|
	s_xor_b32 s9, exec_lo, s6
	s_cbranch_execz .LBB26_20
; %bb.19:
	s_mov_b32 s5, 0x7fffff
	v_mov_b32_e32 v18, 0
	v_and_or_b32 v3, v2, s5, 0x800000
	v_lshrrev_b32_e32 v23, 23, v2
	v_mad_u64_u32 v[16:17], null, 0xfe5163ab, v3, 0
	v_add_nc_u32_e32 v24, 0xffffff88, v23
	v_cmp_lt_u32_e32 vcc_lo, 63, v24
	v_mad_u64_u32 v[19:20], null, 0x3c439041, v3, v[17:18]
	v_cndmask_b32_e64 v25, 0, 0xffffffc0, vcc_lo
	v_mov_b32_e32 v17, v20
	v_add_nc_u32_e32 v25, v25, v24
	v_mad_u64_u32 v[20:21], null, 0xdb629599, v3, v[17:18]
	v_cmp_lt_u32_e64 s5, 31, v25
	v_cndmask_b32_e64 v26, 0, 0xffffffe0, s5
	v_mov_b32_e32 v17, v21
	v_cndmask_b32_e32 v16, v20, v16, vcc_lo
	v_mad_u64_u32 v[21:22], null, 0xf534ddc0, v3, v[17:18]
	v_mov_b32_e32 v17, v22
	v_cndmask_b32_e32 v19, v21, v19, vcc_lo
	v_mad_u64_u32 v[22:23], null, 0xfc2757d1, v3, v[17:18]
	v_cndmask_b32_e64 v16, v19, v16, s5
	v_mov_b32_e32 v17, v23
	v_mad_u64_u32 v[23:24], null, 0x4e441529, v3, v[17:18]
	v_mov_b32_e32 v17, v24
	v_add_nc_u32_e32 v24, v26, v25
	v_cndmask_b32_e32 v25, v23, v21, vcc_lo
	v_mad_u64_u32 v[17:18], null, 0xa2f9836e, v3, v[17:18]
	v_cmp_lt_u32_e64 s6, 31, v24
	v_cndmask_b32_e64 v3, 0, 0xffffffe0, s6
	v_cndmask_b32_e32 v17, v17, v22, vcc_lo
	v_cndmask_b32_e32 v18, v18, v23, vcc_lo
	;; [unrolled: 1-line block ×3, first 2 shown]
	v_add_nc_u32_e32 v3, v3, v24
	v_cndmask_b32_e64 v21, v17, v25, s5
	v_cndmask_b32_e64 v17, v18, v17, s5
	;; [unrolled: 1-line block ×4, first 2 shown]
	v_sub_nc_u32_e32 v23, 32, v3
	v_cmp_eq_u32_e32 vcc_lo, 0, v3
	v_cndmask_b32_e64 v17, v17, v21, s6
	v_cndmask_b32_e64 v21, v21, v18, s6
	v_cndmask_b32_e64 v18, v18, v22, s6
	v_cndmask_b32_e64 v16, v22, v16, s6
	v_alignbit_b32 v24, v17, v21, v23
	v_alignbit_b32 v20, v21, v18, v23
	;; [unrolled: 1-line block ×3, first 2 shown]
	v_cndmask_b32_e32 v3, v24, v17, vcc_lo
	v_cndmask_b32_e32 v17, v20, v21, vcc_lo
	;; [unrolled: 1-line block ×3, first 2 shown]
	v_bfe_u32 v19, v3, 29, 1
	v_alignbit_b32 v20, v3, v17, 30
	v_alignbit_b32 v17, v17, v18, 30
	;; [unrolled: 1-line block ×3, first 2 shown]
	v_sub_nc_u32_e32 v21, 0, v19
	v_xor_b32_e32 v20, v20, v21
	v_xor_b32_e32 v17, v17, v21
	;; [unrolled: 1-line block ×3, first 2 shown]
	v_lshrrev_b32_e32 v21, 29, v3
	v_ffbh_u32_e32 v22, v20
	v_min_u32_e32 v22, 32, v22
	v_sub_nc_u32_e32 v18, 31, v22
	v_lshlrev_b32_e32 v23, 23, v22
	v_alignbit_b32 v20, v20, v17, v18
	v_alignbit_b32 v16, v17, v16, v18
	v_lshlrev_b32_e32 v17, 31, v21
	v_alignbit_b32 v18, v20, v16, 9
	v_or_b32_e32 v21, 0.5, v17
	v_lshrrev_b32_e32 v20, 9, v20
	v_or_b32_e32 v17, 0x33000000, v17
	v_ffbh_u32_e32 v24, v18
	v_sub_nc_u32_e32 v21, v21, v23
	v_min_u32_e32 v23, 32, v24
	v_or_b32_e32 v20, v20, v21
	v_not_b32_e32 v21, v23
	v_mul_f32_e32 v24, 0x3fc90fda, v20
	v_add_lshl_u32 v22, v23, v22, 23
	v_alignbit_b32 v16, v18, v16, v21
	v_fma_f32 v18, 0x3fc90fda, v20, -v24
	v_sub_nc_u32_e32 v17, v17, v22
	v_lshrrev_b32_e32 v16, 9, v16
	v_fmamk_f32 v18, v20, 0x33a22168, v18
	v_or_b32_e32 v16, v17, v16
	v_fmac_f32_e32 v18, 0x3fc90fda, v16
	v_lshrrev_b32_e32 v16, 30, v3
	v_add_f32_e32 v3, v24, v18
	v_add_nc_u32_e32 v16, v19, v16
.LBB26_20:
	s_andn2_saveexec_b32 s5, s9
; %bb.21:
	v_mul_f32_e64 v3, 0x3f22f983, |v15|
	v_rndne_f32_e32 v16, v3
	v_fma_f32 v3, 0xbfc90fda, v16, |v15|
	v_fmamk_f32 v3, v16, 0xb3a22168, v3
	v_fmamk_f32 v3, v16, 0xa7c234c4, v3
	v_cvt_i32_f32_e32 v16, v16
; %bb.22:
	s_or_b32 exec_lo, exec_lo, s5
	v_mul_f32_e32 v17, v3, v3
	s_mov_b32 s5, 0xb94c1982
	s_mov_b32 s6, 0x37d75334
	v_lshlrev_b32_e32 v20, 30, v16
	v_and_b32_e32 v16, 1, v16
	v_fmaak_f32 v18, s5, v17, 0x3c0881c4
	v_fmaak_f32 v19, s6, v17, 0xbab64f3b
	v_and_b32_e32 v20, 0x80000000, v20
	v_cmp_eq_u32_e32 vcc_lo, 0, v16
	v_fmaak_f32 v18, v17, v18, 0xbe2aaa9d
	v_fmaak_f32 v19, v17, v19, 0x3d2aabf7
	v_xor_b32_e32 v2, v2, v20
	v_mul_f32_e32 v18, v17, v18
	v_fmaak_f32 v19, v17, v19, 0xbf000004
	v_fmac_f32_e32 v3, v3, v18
	v_fma_f32 v17, v17, v19, 1.0
	v_cndmask_b32_e32 v3, v17, v3, vcc_lo
	v_cmp_class_f32_e64 vcc_lo, v15, 0x1f8
	v_xor3_b32 v2, v2, v3, v15
	v_cndmask_b32_e32 v2, 0x7fc00000, v2, vcc_lo
	v_bfe_u32 v3, v2, 16, 1
	v_cmp_o_f32_e32 vcc_lo, v2, v2
	v_add3_u32 v2, v2, v3, 0x7fff
	v_mov_b32_e32 v3, 0x7fc0
	v_cndmask_b32_sdwa v2, v3, v2, vcc_lo dst_sel:DWORD dst_unused:UNUSED_PAD src0_sel:DWORD src1_sel:WORD_1
	s_or_b32 exec_lo, exec_lo, s8
	s_mov_b32 s8, exec_lo
                                        ; implicit-def: $vgpr3
	v_cmpx_lt_i32_e64 v8, v4
	s_cbranch_execz .LBB26_28
.LBB26_23:
	v_and_b32_e32 v3, 0x7fffffff, v11
                                        ; implicit-def: $vgpr16
                                        ; implicit-def: $vgpr15
	s_mov_b32 s6, exec_lo
	v_cmpx_ngt_f32_e64 0x48000000, |v11|
	s_xor_b32 s9, exec_lo, s6
	s_cbranch_execz .LBB26_25
; %bb.24:
	s_mov_b32 s5, 0x7fffff
	v_mov_b32_e32 v17, 0
	v_and_or_b32 v24, v3, s5, 0x800000
	v_lshrrev_b32_e32 v22, 23, v3
	v_mad_u64_u32 v[15:16], null, 0xfe5163ab, v24, 0
	v_add_nc_u32_e32 v23, 0xffffff88, v22
	v_cmp_lt_u32_e32 vcc_lo, 63, v23
	v_mad_u64_u32 v[18:19], null, 0x3c439041, v24, v[16:17]
	v_cndmask_b32_e64 v25, 0, 0xffffffc0, vcc_lo
	v_mov_b32_e32 v16, v19
	v_add_nc_u32_e32 v25, v25, v23
	v_mad_u64_u32 v[19:20], null, 0xdb629599, v24, v[16:17]
	v_cmp_lt_u32_e64 s5, 31, v25
	v_cndmask_b32_e64 v26, 0, 0xffffffe0, s5
	v_mov_b32_e32 v16, v20
	v_cndmask_b32_e32 v15, v19, v15, vcc_lo
	v_mad_u64_u32 v[20:21], null, 0xf534ddc0, v24, v[16:17]
	v_mov_b32_e32 v16, v21
	v_cndmask_b32_e32 v18, v20, v18, vcc_lo
	v_mad_u64_u32 v[21:22], null, 0xfc2757d1, v24, v[16:17]
	v_cndmask_b32_e64 v15, v18, v15, s5
	v_mov_b32_e32 v16, v22
	v_mad_u64_u32 v[22:23], null, 0x4e441529, v24, v[16:17]
	v_mov_b32_e32 v16, v23
	v_add_nc_u32_e32 v23, v26, v25
	v_cndmask_b32_e32 v25, v22, v20, vcc_lo
	v_mad_u64_u32 v[16:17], null, 0xa2f9836e, v24, v[16:17]
	v_cmp_lt_u32_e64 s6, 31, v23
	v_cndmask_b32_e64 v24, 0, 0xffffffe0, s6
	v_cndmask_b32_e32 v16, v16, v21, vcc_lo
	v_cndmask_b32_e32 v17, v17, v22, vcc_lo
	;; [unrolled: 1-line block ×3, first 2 shown]
	v_add_nc_u32_e32 v22, v24, v23
	v_cndmask_b32_e64 v20, v16, v25, s5
	v_cndmask_b32_e64 v16, v17, v16, s5
	;; [unrolled: 1-line block ×4, first 2 shown]
	v_sub_nc_u32_e32 v23, 32, v22
	v_cmp_eq_u32_e32 vcc_lo, 0, v22
	v_cndmask_b32_e64 v16, v16, v20, s6
	v_cndmask_b32_e64 v20, v20, v17, s6
	v_cndmask_b32_e64 v17, v17, v21, s6
	v_cndmask_b32_e64 v15, v21, v15, s6
	v_alignbit_b32 v24, v16, v20, v23
	v_alignbit_b32 v19, v20, v17, v23
	;; [unrolled: 1-line block ×3, first 2 shown]
	v_cndmask_b32_e32 v16, v24, v16, vcc_lo
	v_cndmask_b32_e32 v18, v19, v20, vcc_lo
	;; [unrolled: 1-line block ×3, first 2 shown]
	v_bfe_u32 v19, v16, 29, 1
	v_alignbit_b32 v20, v16, v18, 30
	v_alignbit_b32 v18, v18, v17, 30
	;; [unrolled: 1-line block ×3, first 2 shown]
	v_sub_nc_u32_e32 v21, 0, v19
	v_xor_b32_e32 v20, v20, v21
	v_xor_b32_e32 v17, v18, v21
	;; [unrolled: 1-line block ×3, first 2 shown]
	v_lshrrev_b32_e32 v21, 29, v16
	v_lshrrev_b32_e32 v16, 30, v16
	v_ffbh_u32_e32 v22, v20
	v_add_nc_u32_e32 v16, v19, v16
	v_min_u32_e32 v22, 32, v22
	v_sub_nc_u32_e32 v18, 31, v22
	v_lshlrev_b32_e32 v23, 23, v22
	v_alignbit_b32 v20, v20, v17, v18
	v_alignbit_b32 v15, v17, v15, v18
	v_lshlrev_b32_e32 v17, 31, v21
	v_alignbit_b32 v18, v20, v15, 9
	v_or_b32_e32 v21, 0.5, v17
	v_lshrrev_b32_e32 v20, 9, v20
	v_or_b32_e32 v17, 0x33000000, v17
	v_ffbh_u32_e32 v24, v18
	v_sub_nc_u32_e32 v21, v21, v23
	v_min_u32_e32 v23, 32, v24
	v_or_b32_e32 v20, v20, v21
	v_not_b32_e32 v21, v23
	v_mul_f32_e32 v24, 0x3fc90fda, v20
	v_add_lshl_u32 v22, v23, v22, 23
	v_alignbit_b32 v15, v18, v15, v21
	v_fma_f32 v18, 0x3fc90fda, v20, -v24
	v_sub_nc_u32_e32 v17, v17, v22
	v_lshrrev_b32_e32 v15, 9, v15
	v_fmamk_f32 v18, v20, 0x33a22168, v18
	v_or_b32_e32 v15, v17, v15
	v_fmac_f32_e32 v18, 0x3fc90fda, v15
	v_add_f32_e32 v15, v24, v18
.LBB26_25:
	s_andn2_saveexec_b32 s5, s9
; %bb.26:
	v_mul_f32_e64 v15, 0x3f22f983, |v11|
	v_rndne_f32_e32 v16, v15
	v_fma_f32 v15, 0xbfc90fda, v16, |v11|
	v_fmamk_f32 v15, v16, 0xb3a22168, v15
	v_fmamk_f32 v15, v16, 0xa7c234c4, v15
	v_cvt_i32_f32_e32 v16, v16
; %bb.27:
	s_or_b32 exec_lo, exec_lo, s5
	v_mul_f32_e32 v17, v15, v15
	s_mov_b32 s5, 0xb94c1982
	s_mov_b32 s6, 0x37d75334
	v_lshlrev_b32_e32 v20, 30, v16
	v_and_b32_e32 v16, 1, v16
	v_fmaak_f32 v18, s5, v17, 0x3c0881c4
	v_fmaak_f32 v19, s6, v17, 0xbab64f3b
	v_and_b32_e32 v20, 0x80000000, v20
	v_cmp_eq_u32_e32 vcc_lo, 0, v16
	v_fmaak_f32 v18, v17, v18, 0xbe2aaa9d
	v_fmaak_f32 v19, v17, v19, 0x3d2aabf7
	v_xor_b32_e32 v3, v3, v20
	v_mul_f32_e32 v18, v17, v18
	v_fmaak_f32 v19, v17, v19, 0xbf000004
	v_fmac_f32_e32 v15, v15, v18
	v_fma_f32 v17, v17, v19, 1.0
	v_cndmask_b32_e32 v15, v17, v15, vcc_lo
	v_cmp_class_f32_e64 vcc_lo, v11, 0x1f8
	v_xor3_b32 v3, v3, v15, v11
	v_cndmask_b32_e32 v3, 0x7fc00000, v3, vcc_lo
	v_bfe_u32 v11, v3, 16, 1
	v_cmp_o_f32_e32 vcc_lo, v3, v3
	v_add3_u32 v3, v3, v11, 0x7fff
	v_mov_b32_e32 v11, 0x7fc0
	v_cndmask_b32_sdwa v3, v11, v3, vcc_lo dst_sel:DWORD dst_unused:UNUSED_PAD src0_sel:DWORD src1_sel:WORD_1
.LBB26_28:
	s_or_b32 exec_lo, exec_lo, s8
	v_add_nc_u32_e32 v11, 0x200, v7
	v_cmp_lt_i32_e32 vcc_lo, v11, v4
                                        ; implicit-def: $vgpr11
	s_and_saveexec_b32 s8, vcc_lo
	s_cbranch_execz .LBB26_34
; %bb.29:
	v_and_b32_e32 v11, 0x7fffffff, v14
                                        ; implicit-def: $vgpr16
                                        ; implicit-def: $vgpr15
	s_mov_b32 s6, exec_lo
	v_cmpx_ngt_f32_e64 0x48000000, |v14|
	s_xor_b32 s9, exec_lo, s6
	s_cbranch_execz .LBB26_31
; %bb.30:
	s_mov_b32 s5, 0x7fffff
	v_mov_b32_e32 v17, 0
	v_and_or_b32 v24, v11, s5, 0x800000
	v_lshrrev_b32_e32 v22, 23, v11
	v_mad_u64_u32 v[15:16], null, 0xfe5163ab, v24, 0
	v_add_nc_u32_e32 v23, 0xffffff88, v22
	v_cmp_lt_u32_e32 vcc_lo, 63, v23
	v_mad_u64_u32 v[18:19], null, 0x3c439041, v24, v[16:17]
	v_cndmask_b32_e64 v25, 0, 0xffffffc0, vcc_lo
	v_mov_b32_e32 v16, v19
	v_add_nc_u32_e32 v25, v25, v23
	v_mad_u64_u32 v[19:20], null, 0xdb629599, v24, v[16:17]
	v_cmp_lt_u32_e64 s5, 31, v25
	v_cndmask_b32_e64 v26, 0, 0xffffffe0, s5
	v_mov_b32_e32 v16, v20
	v_cndmask_b32_e32 v15, v19, v15, vcc_lo
	v_mad_u64_u32 v[20:21], null, 0xf534ddc0, v24, v[16:17]
	v_mov_b32_e32 v16, v21
	v_cndmask_b32_e32 v18, v20, v18, vcc_lo
	v_mad_u64_u32 v[21:22], null, 0xfc2757d1, v24, v[16:17]
	v_cndmask_b32_e64 v15, v18, v15, s5
	v_mov_b32_e32 v16, v22
	v_mad_u64_u32 v[22:23], null, 0x4e441529, v24, v[16:17]
	v_mov_b32_e32 v16, v23
	v_add_nc_u32_e32 v23, v26, v25
	v_cndmask_b32_e32 v25, v22, v20, vcc_lo
	v_mad_u64_u32 v[16:17], null, 0xa2f9836e, v24, v[16:17]
	v_cmp_lt_u32_e64 s6, 31, v23
	v_cndmask_b32_e64 v24, 0, 0xffffffe0, s6
	v_cndmask_b32_e32 v16, v16, v21, vcc_lo
	v_cndmask_b32_e32 v17, v17, v22, vcc_lo
	;; [unrolled: 1-line block ×3, first 2 shown]
	v_add_nc_u32_e32 v22, v24, v23
	v_cndmask_b32_e64 v20, v16, v25, s5
	v_cndmask_b32_e64 v16, v17, v16, s5
	;; [unrolled: 1-line block ×4, first 2 shown]
	v_sub_nc_u32_e32 v23, 32, v22
	v_cmp_eq_u32_e32 vcc_lo, 0, v22
	v_cndmask_b32_e64 v16, v16, v20, s6
	v_cndmask_b32_e64 v20, v20, v17, s6
	;; [unrolled: 1-line block ×4, first 2 shown]
	v_alignbit_b32 v24, v16, v20, v23
	v_alignbit_b32 v19, v20, v17, v23
	;; [unrolled: 1-line block ×3, first 2 shown]
	v_cndmask_b32_e32 v16, v24, v16, vcc_lo
	v_cndmask_b32_e32 v18, v19, v20, vcc_lo
	;; [unrolled: 1-line block ×3, first 2 shown]
	v_bfe_u32 v19, v16, 29, 1
	v_alignbit_b32 v20, v16, v18, 30
	v_alignbit_b32 v18, v18, v17, 30
	;; [unrolled: 1-line block ×3, first 2 shown]
	v_sub_nc_u32_e32 v21, 0, v19
	v_xor_b32_e32 v20, v20, v21
	v_xor_b32_e32 v17, v18, v21
	;; [unrolled: 1-line block ×3, first 2 shown]
	v_lshrrev_b32_e32 v21, 29, v16
	v_lshrrev_b32_e32 v16, 30, v16
	v_ffbh_u32_e32 v22, v20
	v_add_nc_u32_e32 v16, v19, v16
	v_min_u32_e32 v22, 32, v22
	v_sub_nc_u32_e32 v18, 31, v22
	v_lshlrev_b32_e32 v23, 23, v22
	v_alignbit_b32 v20, v20, v17, v18
	v_alignbit_b32 v15, v17, v15, v18
	v_lshlrev_b32_e32 v17, 31, v21
	v_alignbit_b32 v18, v20, v15, 9
	v_or_b32_e32 v21, 0.5, v17
	v_lshrrev_b32_e32 v20, 9, v20
	v_or_b32_e32 v17, 0x33000000, v17
	v_ffbh_u32_e32 v24, v18
	v_sub_nc_u32_e32 v21, v21, v23
	v_min_u32_e32 v23, 32, v24
	v_or_b32_e32 v20, v20, v21
	v_not_b32_e32 v21, v23
	v_mul_f32_e32 v24, 0x3fc90fda, v20
	v_add_lshl_u32 v22, v23, v22, 23
	v_alignbit_b32 v15, v18, v15, v21
	v_fma_f32 v18, 0x3fc90fda, v20, -v24
	v_sub_nc_u32_e32 v17, v17, v22
	v_lshrrev_b32_e32 v15, 9, v15
	v_fmamk_f32 v18, v20, 0x33a22168, v18
	v_or_b32_e32 v15, v17, v15
	v_fmac_f32_e32 v18, 0x3fc90fda, v15
	v_add_f32_e32 v15, v24, v18
.LBB26_31:
	s_andn2_saveexec_b32 s5, s9
; %bb.32:
	v_mul_f32_e64 v15, 0x3f22f983, |v14|
	v_rndne_f32_e32 v16, v15
	v_fma_f32 v15, 0xbfc90fda, v16, |v14|
	v_fmamk_f32 v15, v16, 0xb3a22168, v15
	v_fmamk_f32 v15, v16, 0xa7c234c4, v15
	v_cvt_i32_f32_e32 v16, v16
; %bb.33:
	s_or_b32 exec_lo, exec_lo, s5
	v_mul_f32_e32 v17, v15, v15
	s_mov_b32 s5, 0xb94c1982
	s_mov_b32 s6, 0x37d75334
	v_lshlrev_b32_e32 v20, 30, v16
	v_and_b32_e32 v16, 1, v16
	v_fmaak_f32 v18, s5, v17, 0x3c0881c4
	v_fmaak_f32 v19, s6, v17, 0xbab64f3b
	v_and_b32_e32 v20, 0x80000000, v20
	v_cmp_eq_u32_e32 vcc_lo, 0, v16
	v_fmaak_f32 v18, v17, v18, 0xbe2aaa9d
	v_fmaak_f32 v19, v17, v19, 0x3d2aabf7
	v_xor_b32_e32 v11, v11, v20
	v_mul_f32_e32 v18, v17, v18
	v_fmaak_f32 v19, v17, v19, 0xbf000004
	v_fmac_f32_e32 v15, v15, v18
	v_fma_f32 v17, v17, v19, 1.0
	v_cndmask_b32_e32 v15, v17, v15, vcc_lo
	v_cmp_class_f32_e64 vcc_lo, v14, 0x1f8
	v_xor3_b32 v11, v11, v15, v14
	v_cndmask_b32_e32 v11, 0x7fc00000, v11, vcc_lo
	v_bfe_u32 v14, v11, 16, 1
	v_cmp_o_f32_e32 vcc_lo, v11, v11
	v_add3_u32 v11, v11, v14, 0x7fff
	v_mov_b32_e32 v14, 0x7fc0
	v_cndmask_b32_sdwa v11, v14, v11, vcc_lo dst_sel:DWORD dst_unused:UNUSED_PAD src0_sel:DWORD src1_sel:WORD_1
.LBB26_34:
	s_or_b32 exec_lo, exec_lo, s8
	v_add_nc_u32_e32 v14, 0x300, v7
	v_cmp_lt_i32_e32 vcc_lo, v14, v4
                                        ; implicit-def: $vgpr14
	s_and_saveexec_b32 s8, vcc_lo
	s_cbranch_execz .LBB26_40
; %bb.35:
	v_and_b32_e32 v14, 0x7fffffff, v13
                                        ; implicit-def: $vgpr16
                                        ; implicit-def: $vgpr15
	s_mov_b32 s6, exec_lo
	v_cmpx_ngt_f32_e64 0x48000000, |v13|
	s_xor_b32 s9, exec_lo, s6
	s_cbranch_execz .LBB26_37
; %bb.36:
	s_mov_b32 s5, 0x7fffff
	v_mov_b32_e32 v17, 0
	v_and_or_b32 v24, v14, s5, 0x800000
	v_lshrrev_b32_e32 v22, 23, v14
	v_mad_u64_u32 v[15:16], null, 0xfe5163ab, v24, 0
	v_add_nc_u32_e32 v23, 0xffffff88, v22
	v_cmp_lt_u32_e32 vcc_lo, 63, v23
	v_mad_u64_u32 v[18:19], null, 0x3c439041, v24, v[16:17]
	v_cndmask_b32_e64 v25, 0, 0xffffffc0, vcc_lo
	v_mov_b32_e32 v16, v19
	v_add_nc_u32_e32 v25, v25, v23
	v_mad_u64_u32 v[19:20], null, 0xdb629599, v24, v[16:17]
	v_cmp_lt_u32_e64 s5, 31, v25
	v_cndmask_b32_e64 v26, 0, 0xffffffe0, s5
	v_mov_b32_e32 v16, v20
	v_cndmask_b32_e32 v15, v19, v15, vcc_lo
	v_mad_u64_u32 v[20:21], null, 0xf534ddc0, v24, v[16:17]
	v_mov_b32_e32 v16, v21
	v_cndmask_b32_e32 v18, v20, v18, vcc_lo
	v_mad_u64_u32 v[21:22], null, 0xfc2757d1, v24, v[16:17]
	v_cndmask_b32_e64 v15, v18, v15, s5
	v_mov_b32_e32 v16, v22
	v_mad_u64_u32 v[22:23], null, 0x4e441529, v24, v[16:17]
	v_mov_b32_e32 v16, v23
	v_add_nc_u32_e32 v23, v26, v25
	v_cndmask_b32_e32 v25, v22, v20, vcc_lo
	v_mad_u64_u32 v[16:17], null, 0xa2f9836e, v24, v[16:17]
	v_cmp_lt_u32_e64 s6, 31, v23
	v_cndmask_b32_e64 v24, 0, 0xffffffe0, s6
	v_cndmask_b32_e32 v16, v16, v21, vcc_lo
	v_cndmask_b32_e32 v17, v17, v22, vcc_lo
	v_cndmask_b32_e32 v21, v21, v19, vcc_lo
	v_add_nc_u32_e32 v22, v24, v23
	v_cndmask_b32_e64 v20, v16, v25, s5
	v_cndmask_b32_e64 v16, v17, v16, s5
	;; [unrolled: 1-line block ×4, first 2 shown]
	v_sub_nc_u32_e32 v23, 32, v22
	v_cmp_eq_u32_e32 vcc_lo, 0, v22
	v_cndmask_b32_e64 v16, v16, v20, s6
	v_cndmask_b32_e64 v20, v20, v17, s6
	;; [unrolled: 1-line block ×4, first 2 shown]
	v_alignbit_b32 v24, v16, v20, v23
	v_alignbit_b32 v19, v20, v17, v23
	;; [unrolled: 1-line block ×3, first 2 shown]
	v_cndmask_b32_e32 v16, v24, v16, vcc_lo
	v_cndmask_b32_e32 v18, v19, v20, vcc_lo
	;; [unrolled: 1-line block ×3, first 2 shown]
	v_bfe_u32 v19, v16, 29, 1
	v_alignbit_b32 v20, v16, v18, 30
	v_alignbit_b32 v18, v18, v17, 30
	;; [unrolled: 1-line block ×3, first 2 shown]
	v_sub_nc_u32_e32 v21, 0, v19
	v_xor_b32_e32 v20, v20, v21
	v_xor_b32_e32 v17, v18, v21
	;; [unrolled: 1-line block ×3, first 2 shown]
	v_lshrrev_b32_e32 v21, 29, v16
	v_lshrrev_b32_e32 v16, 30, v16
	v_ffbh_u32_e32 v22, v20
	v_add_nc_u32_e32 v16, v19, v16
	v_min_u32_e32 v22, 32, v22
	v_sub_nc_u32_e32 v18, 31, v22
	v_lshlrev_b32_e32 v23, 23, v22
	v_alignbit_b32 v20, v20, v17, v18
	v_alignbit_b32 v15, v17, v15, v18
	v_lshlrev_b32_e32 v17, 31, v21
	v_alignbit_b32 v18, v20, v15, 9
	v_or_b32_e32 v21, 0.5, v17
	v_lshrrev_b32_e32 v20, 9, v20
	v_or_b32_e32 v17, 0x33000000, v17
	v_ffbh_u32_e32 v24, v18
	v_sub_nc_u32_e32 v21, v21, v23
	v_min_u32_e32 v23, 32, v24
	v_or_b32_e32 v20, v20, v21
	v_not_b32_e32 v21, v23
	v_mul_f32_e32 v24, 0x3fc90fda, v20
	v_add_lshl_u32 v22, v23, v22, 23
	v_alignbit_b32 v15, v18, v15, v21
	v_fma_f32 v18, 0x3fc90fda, v20, -v24
	v_sub_nc_u32_e32 v17, v17, v22
	v_lshrrev_b32_e32 v15, 9, v15
	v_fmamk_f32 v18, v20, 0x33a22168, v18
	v_or_b32_e32 v15, v17, v15
	v_fmac_f32_e32 v18, 0x3fc90fda, v15
	v_add_f32_e32 v15, v24, v18
.LBB26_37:
	s_andn2_saveexec_b32 s5, s9
; %bb.38:
	v_mul_f32_e64 v15, 0x3f22f983, |v13|
	v_rndne_f32_e32 v16, v15
	v_fma_f32 v15, 0xbfc90fda, v16, |v13|
	v_fmamk_f32 v15, v16, 0xb3a22168, v15
	v_fmamk_f32 v15, v16, 0xa7c234c4, v15
	v_cvt_i32_f32_e32 v16, v16
; %bb.39:
	s_or_b32 exec_lo, exec_lo, s5
	v_mul_f32_e32 v17, v15, v15
	s_mov_b32 s5, 0xb94c1982
	s_mov_b32 s6, 0x37d75334
	v_lshlrev_b32_e32 v20, 30, v16
	v_and_b32_e32 v16, 1, v16
	v_fmaak_f32 v18, s5, v17, 0x3c0881c4
	v_fmaak_f32 v19, s6, v17, 0xbab64f3b
	v_and_b32_e32 v20, 0x80000000, v20
	v_cmp_eq_u32_e32 vcc_lo, 0, v16
	v_fmaak_f32 v18, v17, v18, 0xbe2aaa9d
	v_fmaak_f32 v19, v17, v19, 0x3d2aabf7
	v_xor_b32_e32 v14, v14, v20
	v_mul_f32_e32 v18, v17, v18
	v_fmaak_f32 v19, v17, v19, 0xbf000004
	v_fmac_f32_e32 v15, v15, v18
	v_fma_f32 v17, v17, v19, 1.0
	v_cndmask_b32_e32 v15, v17, v15, vcc_lo
	v_cmp_class_f32_e64 vcc_lo, v13, 0x1f8
	v_xor3_b32 v14, v14, v15, v13
	v_cndmask_b32_e32 v13, 0x7fc00000, v14, vcc_lo
	v_bfe_u32 v14, v13, 16, 1
	v_cmp_o_f32_e32 vcc_lo, v13, v13
	v_add3_u32 v13, v13, v14, 0x7fff
	v_mov_b32_e32 v14, 0x7fc0
	v_cndmask_b32_sdwa v14, v14, v13, vcc_lo dst_sel:DWORD dst_unused:UNUSED_PAD src0_sel:DWORD src1_sel:WORD_1
.LBB26_40:
	s_or_b32 exec_lo, exec_lo, s8
	v_or_b32_e32 v13, 0x400, v7
	v_cmp_lt_i32_e32 vcc_lo, v13, v4
                                        ; implicit-def: $vgpr13
	s_and_saveexec_b32 s8, vcc_lo
	s_cbranch_execz .LBB26_46
; %bb.41:
	v_and_b32_e32 v13, 0x7fffffff, v12
                                        ; implicit-def: $vgpr16
                                        ; implicit-def: $vgpr15
	s_mov_b32 s6, exec_lo
	v_cmpx_ngt_f32_e64 0x48000000, |v12|
	s_xor_b32 s9, exec_lo, s6
	s_cbranch_execz .LBB26_43
; %bb.42:
	s_mov_b32 s5, 0x7fffff
	v_mov_b32_e32 v17, 0
	v_and_or_b32 v24, v13, s5, 0x800000
	v_lshrrev_b32_e32 v22, 23, v13
	v_mad_u64_u32 v[15:16], null, 0xfe5163ab, v24, 0
	v_add_nc_u32_e32 v23, 0xffffff88, v22
	v_cmp_lt_u32_e32 vcc_lo, 63, v23
	v_mad_u64_u32 v[18:19], null, 0x3c439041, v24, v[16:17]
	v_cndmask_b32_e64 v25, 0, 0xffffffc0, vcc_lo
	v_mov_b32_e32 v16, v19
	v_add_nc_u32_e32 v25, v25, v23
	v_mad_u64_u32 v[19:20], null, 0xdb629599, v24, v[16:17]
	v_cmp_lt_u32_e64 s5, 31, v25
	v_cndmask_b32_e64 v26, 0, 0xffffffe0, s5
	v_mov_b32_e32 v16, v20
	v_cndmask_b32_e32 v15, v19, v15, vcc_lo
	v_mad_u64_u32 v[20:21], null, 0xf534ddc0, v24, v[16:17]
	v_mov_b32_e32 v16, v21
	v_cndmask_b32_e32 v18, v20, v18, vcc_lo
	v_mad_u64_u32 v[21:22], null, 0xfc2757d1, v24, v[16:17]
	v_cndmask_b32_e64 v15, v18, v15, s5
	v_mov_b32_e32 v16, v22
	v_mad_u64_u32 v[22:23], null, 0x4e441529, v24, v[16:17]
	v_mov_b32_e32 v16, v23
	v_add_nc_u32_e32 v23, v26, v25
	v_cndmask_b32_e32 v25, v22, v20, vcc_lo
	v_mad_u64_u32 v[16:17], null, 0xa2f9836e, v24, v[16:17]
	v_cmp_lt_u32_e64 s6, 31, v23
	v_cndmask_b32_e64 v24, 0, 0xffffffe0, s6
	v_cndmask_b32_e32 v16, v16, v21, vcc_lo
	v_cndmask_b32_e32 v17, v17, v22, vcc_lo
	;; [unrolled: 1-line block ×3, first 2 shown]
	v_add_nc_u32_e32 v22, v24, v23
	v_cndmask_b32_e64 v20, v16, v25, s5
	v_cndmask_b32_e64 v16, v17, v16, s5
	v_cndmask_b32_e64 v17, v25, v21, s5
	v_cndmask_b32_e64 v21, v21, v18, s5
	v_sub_nc_u32_e32 v23, 32, v22
	v_cmp_eq_u32_e32 vcc_lo, 0, v22
	v_cndmask_b32_e64 v16, v16, v20, s6
	v_cndmask_b32_e64 v20, v20, v17, s6
	;; [unrolled: 1-line block ×4, first 2 shown]
	v_alignbit_b32 v24, v16, v20, v23
	v_alignbit_b32 v19, v20, v17, v23
	;; [unrolled: 1-line block ×3, first 2 shown]
	v_cndmask_b32_e32 v16, v24, v16, vcc_lo
	v_cndmask_b32_e32 v18, v19, v20, vcc_lo
	;; [unrolled: 1-line block ×3, first 2 shown]
	v_bfe_u32 v19, v16, 29, 1
	v_alignbit_b32 v20, v16, v18, 30
	v_alignbit_b32 v18, v18, v17, 30
	;; [unrolled: 1-line block ×3, first 2 shown]
	v_sub_nc_u32_e32 v21, 0, v19
	v_xor_b32_e32 v20, v20, v21
	v_xor_b32_e32 v17, v18, v21
	;; [unrolled: 1-line block ×3, first 2 shown]
	v_lshrrev_b32_e32 v21, 29, v16
	v_lshrrev_b32_e32 v16, 30, v16
	v_ffbh_u32_e32 v22, v20
	v_add_nc_u32_e32 v16, v19, v16
	v_min_u32_e32 v22, 32, v22
	v_sub_nc_u32_e32 v18, 31, v22
	v_lshlrev_b32_e32 v23, 23, v22
	v_alignbit_b32 v20, v20, v17, v18
	v_alignbit_b32 v15, v17, v15, v18
	v_lshlrev_b32_e32 v17, 31, v21
	v_alignbit_b32 v18, v20, v15, 9
	v_or_b32_e32 v21, 0.5, v17
	v_lshrrev_b32_e32 v20, 9, v20
	v_or_b32_e32 v17, 0x33000000, v17
	v_ffbh_u32_e32 v24, v18
	v_sub_nc_u32_e32 v21, v21, v23
	v_min_u32_e32 v23, 32, v24
	v_or_b32_e32 v20, v20, v21
	v_not_b32_e32 v21, v23
	v_mul_f32_e32 v24, 0x3fc90fda, v20
	v_add_lshl_u32 v22, v23, v22, 23
	v_alignbit_b32 v15, v18, v15, v21
	v_fma_f32 v18, 0x3fc90fda, v20, -v24
	v_sub_nc_u32_e32 v17, v17, v22
	v_lshrrev_b32_e32 v15, 9, v15
	v_fmamk_f32 v18, v20, 0x33a22168, v18
	v_or_b32_e32 v15, v17, v15
	v_fmac_f32_e32 v18, 0x3fc90fda, v15
	v_add_f32_e32 v15, v24, v18
.LBB26_43:
	s_andn2_saveexec_b32 s5, s9
; %bb.44:
	v_mul_f32_e64 v15, 0x3f22f983, |v12|
	v_rndne_f32_e32 v16, v15
	v_fma_f32 v15, 0xbfc90fda, v16, |v12|
	v_fmamk_f32 v15, v16, 0xb3a22168, v15
	v_fmamk_f32 v15, v16, 0xa7c234c4, v15
	v_cvt_i32_f32_e32 v16, v16
; %bb.45:
	s_or_b32 exec_lo, exec_lo, s5
	v_mul_f32_e32 v17, v15, v15
	s_mov_b32 s5, 0xb94c1982
	s_mov_b32 s6, 0x37d75334
	v_lshlrev_b32_e32 v20, 30, v16
	v_and_b32_e32 v16, 1, v16
	v_fmaak_f32 v18, s5, v17, 0x3c0881c4
	v_fmaak_f32 v19, s6, v17, 0xbab64f3b
	v_and_b32_e32 v20, 0x80000000, v20
	v_cmp_eq_u32_e32 vcc_lo, 0, v16
	v_fmaak_f32 v18, v17, v18, 0xbe2aaa9d
	v_fmaak_f32 v19, v17, v19, 0x3d2aabf7
	v_xor_b32_e32 v13, v13, v20
	v_mul_f32_e32 v18, v17, v18
	v_fmaak_f32 v19, v17, v19, 0xbf000004
	v_fmac_f32_e32 v15, v15, v18
	v_fma_f32 v17, v17, v19, 1.0
	v_cndmask_b32_e32 v15, v17, v15, vcc_lo
	v_cmp_class_f32_e64 vcc_lo, v12, 0x1f8
	v_xor3_b32 v13, v13, v15, v12
	v_cndmask_b32_e32 v12, 0x7fc00000, v13, vcc_lo
	v_bfe_u32 v13, v12, 16, 1
	v_cmp_o_f32_e32 vcc_lo, v12, v12
	v_add3_u32 v12, v12, v13, 0x7fff
	v_mov_b32_e32 v13, 0x7fc0
	v_cndmask_b32_sdwa v13, v13, v12, vcc_lo dst_sel:DWORD dst_unused:UNUSED_PAD src0_sel:DWORD src1_sel:WORD_1
.LBB26_46:
	s_or_b32 exec_lo, exec_lo, s8
	v_add_nc_u32_e32 v12, 0x500, v7
	v_cmp_lt_i32_e32 vcc_lo, v12, v4
                                        ; implicit-def: $vgpr12
	s_and_saveexec_b32 s8, vcc_lo
	s_cbranch_execz .LBB26_52
; %bb.47:
	v_and_b32_e32 v12, 0x7fffffff, v10
                                        ; implicit-def: $vgpr16
                                        ; implicit-def: $vgpr15
	s_mov_b32 s6, exec_lo
	v_cmpx_ngt_f32_e64 0x48000000, |v10|
	s_xor_b32 s9, exec_lo, s6
	s_cbranch_execz .LBB26_49
; %bb.48:
	s_mov_b32 s5, 0x7fffff
	v_mov_b32_e32 v17, 0
	v_and_or_b32 v24, v12, s5, 0x800000
	v_lshrrev_b32_e32 v22, 23, v12
	v_mad_u64_u32 v[15:16], null, 0xfe5163ab, v24, 0
	v_add_nc_u32_e32 v23, 0xffffff88, v22
	v_cmp_lt_u32_e32 vcc_lo, 63, v23
	v_mad_u64_u32 v[18:19], null, 0x3c439041, v24, v[16:17]
	v_cndmask_b32_e64 v25, 0, 0xffffffc0, vcc_lo
	v_mov_b32_e32 v16, v19
	v_add_nc_u32_e32 v25, v25, v23
	v_mad_u64_u32 v[19:20], null, 0xdb629599, v24, v[16:17]
	v_cmp_lt_u32_e64 s5, 31, v25
	v_cndmask_b32_e64 v26, 0, 0xffffffe0, s5
	v_mov_b32_e32 v16, v20
	v_cndmask_b32_e32 v15, v19, v15, vcc_lo
	v_mad_u64_u32 v[20:21], null, 0xf534ddc0, v24, v[16:17]
	v_mov_b32_e32 v16, v21
	v_cndmask_b32_e32 v18, v20, v18, vcc_lo
	v_mad_u64_u32 v[21:22], null, 0xfc2757d1, v24, v[16:17]
	v_cndmask_b32_e64 v15, v18, v15, s5
	v_mov_b32_e32 v16, v22
	v_mad_u64_u32 v[22:23], null, 0x4e441529, v24, v[16:17]
	v_mov_b32_e32 v16, v23
	v_add_nc_u32_e32 v23, v26, v25
	v_cndmask_b32_e32 v25, v22, v20, vcc_lo
	v_mad_u64_u32 v[16:17], null, 0xa2f9836e, v24, v[16:17]
	v_cmp_lt_u32_e64 s6, 31, v23
	v_cndmask_b32_e64 v24, 0, 0xffffffe0, s6
	v_cndmask_b32_e32 v16, v16, v21, vcc_lo
	v_cndmask_b32_e32 v17, v17, v22, vcc_lo
	;; [unrolled: 1-line block ×3, first 2 shown]
	v_add_nc_u32_e32 v22, v24, v23
	v_cndmask_b32_e64 v20, v16, v25, s5
	v_cndmask_b32_e64 v16, v17, v16, s5
	;; [unrolled: 1-line block ×4, first 2 shown]
	v_sub_nc_u32_e32 v23, 32, v22
	v_cmp_eq_u32_e32 vcc_lo, 0, v22
	v_cndmask_b32_e64 v16, v16, v20, s6
	v_cndmask_b32_e64 v20, v20, v17, s6
	;; [unrolled: 1-line block ×4, first 2 shown]
	v_alignbit_b32 v24, v16, v20, v23
	v_alignbit_b32 v19, v20, v17, v23
	;; [unrolled: 1-line block ×3, first 2 shown]
	v_cndmask_b32_e32 v16, v24, v16, vcc_lo
	v_cndmask_b32_e32 v18, v19, v20, vcc_lo
	v_cndmask_b32_e32 v17, v22, v17, vcc_lo
	v_bfe_u32 v19, v16, 29, 1
	v_alignbit_b32 v20, v16, v18, 30
	v_alignbit_b32 v18, v18, v17, 30
	;; [unrolled: 1-line block ×3, first 2 shown]
	v_sub_nc_u32_e32 v21, 0, v19
	v_xor_b32_e32 v20, v20, v21
	v_xor_b32_e32 v17, v18, v21
	;; [unrolled: 1-line block ×3, first 2 shown]
	v_lshrrev_b32_e32 v21, 29, v16
	v_lshrrev_b32_e32 v16, 30, v16
	v_ffbh_u32_e32 v22, v20
	v_add_nc_u32_e32 v16, v19, v16
	v_min_u32_e32 v22, 32, v22
	v_sub_nc_u32_e32 v18, 31, v22
	v_lshlrev_b32_e32 v23, 23, v22
	v_alignbit_b32 v20, v20, v17, v18
	v_alignbit_b32 v15, v17, v15, v18
	v_lshlrev_b32_e32 v17, 31, v21
	v_alignbit_b32 v18, v20, v15, 9
	v_or_b32_e32 v21, 0.5, v17
	v_lshrrev_b32_e32 v20, 9, v20
	v_or_b32_e32 v17, 0x33000000, v17
	v_ffbh_u32_e32 v24, v18
	v_sub_nc_u32_e32 v21, v21, v23
	v_min_u32_e32 v23, 32, v24
	v_or_b32_e32 v20, v20, v21
	v_not_b32_e32 v21, v23
	v_mul_f32_e32 v24, 0x3fc90fda, v20
	v_add_lshl_u32 v22, v23, v22, 23
	v_alignbit_b32 v15, v18, v15, v21
	v_fma_f32 v18, 0x3fc90fda, v20, -v24
	v_sub_nc_u32_e32 v17, v17, v22
	v_lshrrev_b32_e32 v15, 9, v15
	v_fmamk_f32 v18, v20, 0x33a22168, v18
	v_or_b32_e32 v15, v17, v15
	v_fmac_f32_e32 v18, 0x3fc90fda, v15
	v_add_f32_e32 v15, v24, v18
.LBB26_49:
	s_andn2_saveexec_b32 s5, s9
; %bb.50:
	v_mul_f32_e64 v15, 0x3f22f983, |v10|
	v_rndne_f32_e32 v16, v15
	v_fma_f32 v15, 0xbfc90fda, v16, |v10|
	v_fmamk_f32 v15, v16, 0xb3a22168, v15
	v_fmamk_f32 v15, v16, 0xa7c234c4, v15
	v_cvt_i32_f32_e32 v16, v16
; %bb.51:
	s_or_b32 exec_lo, exec_lo, s5
	v_mul_f32_e32 v17, v15, v15
	s_mov_b32 s5, 0xb94c1982
	s_mov_b32 s6, 0x37d75334
	v_lshlrev_b32_e32 v20, 30, v16
	v_and_b32_e32 v16, 1, v16
	v_fmaak_f32 v18, s5, v17, 0x3c0881c4
	v_fmaak_f32 v19, s6, v17, 0xbab64f3b
	v_and_b32_e32 v20, 0x80000000, v20
	v_cmp_eq_u32_e32 vcc_lo, 0, v16
	v_fmaak_f32 v18, v17, v18, 0xbe2aaa9d
	v_fmaak_f32 v19, v17, v19, 0x3d2aabf7
	v_xor_b32_e32 v12, v12, v20
	v_mul_f32_e32 v18, v17, v18
	v_fmaak_f32 v19, v17, v19, 0xbf000004
	v_fmac_f32_e32 v15, v15, v18
	v_fma_f32 v17, v17, v19, 1.0
	v_cndmask_b32_e32 v15, v17, v15, vcc_lo
	v_cmp_class_f32_e64 vcc_lo, v10, 0x1f8
	v_xor3_b32 v12, v12, v15, v10
	v_cndmask_b32_e32 v10, 0x7fc00000, v12, vcc_lo
	v_bfe_u32 v12, v10, 16, 1
	v_cmp_o_f32_e32 vcc_lo, v10, v10
	v_add3_u32 v10, v10, v12, 0x7fff
	v_mov_b32_e32 v12, 0x7fc0
	v_cndmask_b32_sdwa v12, v12, v10, vcc_lo dst_sel:DWORD dst_unused:UNUSED_PAD src0_sel:DWORD src1_sel:WORD_1
.LBB26_52:
	s_or_b32 exec_lo, exec_lo, s8
	v_add_nc_u32_e32 v10, 0x600, v7
	v_cmp_lt_i32_e32 vcc_lo, v10, v4
                                        ; implicit-def: $vgpr10
	s_and_saveexec_b32 s8, vcc_lo
	s_cbranch_execz .LBB26_58
; %bb.53:
	v_and_b32_e32 v10, 0x7fffffff, v9
                                        ; implicit-def: $vgpr16
                                        ; implicit-def: $vgpr15
	s_mov_b32 s6, exec_lo
	v_cmpx_ngt_f32_e64 0x48000000, |v9|
	s_xor_b32 s9, exec_lo, s6
	s_cbranch_execz .LBB26_55
; %bb.54:
	s_mov_b32 s5, 0x7fffff
	v_mov_b32_e32 v17, 0
	v_and_or_b32 v24, v10, s5, 0x800000
	v_lshrrev_b32_e32 v22, 23, v10
	v_mad_u64_u32 v[15:16], null, 0xfe5163ab, v24, 0
	v_add_nc_u32_e32 v23, 0xffffff88, v22
	v_cmp_lt_u32_e32 vcc_lo, 63, v23
	v_mad_u64_u32 v[18:19], null, 0x3c439041, v24, v[16:17]
	v_cndmask_b32_e64 v25, 0, 0xffffffc0, vcc_lo
	v_mov_b32_e32 v16, v19
	v_add_nc_u32_e32 v25, v25, v23
	v_mad_u64_u32 v[19:20], null, 0xdb629599, v24, v[16:17]
	v_cmp_lt_u32_e64 s5, 31, v25
	v_cndmask_b32_e64 v26, 0, 0xffffffe0, s5
	v_mov_b32_e32 v16, v20
	v_cndmask_b32_e32 v15, v19, v15, vcc_lo
	v_mad_u64_u32 v[20:21], null, 0xf534ddc0, v24, v[16:17]
	v_mov_b32_e32 v16, v21
	v_cndmask_b32_e32 v18, v20, v18, vcc_lo
	v_mad_u64_u32 v[21:22], null, 0xfc2757d1, v24, v[16:17]
	v_cndmask_b32_e64 v15, v18, v15, s5
	v_mov_b32_e32 v16, v22
	v_mad_u64_u32 v[22:23], null, 0x4e441529, v24, v[16:17]
	v_mov_b32_e32 v16, v23
	v_add_nc_u32_e32 v23, v26, v25
	v_cndmask_b32_e32 v25, v22, v20, vcc_lo
	v_mad_u64_u32 v[16:17], null, 0xa2f9836e, v24, v[16:17]
	v_cmp_lt_u32_e64 s6, 31, v23
	v_cndmask_b32_e64 v24, 0, 0xffffffe0, s6
	v_cndmask_b32_e32 v16, v16, v21, vcc_lo
	v_cndmask_b32_e32 v17, v17, v22, vcc_lo
	;; [unrolled: 1-line block ×3, first 2 shown]
	v_add_nc_u32_e32 v22, v24, v23
	v_cndmask_b32_e64 v20, v16, v25, s5
	v_cndmask_b32_e64 v16, v17, v16, s5
	v_cndmask_b32_e64 v17, v25, v21, s5
	v_cndmask_b32_e64 v21, v21, v18, s5
	v_sub_nc_u32_e32 v23, 32, v22
	v_cmp_eq_u32_e32 vcc_lo, 0, v22
	v_cndmask_b32_e64 v16, v16, v20, s6
	v_cndmask_b32_e64 v20, v20, v17, s6
	;; [unrolled: 1-line block ×4, first 2 shown]
	v_alignbit_b32 v24, v16, v20, v23
	v_alignbit_b32 v19, v20, v17, v23
	;; [unrolled: 1-line block ×3, first 2 shown]
	v_cndmask_b32_e32 v16, v24, v16, vcc_lo
	v_cndmask_b32_e32 v18, v19, v20, vcc_lo
	;; [unrolled: 1-line block ×3, first 2 shown]
	v_bfe_u32 v19, v16, 29, 1
	v_alignbit_b32 v20, v16, v18, 30
	v_alignbit_b32 v18, v18, v17, 30
	;; [unrolled: 1-line block ×3, first 2 shown]
	v_sub_nc_u32_e32 v21, 0, v19
	v_xor_b32_e32 v20, v20, v21
	v_xor_b32_e32 v17, v18, v21
	v_xor_b32_e32 v15, v15, v21
	v_lshrrev_b32_e32 v21, 29, v16
	v_lshrrev_b32_e32 v16, 30, v16
	v_ffbh_u32_e32 v22, v20
	v_add_nc_u32_e32 v16, v19, v16
	v_min_u32_e32 v22, 32, v22
	v_sub_nc_u32_e32 v18, 31, v22
	v_lshlrev_b32_e32 v23, 23, v22
	v_alignbit_b32 v20, v20, v17, v18
	v_alignbit_b32 v15, v17, v15, v18
	v_lshlrev_b32_e32 v17, 31, v21
	v_alignbit_b32 v18, v20, v15, 9
	v_or_b32_e32 v21, 0.5, v17
	v_lshrrev_b32_e32 v20, 9, v20
	v_or_b32_e32 v17, 0x33000000, v17
	v_ffbh_u32_e32 v24, v18
	v_sub_nc_u32_e32 v21, v21, v23
	v_min_u32_e32 v23, 32, v24
	v_or_b32_e32 v20, v20, v21
	v_not_b32_e32 v21, v23
	v_mul_f32_e32 v24, 0x3fc90fda, v20
	v_add_lshl_u32 v22, v23, v22, 23
	v_alignbit_b32 v15, v18, v15, v21
	v_fma_f32 v18, 0x3fc90fda, v20, -v24
	v_sub_nc_u32_e32 v17, v17, v22
	v_lshrrev_b32_e32 v15, 9, v15
	v_fmamk_f32 v18, v20, 0x33a22168, v18
	v_or_b32_e32 v15, v17, v15
	v_fmac_f32_e32 v18, 0x3fc90fda, v15
	v_add_f32_e32 v15, v24, v18
.LBB26_55:
	s_andn2_saveexec_b32 s5, s9
; %bb.56:
	v_mul_f32_e64 v15, 0x3f22f983, |v9|
	v_rndne_f32_e32 v16, v15
	v_fma_f32 v15, 0xbfc90fda, v16, |v9|
	v_fmamk_f32 v15, v16, 0xb3a22168, v15
	v_fmamk_f32 v15, v16, 0xa7c234c4, v15
	v_cvt_i32_f32_e32 v16, v16
; %bb.57:
	s_or_b32 exec_lo, exec_lo, s5
	v_mul_f32_e32 v17, v15, v15
	s_mov_b32 s5, 0xb94c1982
	s_mov_b32 s6, 0x37d75334
	v_lshlrev_b32_e32 v20, 30, v16
	v_and_b32_e32 v16, 1, v16
	v_fmaak_f32 v18, s5, v17, 0x3c0881c4
	v_fmaak_f32 v19, s6, v17, 0xbab64f3b
	v_and_b32_e32 v20, 0x80000000, v20
	v_cmp_eq_u32_e32 vcc_lo, 0, v16
	v_fmaak_f32 v18, v17, v18, 0xbe2aaa9d
	v_fmaak_f32 v19, v17, v19, 0x3d2aabf7
	v_xor_b32_e32 v10, v10, v20
	v_mul_f32_e32 v18, v17, v18
	v_fmaak_f32 v19, v17, v19, 0xbf000004
	v_fmac_f32_e32 v15, v15, v18
	v_fma_f32 v17, v17, v19, 1.0
	v_cndmask_b32_e32 v15, v17, v15, vcc_lo
	v_cmp_class_f32_e64 vcc_lo, v9, 0x1f8
	v_xor3_b32 v10, v10, v15, v9
	v_cndmask_b32_e32 v9, 0x7fc00000, v10, vcc_lo
	v_bfe_u32 v10, v9, 16, 1
	v_cmp_o_f32_e32 vcc_lo, v9, v9
	v_add3_u32 v9, v9, v10, 0x7fff
	v_mov_b32_e32 v10, 0x7fc0
	v_cndmask_b32_sdwa v10, v10, v9, vcc_lo dst_sel:DWORD dst_unused:UNUSED_PAD src0_sel:DWORD src1_sel:WORD_1
.LBB26_58:
	s_or_b32 exec_lo, exec_lo, s8
	v_add_nc_u32_e32 v9, 0x700, v7
	v_cmp_lt_i32_e32 vcc_lo, v9, v4
                                        ; implicit-def: $vgpr9
	s_and_saveexec_b32 s8, vcc_lo
	s_cbranch_execz .LBB26_72
; %bb.59:
	v_and_b32_e32 v9, 0x7fffffff, v6
                                        ; implicit-def: $vgpr16
                                        ; implicit-def: $vgpr15
	s_mov_b32 s6, exec_lo
	v_cmpx_ngt_f32_e64 0x48000000, |v6|
	s_xor_b32 s9, exec_lo, s6
	s_cbranch_execz .LBB26_61
; %bb.60:
	s_mov_b32 s5, 0x7fffff
	v_mov_b32_e32 v17, 0
	v_and_or_b32 v24, v9, s5, 0x800000
	v_lshrrev_b32_e32 v22, 23, v9
	v_mad_u64_u32 v[15:16], null, 0xfe5163ab, v24, 0
	v_add_nc_u32_e32 v23, 0xffffff88, v22
	v_cmp_lt_u32_e32 vcc_lo, 63, v23
	v_mad_u64_u32 v[18:19], null, 0x3c439041, v24, v[16:17]
	v_cndmask_b32_e64 v25, 0, 0xffffffc0, vcc_lo
	v_mov_b32_e32 v16, v19
	v_add_nc_u32_e32 v25, v25, v23
	v_mad_u64_u32 v[19:20], null, 0xdb629599, v24, v[16:17]
	v_cmp_lt_u32_e64 s5, 31, v25
	v_cndmask_b32_e64 v26, 0, 0xffffffe0, s5
	v_mov_b32_e32 v16, v20
	v_cndmask_b32_e32 v15, v19, v15, vcc_lo
	v_mad_u64_u32 v[20:21], null, 0xf534ddc0, v24, v[16:17]
	v_mov_b32_e32 v16, v21
	v_cndmask_b32_e32 v18, v20, v18, vcc_lo
	v_mad_u64_u32 v[21:22], null, 0xfc2757d1, v24, v[16:17]
	v_cndmask_b32_e64 v15, v18, v15, s5
	v_mov_b32_e32 v16, v22
	v_mad_u64_u32 v[22:23], null, 0x4e441529, v24, v[16:17]
	v_mov_b32_e32 v16, v23
	v_add_nc_u32_e32 v23, v26, v25
	v_cndmask_b32_e32 v25, v22, v20, vcc_lo
	v_mad_u64_u32 v[16:17], null, 0xa2f9836e, v24, v[16:17]
	v_cmp_lt_u32_e64 s6, 31, v23
	v_cndmask_b32_e64 v24, 0, 0xffffffe0, s6
	v_cndmask_b32_e32 v16, v16, v21, vcc_lo
	v_cndmask_b32_e32 v17, v17, v22, vcc_lo
	;; [unrolled: 1-line block ×3, first 2 shown]
	v_add_nc_u32_e32 v22, v24, v23
	v_cndmask_b32_e64 v20, v16, v25, s5
	v_cndmask_b32_e64 v16, v17, v16, s5
	;; [unrolled: 1-line block ×4, first 2 shown]
	v_sub_nc_u32_e32 v23, 32, v22
	v_cmp_eq_u32_e32 vcc_lo, 0, v22
	v_cndmask_b32_e64 v16, v16, v20, s6
	v_cndmask_b32_e64 v20, v20, v17, s6
	;; [unrolled: 1-line block ×4, first 2 shown]
	v_alignbit_b32 v24, v16, v20, v23
	v_alignbit_b32 v19, v20, v17, v23
	;; [unrolled: 1-line block ×3, first 2 shown]
	v_cndmask_b32_e32 v16, v24, v16, vcc_lo
	v_cndmask_b32_e32 v18, v19, v20, vcc_lo
	;; [unrolled: 1-line block ×3, first 2 shown]
	v_bfe_u32 v19, v16, 29, 1
	v_alignbit_b32 v20, v16, v18, 30
	v_alignbit_b32 v18, v18, v17, 30
	;; [unrolled: 1-line block ×3, first 2 shown]
	v_sub_nc_u32_e32 v21, 0, v19
	v_xor_b32_e32 v20, v20, v21
	v_xor_b32_e32 v17, v18, v21
	;; [unrolled: 1-line block ×3, first 2 shown]
	v_lshrrev_b32_e32 v21, 29, v16
	v_lshrrev_b32_e32 v16, 30, v16
	v_ffbh_u32_e32 v22, v20
	v_add_nc_u32_e32 v16, v19, v16
	v_min_u32_e32 v22, 32, v22
	v_sub_nc_u32_e32 v18, 31, v22
	v_lshlrev_b32_e32 v23, 23, v22
	v_alignbit_b32 v20, v20, v17, v18
	v_alignbit_b32 v15, v17, v15, v18
	v_lshlrev_b32_e32 v17, 31, v21
	v_alignbit_b32 v18, v20, v15, 9
	v_or_b32_e32 v21, 0.5, v17
	v_lshrrev_b32_e32 v20, 9, v20
	v_or_b32_e32 v17, 0x33000000, v17
	v_ffbh_u32_e32 v24, v18
	v_sub_nc_u32_e32 v21, v21, v23
	v_min_u32_e32 v23, 32, v24
	v_or_b32_e32 v20, v20, v21
	v_not_b32_e32 v21, v23
	v_mul_f32_e32 v24, 0x3fc90fda, v20
	v_add_lshl_u32 v22, v23, v22, 23
	v_alignbit_b32 v15, v18, v15, v21
	v_fma_f32 v18, 0x3fc90fda, v20, -v24
	v_sub_nc_u32_e32 v17, v17, v22
	v_lshrrev_b32_e32 v15, 9, v15
	v_fmamk_f32 v18, v20, 0x33a22168, v18
	v_or_b32_e32 v15, v17, v15
	v_fmac_f32_e32 v18, 0x3fc90fda, v15
	v_add_f32_e32 v15, v24, v18
.LBB26_61:
	s_andn2_saveexec_b32 s5, s9
; %bb.62:
	v_mul_f32_e64 v15, 0x3f22f983, |v6|
	v_rndne_f32_e32 v16, v15
	v_fma_f32 v15, 0xbfc90fda, v16, |v6|
	v_fmamk_f32 v15, v16, 0xb3a22168, v15
	v_fmamk_f32 v15, v16, 0xa7c234c4, v15
	v_cvt_i32_f32_e32 v16, v16
; %bb.63:
	s_or_b32 exec_lo, exec_lo, s5
	v_mul_f32_e32 v17, v15, v15
	s_mov_b32 s5, 0xb94c1982
	s_mov_b32 s6, 0x37d75334
	v_lshlrev_b32_e32 v20, 30, v16
	v_and_b32_e32 v16, 1, v16
	v_fmaak_f32 v18, s5, v17, 0x3c0881c4
	v_fmaak_f32 v19, s6, v17, 0xbab64f3b
	v_and_b32_e32 v20, 0x80000000, v20
	v_cmp_eq_u32_e32 vcc_lo, 0, v16
	v_fmaak_f32 v18, v17, v18, 0xbe2aaa9d
	v_fmaak_f32 v19, v17, v19, 0x3d2aabf7
	v_xor_b32_e32 v9, v9, v20
	v_mul_f32_e32 v18, v17, v18
	v_fmaak_f32 v19, v17, v19, 0xbf000004
	v_fmac_f32_e32 v15, v15, v18
	v_fma_f32 v17, v17, v19, 1.0
	v_cndmask_b32_e32 v15, v17, v15, vcc_lo
	v_cmp_class_f32_e64 vcc_lo, v6, 0x1f8
	v_xor3_b32 v9, v9, v15, v6
	v_cndmask_b32_e32 v6, 0x7fc00000, v9, vcc_lo
	v_bfe_u32 v9, v6, 16, 1
	v_cmp_o_f32_e32 vcc_lo, v6, v6
	v_add3_u32 v6, v6, v9, 0x7fff
	v_mov_b32_e32 v9, 0x7fc0
	v_cndmask_b32_sdwa v9, v9, v6, vcc_lo dst_sel:DWORD dst_unused:UNUSED_PAD src0_sel:DWORD src1_sel:WORD_1
	s_or_b32 exec_lo, exec_lo, s8
	s_and_saveexec_b32 s5, s4
	s_xor_b32 s4, exec_lo, s5
	s_cbranch_execnz .LBB26_73
.LBB26_64:
	s_or_b32 exec_lo, exec_lo, s4
	s_mov_b32 s4, exec_lo
	v_cmpx_lt_i32_e64 v7, v4
	s_cbranch_execz .LBB26_74
.LBB26_65:
	v_add_nc_u32_e32 v5, s7, v7
	v_mov_b32_e32 v6, 0
	v_add_nc_u32_e32 v7, 0x100, v7
	v_lshlrev_b64 v[5:6], 1, v[5:6]
	v_add_co_u32 v5, vcc_lo, v0, v5
	v_add_co_ci_u32_e64 v6, null, v1, v6, vcc_lo
	flat_store_short v[5:6], v3
	s_or_b32 exec_lo, exec_lo, s4
	s_mov_b32 s4, exec_lo
	v_cmpx_lt_i32_e64 v7, v4
	s_cbranch_execnz .LBB26_75
.LBB26_66:
	s_or_b32 exec_lo, exec_lo, s4
	s_mov_b32 s4, exec_lo
	v_cmpx_lt_i32_e64 v7, v4
	s_cbranch_execz .LBB26_76
.LBB26_67:
	v_add_nc_u32_e32 v2, s7, v7
	v_mov_b32_e32 v3, 0
	v_add_nc_u32_e32 v7, 0x100, v7
	v_lshlrev_b64 v[2:3], 1, v[2:3]
	v_add_co_u32 v2, vcc_lo, v0, v2
	v_add_co_ci_u32_e64 v3, null, v1, v3, vcc_lo
	flat_store_short v[2:3], v14
	s_or_b32 exec_lo, exec_lo, s4
	s_mov_b32 s4, exec_lo
	v_cmpx_lt_i32_e64 v7, v4
	s_cbranch_execnz .LBB26_77
.LBB26_68:
	s_or_b32 exec_lo, exec_lo, s4
	s_mov_b32 s4, exec_lo
	v_cmpx_lt_i32_e64 v7, v4
	s_cbranch_execz .LBB26_78
.LBB26_69:
	v_add_nc_u32_e32 v2, s7, v7
	v_mov_b32_e32 v3, 0
	v_add_nc_u32_e32 v7, 0x100, v7
	v_lshlrev_b64 v[2:3], 1, v[2:3]
	v_add_co_u32 v2, vcc_lo, v0, v2
	v_add_co_ci_u32_e64 v3, null, v1, v3, vcc_lo
	flat_store_short v[2:3], v12
	s_or_b32 exec_lo, exec_lo, s4
	s_mov_b32 s4, exec_lo
	v_cmpx_lt_i32_e64 v7, v4
	s_cbranch_execnz .LBB26_79
.LBB26_70:
	s_or_b32 exec_lo, exec_lo, s4
	s_mov_b32 s4, exec_lo
	v_cmpx_lt_i32_e64 v7, v4
	s_cbranch_execz .LBB26_80
.LBB26_71:
	v_add_nc_u32_e32 v2, s7, v7
	v_mov_b32_e32 v3, 0
	v_lshlrev_b64 v[2:3], 1, v[2:3]
	v_add_co_u32 v0, vcc_lo, v0, v2
	v_add_co_ci_u32_e64 v1, null, v1, v3, vcc_lo
	flat_store_short v[0:1], v9
	s_or_b32 exec_lo, exec_lo, s4
	s_waitcnt lgkmcnt(0)
	s_setpc_b64 s[30:31]
.LBB26_72:
	s_or_b32 exec_lo, exec_lo, s8
	s_and_saveexec_b32 s5, s4
	s_xor_b32 s4, exec_lo, s5
	s_cbranch_execz .LBB26_64
.LBB26_73:
	v_mov_b32_e32 v6, 0
	v_mov_b32_e32 v7, v8
	v_lshlrev_b64 v[5:6], 1, v[5:6]
	v_add_co_u32 v5, vcc_lo, v0, v5
	v_add_co_ci_u32_e64 v6, null, v1, v6, vcc_lo
	flat_store_short v[5:6], v2
	s_or_b32 exec_lo, exec_lo, s4
	s_mov_b32 s4, exec_lo
	v_cmpx_lt_i32_e64 v7, v4
	s_cbranch_execnz .LBB26_65
.LBB26_74:
	s_or_b32 exec_lo, exec_lo, s4
	s_mov_b32 s4, exec_lo
	v_cmpx_lt_i32_e64 v7, v4
	s_cbranch_execz .LBB26_66
.LBB26_75:
	v_add_nc_u32_e32 v2, s7, v7
	v_mov_b32_e32 v3, 0
	v_add_nc_u32_e32 v7, 0x100, v7
	v_lshlrev_b64 v[2:3], 1, v[2:3]
	v_add_co_u32 v2, vcc_lo, v0, v2
	v_add_co_ci_u32_e64 v3, null, v1, v3, vcc_lo
	flat_store_short v[2:3], v11
	s_or_b32 exec_lo, exec_lo, s4
	s_mov_b32 s4, exec_lo
	v_cmpx_lt_i32_e64 v7, v4
	s_cbranch_execnz .LBB26_67
.LBB26_76:
	s_or_b32 exec_lo, exec_lo, s4
	s_mov_b32 s4, exec_lo
	v_cmpx_lt_i32_e64 v7, v4
	s_cbranch_execz .LBB26_68
.LBB26_77:
	v_add_nc_u32_e32 v2, s7, v7
	v_mov_b32_e32 v3, 0
	v_add_nc_u32_e32 v7, 0x100, v7
	v_lshlrev_b64 v[2:3], 1, v[2:3]
	v_add_co_u32 v2, vcc_lo, v0, v2
	v_add_co_ci_u32_e64 v3, null, v1, v3, vcc_lo
	flat_store_short v[2:3], v13
	s_or_b32 exec_lo, exec_lo, s4
	s_mov_b32 s4, exec_lo
	v_cmpx_lt_i32_e64 v7, v4
	s_cbranch_execnz .LBB26_69
.LBB26_78:
	s_or_b32 exec_lo, exec_lo, s4
	s_mov_b32 s4, exec_lo
	v_cmpx_lt_i32_e64 v7, v4
	s_cbranch_execz .LBB26_70
.LBB26_79:
	v_add_nc_u32_e32 v2, s7, v7
	v_mov_b32_e32 v3, 0
	v_add_nc_u32_e32 v7, 0x100, v7
	v_lshlrev_b64 v[2:3], 1, v[2:3]
	v_add_co_u32 v2, vcc_lo, v0, v2
	v_add_co_ci_u32_e64 v3, null, v1, v3, vcc_lo
	flat_store_short v[2:3], v10
	s_or_b32 exec_lo, exec_lo, s4
	s_mov_b32 s4, exec_lo
	v_cmpx_lt_i32_e64 v7, v4
	s_cbranch_execnz .LBB26_71
.LBB26_80:
	s_or_b32 exec_lo, exec_lo, s4
	s_waitcnt lgkmcnt(0)
	s_setpc_b64 s[30:31]
.Lfunc_end26:
	.size	_ZN2at6native25elementwise_kernel_helperILb0EZZZNS0_15sin_kernel_cudaERNS_18TensorIteratorBaseEENKUlvE0_clEvENKUlvE2_clEvEUlN3c108BFloat16EE_NS0_6memory8policies11unroll_baseILi256ESt5arrayIPcLm2EE23TrivialOffsetCalculatorILi1EjESG_NS9_15LoadWithoutCastENS9_16StoreWithoutCastELi8ELi1EEEEEvT0_T1_, .Lfunc_end26-_ZN2at6native25elementwise_kernel_helperILb0EZZZNS0_15sin_kernel_cudaERNS_18TensorIteratorBaseEENKUlvE0_clEvENKUlvE2_clEvEUlN3c108BFloat16EE_NS0_6memory8policies11unroll_baseILi256ESt5arrayIPcLm2EE23TrivialOffsetCalculatorILi1EjESG_NS9_15LoadWithoutCastENS9_16StoreWithoutCastELi8ELi1EEEEEvT0_T1_
                                        ; -- End function
	.set .L_ZN2at6native25elementwise_kernel_helperILb0EZZZNS0_15sin_kernel_cudaERNS_18TensorIteratorBaseEENKUlvE0_clEvENKUlvE2_clEvEUlN3c108BFloat16EE_NS0_6memory8policies11unroll_baseILi256ESt5arrayIPcLm2EE23TrivialOffsetCalculatorILi1EjESG_NS9_15LoadWithoutCastENS9_16StoreWithoutCastELi8ELi1EEEEEvT0_T1_.num_vgpr, 32
	.set .L_ZN2at6native25elementwise_kernel_helperILb0EZZZNS0_15sin_kernel_cudaERNS_18TensorIteratorBaseEENKUlvE0_clEvENKUlvE2_clEvEUlN3c108BFloat16EE_NS0_6memory8policies11unroll_baseILi256ESt5arrayIPcLm2EE23TrivialOffsetCalculatorILi1EjESG_NS9_15LoadWithoutCastENS9_16StoreWithoutCastELi8ELi1EEEEEvT0_T1_.num_agpr, 0
	.set .L_ZN2at6native25elementwise_kernel_helperILb0EZZZNS0_15sin_kernel_cudaERNS_18TensorIteratorBaseEENKUlvE0_clEvENKUlvE2_clEvEUlN3c108BFloat16EE_NS0_6memory8policies11unroll_baseILi256ESt5arrayIPcLm2EE23TrivialOffsetCalculatorILi1EjESG_NS9_15LoadWithoutCastENS9_16StoreWithoutCastELi8ELi1EEEEEvT0_T1_.numbered_sgpr, 32
	.set .L_ZN2at6native25elementwise_kernel_helperILb0EZZZNS0_15sin_kernel_cudaERNS_18TensorIteratorBaseEENKUlvE0_clEvENKUlvE2_clEvEUlN3c108BFloat16EE_NS0_6memory8policies11unroll_baseILi256ESt5arrayIPcLm2EE23TrivialOffsetCalculatorILi1EjESG_NS9_15LoadWithoutCastENS9_16StoreWithoutCastELi8ELi1EEEEEvT0_T1_.num_named_barrier, 0
	.set .L_ZN2at6native25elementwise_kernel_helperILb0EZZZNS0_15sin_kernel_cudaERNS_18TensorIteratorBaseEENKUlvE0_clEvENKUlvE2_clEvEUlN3c108BFloat16EE_NS0_6memory8policies11unroll_baseILi256ESt5arrayIPcLm2EE23TrivialOffsetCalculatorILi1EjESG_NS9_15LoadWithoutCastENS9_16StoreWithoutCastELi8ELi1EEEEEvT0_T1_.private_seg_size, 0
	.set .L_ZN2at6native25elementwise_kernel_helperILb0EZZZNS0_15sin_kernel_cudaERNS_18TensorIteratorBaseEENKUlvE0_clEvENKUlvE2_clEvEUlN3c108BFloat16EE_NS0_6memory8policies11unroll_baseILi256ESt5arrayIPcLm2EE23TrivialOffsetCalculatorILi1EjESG_NS9_15LoadWithoutCastENS9_16StoreWithoutCastELi8ELi1EEEEEvT0_T1_.uses_vcc, 1
	.set .L_ZN2at6native25elementwise_kernel_helperILb0EZZZNS0_15sin_kernel_cudaERNS_18TensorIteratorBaseEENKUlvE0_clEvENKUlvE2_clEvEUlN3c108BFloat16EE_NS0_6memory8policies11unroll_baseILi256ESt5arrayIPcLm2EE23TrivialOffsetCalculatorILi1EjESG_NS9_15LoadWithoutCastENS9_16StoreWithoutCastELi8ELi1EEEEEvT0_T1_.uses_flat_scratch, 0
	.set .L_ZN2at6native25elementwise_kernel_helperILb0EZZZNS0_15sin_kernel_cudaERNS_18TensorIteratorBaseEENKUlvE0_clEvENKUlvE2_clEvEUlN3c108BFloat16EE_NS0_6memory8policies11unroll_baseILi256ESt5arrayIPcLm2EE23TrivialOffsetCalculatorILi1EjESG_NS9_15LoadWithoutCastENS9_16StoreWithoutCastELi8ELi1EEEEEvT0_T1_.has_dyn_sized_stack, 0
	.set .L_ZN2at6native25elementwise_kernel_helperILb0EZZZNS0_15sin_kernel_cudaERNS_18TensorIteratorBaseEENKUlvE0_clEvENKUlvE2_clEvEUlN3c108BFloat16EE_NS0_6memory8policies11unroll_baseILi256ESt5arrayIPcLm2EE23TrivialOffsetCalculatorILi1EjESG_NS9_15LoadWithoutCastENS9_16StoreWithoutCastELi8ELi1EEEEEvT0_T1_.has_recursion, 0
	.set .L_ZN2at6native25elementwise_kernel_helperILb0EZZZNS0_15sin_kernel_cudaERNS_18TensorIteratorBaseEENKUlvE0_clEvENKUlvE2_clEvEUlN3c108BFloat16EE_NS0_6memory8policies11unroll_baseILi256ESt5arrayIPcLm2EE23TrivialOffsetCalculatorILi1EjESG_NS9_15LoadWithoutCastENS9_16StoreWithoutCastELi8ELi1EEEEEvT0_T1_.has_indirect_call, 0
	.section	.AMDGPU.csdata,"",@progbits
; Function info:
; codeLenInByte = 8120
; TotalNumSgprs: 34
; NumVgprs: 32
; ScratchSize: 0
; MemoryBound: 0
	.text
	.p2align	2                               ; -- Begin function _ZN2at6native25elementwise_kernel_helperILb0EZZZNS0_15sin_kernel_cudaERNS_18TensorIteratorBaseEENKUlvE0_clEvENKUlvE2_clEvEUlN3c108BFloat16EE_NS0_6memory8policies10vectorizedILi8ESt5arrayIPcLm2EELi8EEEEEvT0_T1_
	.type	_ZN2at6native25elementwise_kernel_helperILb0EZZZNS0_15sin_kernel_cudaERNS_18TensorIteratorBaseEENKUlvE0_clEvENKUlvE2_clEvEUlN3c108BFloat16EE_NS0_6memory8policies10vectorizedILi8ESt5arrayIPcLm2EELi8EEEEEvT0_T1_,@function
_ZN2at6native25elementwise_kernel_helperILb0EZZZNS0_15sin_kernel_cudaERNS_18TensorIteratorBaseEENKUlvE0_clEvENKUlvE2_clEvEUlN3c108BFloat16EE_NS0_6memory8policies10vectorizedILi8ESt5arrayIPcLm2EELi8EEEEEvT0_T1_: ; @_ZN2at6native25elementwise_kernel_helperILb0EZZZNS0_15sin_kernel_cudaERNS_18TensorIteratorBaseEENKUlvE0_clEvENKUlvE2_clEvEUlN3c108BFloat16EE_NS0_6memory8policies10vectorizedILi8ESt5arrayIPcLm2EELi8EEEEEvT0_T1_
; %bb.0:
	s_waitcnt vmcnt(0) expcnt(0) lgkmcnt(0)
	s_lshl_b32 s4, s12, 11
	v_and_b32_e32 v4, 0x3ff, v31
	s_ashr_i32 s5, s4, 31
	v_mov_b32_e32 v7, 0
	s_lshl_b64 s[6:7], s[4:5], 1
                                        ; implicit-def: $vgpr11
                                        ; implicit-def: $vgpr6
	s_mov_b32 s5, exec_lo
	v_lshlrev_b32_e32 v8, 4, v4
	v_add_co_u32 v2, vcc_lo, v2, s6
	v_add_co_ci_u32_e64 v3, null, s7, v3, vcc_lo
	v_add_co_u32 v2, vcc_lo, v2, v8
	v_add_co_ci_u32_e64 v3, null, 0, v3, vcc_lo
	flat_load_dwordx4 v[2:5], v[2:3]
	s_waitcnt vmcnt(0) lgkmcnt(0)
	v_lshlrev_b32_e32 v9, 16, v2
	v_and_b32_e32 v10, 0x7fffffff, v9
	v_cmpx_ngt_f32_e64 0x48000000, |v9|
	s_xor_b32 s8, exec_lo, s5
	s_cbranch_execz .LBB27_2
; %bb.1:
	s_mov_b32 s4, 0x7fffff
	v_lshrrev_b32_e32 v16, 23, v10
	v_and_or_b32 v18, v10, s4, 0x800000
	v_add_nc_u32_e32 v17, 0xffffff88, v16
	v_mad_u64_u32 v[11:12], null, 0xfe5163ab, v18, 0
	v_cmp_lt_u32_e32 vcc_lo, 63, v17
	v_mov_b32_e32 v6, v12
	v_cndmask_b32_e64 v19, 0, 0xffffffc0, vcc_lo
	v_mad_u64_u32 v[12:13], null, 0x3c439041, v18, v[6:7]
	v_add_nc_u32_e32 v19, v19, v17
	v_cmp_lt_u32_e64 s4, 31, v19
	v_mov_b32_e32 v6, v13
	v_cndmask_b32_e64 v20, 0, 0xffffffe0, s4
	v_mad_u64_u32 v[13:14], null, 0xdb629599, v18, v[6:7]
	v_mov_b32_e32 v6, v14
	v_cndmask_b32_e32 v11, v13, v11, vcc_lo
	v_mad_u64_u32 v[14:15], null, 0xf534ddc0, v18, v[6:7]
	v_mov_b32_e32 v6, v15
	v_cndmask_b32_e32 v12, v14, v12, vcc_lo
	v_mad_u64_u32 v[15:16], null, 0xfc2757d1, v18, v[6:7]
	v_cndmask_b32_e64 v11, v12, v11, s4
	v_mov_b32_e32 v6, v16
	v_mad_u64_u32 v[16:17], null, 0x4e441529, v18, v[6:7]
	v_mov_b32_e32 v6, v17
	v_add_nc_u32_e32 v17, v20, v19
	v_cndmask_b32_e32 v19, v16, v14, vcc_lo
	v_mad_u64_u32 v[6:7], null, 0xa2f9836e, v18, v[6:7]
	v_cmp_lt_u32_e64 s5, 31, v17
	v_cndmask_b32_e64 v18, 0, 0xffffffe0, s5
	v_cndmask_b32_e32 v6, v6, v15, vcc_lo
	v_cndmask_b32_e32 v7, v7, v16, vcc_lo
	;; [unrolled: 1-line block ×3, first 2 shown]
	v_add_nc_u32_e32 v16, v18, v17
	v_cndmask_b32_e64 v14, v6, v19, s4
	v_cndmask_b32_e64 v6, v7, v6, s4
	;; [unrolled: 1-line block ×4, first 2 shown]
	v_sub_nc_u32_e32 v17, 32, v16
	v_cmp_eq_u32_e32 vcc_lo, 0, v16
	v_cndmask_b32_e64 v6, v6, v14, s5
	v_cndmask_b32_e64 v14, v14, v7, s5
	;; [unrolled: 1-line block ×4, first 2 shown]
	v_alignbit_b32 v18, v6, v14, v17
	v_alignbit_b32 v13, v14, v7, v17
	;; [unrolled: 1-line block ×3, first 2 shown]
	v_cndmask_b32_e32 v6, v18, v6, vcc_lo
	v_cndmask_b32_e32 v12, v13, v14, vcc_lo
	;; [unrolled: 1-line block ×3, first 2 shown]
	v_bfe_u32 v13, v6, 29, 1
	v_alignbit_b32 v14, v6, v12, 30
	v_alignbit_b32 v12, v12, v7, 30
	;; [unrolled: 1-line block ×3, first 2 shown]
	v_sub_nc_u32_e32 v15, 0, v13
	v_xor_b32_e32 v14, v14, v15
	v_xor_b32_e32 v11, v12, v15
	;; [unrolled: 1-line block ×3, first 2 shown]
	v_lshrrev_b32_e32 v15, 29, v6
	v_ffbh_u32_e32 v16, v14
	v_min_u32_e32 v16, 32, v16
	v_sub_nc_u32_e32 v12, 31, v16
	v_lshlrev_b32_e32 v17, 23, v16
	v_alignbit_b32 v14, v14, v11, v12
	v_alignbit_b32 v7, v11, v7, v12
	v_lshlrev_b32_e32 v11, 31, v15
	v_alignbit_b32 v12, v14, v7, 9
	v_or_b32_e32 v15, 0.5, v11
	v_lshrrev_b32_e32 v14, 9, v14
	v_or_b32_e32 v11, 0x33000000, v11
	v_ffbh_u32_e32 v18, v12
	v_sub_nc_u32_e32 v15, v15, v17
	v_min_u32_e32 v17, 32, v18
	v_or_b32_e32 v14, v14, v15
	v_not_b32_e32 v15, v17
	v_mul_f32_e32 v18, 0x3fc90fda, v14
	v_add_lshl_u32 v16, v17, v16, 23
	v_alignbit_b32 v7, v12, v7, v15
	v_fma_f32 v12, 0x3fc90fda, v14, -v18
	v_sub_nc_u32_e32 v11, v11, v16
	v_lshrrev_b32_e32 v7, 9, v7
	v_fmamk_f32 v12, v14, 0x33a22168, v12
	v_or_b32_e32 v7, v11, v7
	v_fmac_f32_e32 v12, 0x3fc90fda, v7
	v_lshrrev_b32_e32 v7, 30, v6
	v_add_f32_e32 v6, v18, v12
	v_add_nc_u32_e32 v11, v13, v7
.LBB27_2:
	s_andn2_saveexec_b32 s4, s8
; %bb.3:
	v_mul_f32_e64 v6, 0x3f22f983, |v9|
	v_rndne_f32_e32 v7, v6
	v_fma_f32 v6, 0xbfc90fda, v7, |v9|
	v_cvt_i32_f32_e32 v11, v7
	v_fmamk_f32 v6, v7, 0xb3a22168, v6
	v_fmamk_f32 v6, v7, 0xa7c234c4, v6
; %bb.4:
	s_or_b32 exec_lo, exec_lo, s4
	v_and_b32_e32 v2, 0xffff0000, v2
                                        ; implicit-def: $vgpr15
                                        ; implicit-def: $vgpr14
	s_mov_b32 s5, exec_lo
	v_and_b32_e32 v7, 0x7fffffff, v2
	v_cmpx_ngt_f32_e64 0x48000000, |v2|
	s_xor_b32 s8, exec_lo, s5
	s_cbranch_execz .LBB27_6
; %bb.5:
	s_mov_b32 s4, 0x7fffff
	v_mov_b32_e32 v14, 0
	v_and_or_b32 v21, v7, s4, 0x800000
	v_lshrrev_b32_e32 v19, 23, v7
	v_mad_u64_u32 v[12:13], null, 0xfe5163ab, v21, 0
	v_add_nc_u32_e32 v20, 0xffffff88, v19
	v_cmp_lt_u32_e32 vcc_lo, 63, v20
	v_mad_u64_u32 v[15:16], null, 0x3c439041, v21, v[13:14]
	v_cndmask_b32_e64 v22, 0, 0xffffffc0, vcc_lo
	v_mov_b32_e32 v13, v16
	v_add_nc_u32_e32 v22, v22, v20
	v_mad_u64_u32 v[16:17], null, 0xdb629599, v21, v[13:14]
	v_cmp_lt_u32_e64 s4, 31, v22
	v_cndmask_b32_e64 v23, 0, 0xffffffe0, s4
	v_mov_b32_e32 v13, v17
	v_cndmask_b32_e32 v12, v16, v12, vcc_lo
	v_mad_u64_u32 v[17:18], null, 0xf534ddc0, v21, v[13:14]
	v_mov_b32_e32 v13, v18
	v_cndmask_b32_e32 v15, v17, v15, vcc_lo
	v_mad_u64_u32 v[18:19], null, 0xfc2757d1, v21, v[13:14]
	v_cndmask_b32_e64 v12, v15, v12, s4
	v_mov_b32_e32 v13, v19
	v_mad_u64_u32 v[19:20], null, 0x4e441529, v21, v[13:14]
	v_mov_b32_e32 v13, v20
	v_add_nc_u32_e32 v20, v23, v22
	v_cndmask_b32_e32 v22, v19, v17, vcc_lo
	v_mad_u64_u32 v[13:14], null, 0xa2f9836e, v21, v[13:14]
	v_cmp_lt_u32_e64 s5, 31, v20
	v_cndmask_b32_e64 v21, 0, 0xffffffe0, s5
	v_cndmask_b32_e32 v13, v13, v18, vcc_lo
	v_cndmask_b32_e32 v14, v14, v19, vcc_lo
	;; [unrolled: 1-line block ×3, first 2 shown]
	v_add_nc_u32_e32 v19, v21, v20
	v_cndmask_b32_e64 v17, v13, v22, s4
	v_cndmask_b32_e64 v13, v14, v13, s4
	;; [unrolled: 1-line block ×4, first 2 shown]
	v_sub_nc_u32_e32 v20, 32, v19
	v_cmp_eq_u32_e32 vcc_lo, 0, v19
	v_cndmask_b32_e64 v13, v13, v17, s5
	v_cndmask_b32_e64 v17, v17, v14, s5
	;; [unrolled: 1-line block ×4, first 2 shown]
	v_alignbit_b32 v21, v13, v17, v20
	v_alignbit_b32 v16, v17, v14, v20
	;; [unrolled: 1-line block ×3, first 2 shown]
	v_cndmask_b32_e32 v13, v21, v13, vcc_lo
	v_cndmask_b32_e32 v15, v16, v17, vcc_lo
	;; [unrolled: 1-line block ×3, first 2 shown]
	v_bfe_u32 v16, v13, 29, 1
	v_alignbit_b32 v17, v13, v15, 30
	v_alignbit_b32 v15, v15, v14, 30
	;; [unrolled: 1-line block ×3, first 2 shown]
	v_sub_nc_u32_e32 v18, 0, v16
	v_xor_b32_e32 v17, v17, v18
	v_xor_b32_e32 v14, v15, v18
	;; [unrolled: 1-line block ×3, first 2 shown]
	v_lshrrev_b32_e32 v18, 29, v13
	v_ffbh_u32_e32 v19, v17
	v_min_u32_e32 v19, 32, v19
	v_sub_nc_u32_e32 v15, 31, v19
	v_lshlrev_b32_e32 v20, 23, v19
	v_alignbit_b32 v17, v17, v14, v15
	v_alignbit_b32 v12, v14, v12, v15
	v_lshlrev_b32_e32 v14, 31, v18
	v_alignbit_b32 v15, v17, v12, 9
	v_or_b32_e32 v18, 0.5, v14
	v_lshrrev_b32_e32 v17, 9, v17
	v_or_b32_e32 v14, 0x33000000, v14
	v_ffbh_u32_e32 v21, v15
	v_sub_nc_u32_e32 v18, v18, v20
	v_min_u32_e32 v20, 32, v21
	v_or_b32_e32 v17, v17, v18
	v_not_b32_e32 v18, v20
	v_mul_f32_e32 v21, 0x3fc90fda, v17
	v_add_lshl_u32 v19, v20, v19, 23
	v_alignbit_b32 v12, v15, v12, v18
	v_fma_f32 v15, 0x3fc90fda, v17, -v21
	v_sub_nc_u32_e32 v14, v14, v19
	v_lshrrev_b32_e32 v12, 9, v12
	v_fmamk_f32 v15, v17, 0x33a22168, v15
	v_or_b32_e32 v12, v14, v12
	v_fmac_f32_e32 v15, 0x3fc90fda, v12
	v_lshrrev_b32_e32 v12, 30, v13
	v_add_f32_e32 v14, v21, v15
	v_add_nc_u32_e32 v15, v16, v12
.LBB27_6:
	s_andn2_saveexec_b32 s4, s8
; %bb.7:
	v_mul_f32_e64 v12, 0x3f22f983, |v2|
	v_rndne_f32_e32 v12, v12
	v_fma_f32 v13, 0xbfc90fda, v12, |v2|
	v_cvt_i32_f32_e32 v15, v12
	v_fmamk_f32 v13, v12, 0xb3a22168, v13
	v_fmamk_f32 v14, v12, 0xa7c234c4, v13
; %bb.8:
	s_or_b32 exec_lo, exec_lo, s4
	v_lshlrev_b32_e32 v12, 16, v3
                                        ; implicit-def: $vgpr18
                                        ; implicit-def: $vgpr16
	s_mov_b32 s5, exec_lo
	v_and_b32_e32 v13, 0x7fffffff, v12
	v_cmpx_ngt_f32_e64 0x48000000, |v12|
	s_xor_b32 s8, exec_lo, s5
	s_cbranch_execz .LBB27_10
; %bb.9:
	s_mov_b32 s4, 0x7fffff
	v_mov_b32_e32 v18, 0
	v_and_or_b32 v25, v13, s4, 0x800000
	v_lshrrev_b32_e32 v23, 23, v13
	v_mad_u64_u32 v[16:17], null, 0xfe5163ab, v25, 0
	v_add_nc_u32_e32 v24, 0xffffff88, v23
	v_cmp_lt_u32_e32 vcc_lo, 63, v24
	v_mad_u64_u32 v[19:20], null, 0x3c439041, v25, v[17:18]
	v_cndmask_b32_e64 v26, 0, 0xffffffc0, vcc_lo
	v_mov_b32_e32 v17, v20
	v_add_nc_u32_e32 v26, v26, v24
	v_mad_u64_u32 v[20:21], null, 0xdb629599, v25, v[17:18]
	v_cmp_lt_u32_e64 s4, 31, v26
	v_cndmask_b32_e64 v27, 0, 0xffffffe0, s4
	v_mov_b32_e32 v17, v21
	v_cndmask_b32_e32 v16, v20, v16, vcc_lo
	v_mad_u64_u32 v[21:22], null, 0xf534ddc0, v25, v[17:18]
	v_mov_b32_e32 v17, v22
	v_cndmask_b32_e32 v19, v21, v19, vcc_lo
	v_mad_u64_u32 v[22:23], null, 0xfc2757d1, v25, v[17:18]
	v_cndmask_b32_e64 v16, v19, v16, s4
	v_mov_b32_e32 v17, v23
	v_mad_u64_u32 v[23:24], null, 0x4e441529, v25, v[17:18]
	v_mov_b32_e32 v17, v24
	v_add_nc_u32_e32 v24, v27, v26
	v_cndmask_b32_e32 v26, v23, v21, vcc_lo
	v_mad_u64_u32 v[17:18], null, 0xa2f9836e, v25, v[17:18]
	v_cmp_lt_u32_e64 s5, 31, v24
	v_cndmask_b32_e64 v25, 0, 0xffffffe0, s5
	v_cndmask_b32_e32 v17, v17, v22, vcc_lo
	v_cndmask_b32_e32 v18, v18, v23, vcc_lo
	;; [unrolled: 1-line block ×3, first 2 shown]
	v_add_nc_u32_e32 v23, v25, v24
	v_cndmask_b32_e64 v21, v17, v26, s4
	v_cndmask_b32_e64 v17, v18, v17, s4
	;; [unrolled: 1-line block ×4, first 2 shown]
	v_sub_nc_u32_e32 v24, 32, v23
	v_cmp_eq_u32_e32 vcc_lo, 0, v23
	v_cndmask_b32_e64 v17, v17, v21, s5
	v_cndmask_b32_e64 v21, v21, v18, s5
	v_cndmask_b32_e64 v18, v18, v22, s5
	v_cndmask_b32_e64 v16, v22, v16, s5
	v_alignbit_b32 v25, v17, v21, v24
	v_alignbit_b32 v20, v21, v18, v24
	;; [unrolled: 1-line block ×3, first 2 shown]
	v_cndmask_b32_e32 v17, v25, v17, vcc_lo
	v_cndmask_b32_e32 v19, v20, v21, vcc_lo
	;; [unrolled: 1-line block ×3, first 2 shown]
	v_bfe_u32 v20, v17, 29, 1
	v_alignbit_b32 v21, v17, v19, 30
	v_alignbit_b32 v19, v19, v18, 30
	;; [unrolled: 1-line block ×3, first 2 shown]
	v_sub_nc_u32_e32 v22, 0, v20
	v_xor_b32_e32 v21, v21, v22
	v_xor_b32_e32 v18, v19, v22
	;; [unrolled: 1-line block ×3, first 2 shown]
	v_lshrrev_b32_e32 v22, 29, v17
	v_lshrrev_b32_e32 v17, 30, v17
	v_ffbh_u32_e32 v23, v21
	v_min_u32_e32 v23, 32, v23
	v_sub_nc_u32_e32 v19, 31, v23
	v_lshlrev_b32_e32 v24, 23, v23
	v_alignbit_b32 v21, v21, v18, v19
	v_alignbit_b32 v16, v18, v16, v19
	v_lshlrev_b32_e32 v18, 31, v22
	v_alignbit_b32 v19, v21, v16, 9
	v_or_b32_e32 v22, 0.5, v18
	v_lshrrev_b32_e32 v21, 9, v21
	v_or_b32_e32 v18, 0x33000000, v18
	v_ffbh_u32_e32 v25, v19
	v_sub_nc_u32_e32 v22, v22, v24
	v_min_u32_e32 v24, 32, v25
	v_or_b32_e32 v21, v21, v22
	v_not_b32_e32 v22, v24
	v_mul_f32_e32 v25, 0x3fc90fda, v21
	v_add_lshl_u32 v23, v24, v23, 23
	v_alignbit_b32 v16, v19, v16, v22
	v_fma_f32 v19, 0x3fc90fda, v21, -v25
	v_sub_nc_u32_e32 v18, v18, v23
	v_lshrrev_b32_e32 v16, 9, v16
	v_fmamk_f32 v19, v21, 0x33a22168, v19
	v_or_b32_e32 v16, v18, v16
	v_add_nc_u32_e32 v18, v20, v17
	v_fmac_f32_e32 v19, 0x3fc90fda, v16
	v_add_f32_e32 v16, v25, v19
.LBB27_10:
	s_andn2_saveexec_b32 s4, s8
; %bb.11:
	v_mul_f32_e64 v16, 0x3f22f983, |v12|
	v_rndne_f32_e32 v17, v16
	v_fma_f32 v16, 0xbfc90fda, v17, |v12|
	v_cvt_i32_f32_e32 v18, v17
	v_fmamk_f32 v16, v17, 0xb3a22168, v16
	v_fmamk_f32 v16, v17, 0xa7c234c4, v16
; %bb.12:
	s_or_b32 exec_lo, exec_lo, s4
	v_and_b32_e32 v3, 0xffff0000, v3
                                        ; implicit-def: $vgpr23
                                        ; implicit-def: $vgpr21
	s_mov_b32 s5, exec_lo
	v_and_b32_e32 v17, 0x7fffffff, v3
	v_cmpx_ngt_f32_e64 0x48000000, |v3|
	s_xor_b32 s8, exec_lo, s5
	s_cbranch_execz .LBB27_14
; %bb.13:
	s_mov_b32 s4, 0x7fffff
	v_mov_b32_e32 v21, 0
	v_and_or_b32 v28, v17, s4, 0x800000
	v_lshrrev_b32_e32 v26, 23, v17
	v_mad_u64_u32 v[19:20], null, 0xfe5163ab, v28, 0
	v_add_nc_u32_e32 v27, 0xffffff88, v26
	v_cmp_lt_u32_e32 vcc_lo, 63, v27
	v_mad_u64_u32 v[22:23], null, 0x3c439041, v28, v[20:21]
	v_cndmask_b32_e64 v29, 0, 0xffffffc0, vcc_lo
	v_mov_b32_e32 v20, v23
	v_add_nc_u32_e32 v29, v29, v27
	v_mad_u64_u32 v[23:24], null, 0xdb629599, v28, v[20:21]
	v_cmp_lt_u32_e64 s4, 31, v29
	v_cndmask_b32_e64 v30, 0, 0xffffffe0, s4
	v_mov_b32_e32 v20, v24
	v_cndmask_b32_e32 v19, v23, v19, vcc_lo
	v_mad_u64_u32 v[24:25], null, 0xf534ddc0, v28, v[20:21]
	v_mov_b32_e32 v20, v25
	v_cndmask_b32_e32 v22, v24, v22, vcc_lo
	v_mad_u64_u32 v[25:26], null, 0xfc2757d1, v28, v[20:21]
	v_cndmask_b32_e64 v19, v22, v19, s4
	v_mov_b32_e32 v20, v26
	v_mad_u64_u32 v[26:27], null, 0x4e441529, v28, v[20:21]
	v_mov_b32_e32 v20, v27
	v_add_nc_u32_e32 v27, v30, v29
	v_cndmask_b32_e32 v29, v26, v24, vcc_lo
	v_mad_u64_u32 v[20:21], null, 0xa2f9836e, v28, v[20:21]
	v_cmp_lt_u32_e64 s5, 31, v27
	v_cndmask_b32_e64 v28, 0, 0xffffffe0, s5
	v_cndmask_b32_e32 v20, v20, v25, vcc_lo
	v_cndmask_b32_e32 v21, v21, v26, vcc_lo
	;; [unrolled: 1-line block ×3, first 2 shown]
	v_add_nc_u32_e32 v26, v28, v27
	v_cndmask_b32_e64 v24, v20, v29, s4
	v_cndmask_b32_e64 v20, v21, v20, s4
	;; [unrolled: 1-line block ×4, first 2 shown]
	v_sub_nc_u32_e32 v27, 32, v26
	v_cmp_eq_u32_e32 vcc_lo, 0, v26
	v_cndmask_b32_e64 v20, v20, v24, s5
	v_cndmask_b32_e64 v24, v24, v21, s5
	v_cndmask_b32_e64 v21, v21, v25, s5
	v_cndmask_b32_e64 v19, v25, v19, s5
	v_alignbit_b32 v28, v20, v24, v27
	v_alignbit_b32 v23, v24, v21, v27
	;; [unrolled: 1-line block ×3, first 2 shown]
	v_cndmask_b32_e32 v20, v28, v20, vcc_lo
	v_cndmask_b32_e32 v22, v23, v24, vcc_lo
	;; [unrolled: 1-line block ×3, first 2 shown]
	v_bfe_u32 v23, v20, 29, 1
	v_alignbit_b32 v24, v20, v22, 30
	v_alignbit_b32 v22, v22, v21, 30
	v_alignbit_b32 v19, v21, v19, 30
	v_sub_nc_u32_e32 v25, 0, v23
	v_xor_b32_e32 v24, v24, v25
	v_xor_b32_e32 v21, v22, v25
	;; [unrolled: 1-line block ×3, first 2 shown]
	v_lshrrev_b32_e32 v25, 29, v20
	v_ffbh_u32_e32 v26, v24
	v_min_u32_e32 v26, 32, v26
	v_sub_nc_u32_e32 v22, 31, v26
	v_lshlrev_b32_e32 v27, 23, v26
	v_alignbit_b32 v24, v24, v21, v22
	v_alignbit_b32 v19, v21, v19, v22
	v_lshlrev_b32_e32 v21, 31, v25
	v_alignbit_b32 v22, v24, v19, 9
	v_or_b32_e32 v25, 0.5, v21
	v_lshrrev_b32_e32 v24, 9, v24
	v_or_b32_e32 v21, 0x33000000, v21
	v_ffbh_u32_e32 v28, v22
	v_sub_nc_u32_e32 v25, v25, v27
	v_min_u32_e32 v27, 32, v28
	v_or_b32_e32 v24, v24, v25
	v_not_b32_e32 v25, v27
	v_mul_f32_e32 v28, 0x3fc90fda, v24
	v_add_lshl_u32 v26, v27, v26, 23
	v_alignbit_b32 v19, v22, v19, v25
	v_fma_f32 v22, 0x3fc90fda, v24, -v28
	v_sub_nc_u32_e32 v21, v21, v26
	v_lshrrev_b32_e32 v19, 9, v19
	v_fmamk_f32 v22, v24, 0x33a22168, v22
	v_or_b32_e32 v19, v21, v19
	v_fmac_f32_e32 v22, 0x3fc90fda, v19
	v_lshrrev_b32_e32 v19, 30, v20
	v_add_f32_e32 v21, v28, v22
	v_add_nc_u32_e32 v23, v23, v19
.LBB27_14:
	s_andn2_saveexec_b32 s4, s8
; %bb.15:
	v_mul_f32_e64 v19, 0x3f22f983, |v3|
	v_rndne_f32_e32 v19, v19
	v_fma_f32 v20, 0xbfc90fda, v19, |v3|
	v_cvt_i32_f32_e32 v23, v19
	v_fmamk_f32 v20, v19, 0xb3a22168, v20
	v_fmamk_f32 v21, v19, 0xa7c234c4, v20
; %bb.16:
	s_or_b32 exec_lo, exec_lo, s4
	v_lshlrev_b32_e32 v19, 16, v4
                                        ; implicit-def: $vgpr28
                                        ; implicit-def: $vgpr22
	s_mov_b32 s5, exec_lo
	v_and_b32_e32 v20, 0x7fffffff, v19
	v_cmpx_ngt_f32_e64 0x48000000, |v19|
	s_xor_b32 s8, exec_lo, s5
	s_cbranch_execz .LBB27_18
; %bb.17:
	s_mov_b32 s4, 0x7fffff
	v_mov_b32_e32 v26, 0
	v_and_or_b32 v22, v20, s4, 0x800000
	v_lshrrev_b32_e32 v31, 23, v20
	v_mad_u64_u32 v[24:25], null, 0xfe5163ab, v22, 0
	v_add_nc_u32_e32 v32, 0xffffff88, v31
	v_cmp_lt_u32_e32 vcc_lo, 63, v32
	v_mad_u64_u32 v[27:28], null, 0x3c439041, v22, v[25:26]
	v_cndmask_b32_e64 v33, 0, 0xffffffc0, vcc_lo
	v_mov_b32_e32 v25, v28
	v_add_nc_u32_e32 v33, v33, v32
	v_mad_u64_u32 v[28:29], null, 0xdb629599, v22, v[25:26]
	v_cmp_lt_u32_e64 s4, 31, v33
	v_cndmask_b32_e64 v34, 0, 0xffffffe0, s4
	v_mov_b32_e32 v25, v29
	v_cndmask_b32_e32 v24, v28, v24, vcc_lo
	v_mad_u64_u32 v[29:30], null, 0xf534ddc0, v22, v[25:26]
	v_mov_b32_e32 v25, v30
	v_cndmask_b32_e32 v27, v29, v27, vcc_lo
	v_mad_u64_u32 v[30:31], null, 0xfc2757d1, v22, v[25:26]
	v_cndmask_b32_e64 v24, v27, v24, s4
	v_mov_b32_e32 v25, v31
	v_mad_u64_u32 v[31:32], null, 0x4e441529, v22, v[25:26]
	v_mov_b32_e32 v25, v32
	v_add_nc_u32_e32 v32, v34, v33
	v_cndmask_b32_e32 v33, v31, v29, vcc_lo
	v_mad_u64_u32 v[25:26], null, 0xa2f9836e, v22, v[25:26]
	v_cmp_lt_u32_e64 s5, 31, v32
	v_cndmask_b32_e64 v22, 0, 0xffffffe0, s5
	v_cndmask_b32_e32 v25, v25, v30, vcc_lo
	v_cndmask_b32_e32 v26, v26, v31, vcc_lo
	;; [unrolled: 1-line block ×3, first 2 shown]
	v_add_nc_u32_e32 v22, v22, v32
	v_cndmask_b32_e64 v29, v25, v33, s4
	v_cndmask_b32_e64 v25, v26, v25, s4
	;; [unrolled: 1-line block ×4, first 2 shown]
	v_sub_nc_u32_e32 v31, 32, v22
	v_cmp_eq_u32_e32 vcc_lo, 0, v22
	v_cndmask_b32_e64 v25, v25, v29, s5
	v_cndmask_b32_e64 v29, v29, v26, s5
	;; [unrolled: 1-line block ×4, first 2 shown]
	v_alignbit_b32 v32, v25, v29, v31
	v_alignbit_b32 v28, v29, v26, v31
	;; [unrolled: 1-line block ×3, first 2 shown]
	v_cndmask_b32_e32 v22, v32, v25, vcc_lo
	v_cndmask_b32_e32 v25, v28, v29, vcc_lo
	;; [unrolled: 1-line block ×3, first 2 shown]
	v_bfe_u32 v27, v22, 29, 1
	v_alignbit_b32 v28, v22, v25, 30
	v_alignbit_b32 v25, v25, v26, 30
	;; [unrolled: 1-line block ×3, first 2 shown]
	v_sub_nc_u32_e32 v29, 0, v27
	v_xor_b32_e32 v28, v28, v29
	v_xor_b32_e32 v25, v25, v29
	;; [unrolled: 1-line block ×3, first 2 shown]
	v_lshrrev_b32_e32 v29, 29, v22
	v_ffbh_u32_e32 v30, v28
	v_min_u32_e32 v30, 32, v30
	v_sub_nc_u32_e32 v26, 31, v30
	v_lshlrev_b32_e32 v31, 23, v30
	v_alignbit_b32 v28, v28, v25, v26
	v_alignbit_b32 v24, v25, v24, v26
	v_lshlrev_b32_e32 v25, 31, v29
	v_alignbit_b32 v26, v28, v24, 9
	v_or_b32_e32 v29, 0.5, v25
	v_lshrrev_b32_e32 v28, 9, v28
	v_or_b32_e32 v25, 0x33000000, v25
	v_ffbh_u32_e32 v32, v26
	v_sub_nc_u32_e32 v29, v29, v31
	v_min_u32_e32 v31, 32, v32
	v_or_b32_e32 v28, v28, v29
	v_not_b32_e32 v29, v31
	v_mul_f32_e32 v32, 0x3fc90fda, v28
	v_add_lshl_u32 v30, v31, v30, 23
	v_alignbit_b32 v24, v26, v24, v29
	v_fma_f32 v26, 0x3fc90fda, v28, -v32
	v_sub_nc_u32_e32 v25, v25, v30
	v_lshrrev_b32_e32 v24, 9, v24
	v_fmamk_f32 v26, v28, 0x33a22168, v26
	v_or_b32_e32 v24, v25, v24
	v_fmac_f32_e32 v26, 0x3fc90fda, v24
	v_lshrrev_b32_e32 v24, 30, v22
	v_add_f32_e32 v22, v32, v26
	v_add_nc_u32_e32 v28, v27, v24
.LBB27_18:
	s_andn2_saveexec_b32 s4, s8
; %bb.19:
	v_mul_f32_e64 v22, 0x3f22f983, |v19|
	v_rndne_f32_e32 v24, v22
	v_fma_f32 v22, 0xbfc90fda, v24, |v19|
	v_cvt_i32_f32_e32 v28, v24
	v_fmamk_f32 v22, v24, 0xb3a22168, v22
	v_fmamk_f32 v22, v24, 0xa7c234c4, v22
; %bb.20:
	s_or_b32 exec_lo, exec_lo, s4
	v_and_b32_e32 v4, 0xffff0000, v4
                                        ; implicit-def: $vgpr31
                                        ; implicit-def: $vgpr27
	s_mov_b32 s5, exec_lo
	v_and_b32_e32 v24, 0x7fffffff, v4
	v_cmpx_ngt_f32_e64 0x48000000, |v4|
	s_xor_b32 s8, exec_lo, s5
	s_cbranch_execz .LBB27_22
; %bb.21:
	s_mov_b32 s4, 0x7fffff
	v_mov_b32_e32 v27, 0
	v_and_or_b32 v35, v24, s4, 0x800000
	v_lshrrev_b32_e32 v33, 23, v24
	v_mad_u64_u32 v[25:26], null, 0xfe5163ab, v35, 0
	v_add_nc_u32_e32 v34, 0xffffff88, v33
	v_cmp_lt_u32_e32 vcc_lo, 63, v34
	v_mad_u64_u32 v[29:30], null, 0x3c439041, v35, v[26:27]
	v_cndmask_b32_e64 v36, 0, 0xffffffc0, vcc_lo
	v_mov_b32_e32 v26, v30
	v_add_nc_u32_e32 v36, v36, v34
	v_mad_u64_u32 v[30:31], null, 0xdb629599, v35, v[26:27]
	v_cmp_lt_u32_e64 s4, 31, v36
	v_cndmask_b32_e64 v37, 0, 0xffffffe0, s4
	v_mov_b32_e32 v26, v31
	v_cndmask_b32_e32 v25, v30, v25, vcc_lo
	v_mad_u64_u32 v[31:32], null, 0xf534ddc0, v35, v[26:27]
	v_mov_b32_e32 v26, v32
	v_cndmask_b32_e32 v29, v31, v29, vcc_lo
	v_mad_u64_u32 v[32:33], null, 0xfc2757d1, v35, v[26:27]
	v_cndmask_b32_e64 v25, v29, v25, s4
	v_mov_b32_e32 v26, v33
	v_mad_u64_u32 v[33:34], null, 0x4e441529, v35, v[26:27]
	v_mov_b32_e32 v26, v34
	v_add_nc_u32_e32 v34, v37, v36
	v_cndmask_b32_e32 v36, v33, v31, vcc_lo
	v_mad_u64_u32 v[26:27], null, 0xa2f9836e, v35, v[26:27]
	v_cmp_lt_u32_e64 s5, 31, v34
	v_cndmask_b32_e64 v35, 0, 0xffffffe0, s5
	v_cndmask_b32_e32 v26, v26, v32, vcc_lo
	v_cndmask_b32_e32 v27, v27, v33, vcc_lo
	;; [unrolled: 1-line block ×3, first 2 shown]
	v_add_nc_u32_e32 v33, v35, v34
	v_cndmask_b32_e64 v31, v26, v36, s4
	v_cndmask_b32_e64 v26, v27, v26, s4
	;; [unrolled: 1-line block ×4, first 2 shown]
	v_sub_nc_u32_e32 v34, 32, v33
	v_cmp_eq_u32_e32 vcc_lo, 0, v33
	v_cndmask_b32_e64 v26, v26, v31, s5
	v_cndmask_b32_e64 v31, v31, v27, s5
	;; [unrolled: 1-line block ×4, first 2 shown]
	v_alignbit_b32 v35, v26, v31, v34
	v_alignbit_b32 v30, v31, v27, v34
	;; [unrolled: 1-line block ×3, first 2 shown]
	v_cndmask_b32_e32 v26, v35, v26, vcc_lo
	v_cndmask_b32_e32 v29, v30, v31, vcc_lo
	;; [unrolled: 1-line block ×3, first 2 shown]
	v_bfe_u32 v30, v26, 29, 1
	v_alignbit_b32 v31, v26, v29, 30
	v_alignbit_b32 v29, v29, v27, 30
	;; [unrolled: 1-line block ×3, first 2 shown]
	v_sub_nc_u32_e32 v32, 0, v30
	v_xor_b32_e32 v31, v31, v32
	v_xor_b32_e32 v27, v29, v32
	;; [unrolled: 1-line block ×3, first 2 shown]
	v_lshrrev_b32_e32 v32, 29, v26
	v_ffbh_u32_e32 v33, v31
	v_min_u32_e32 v33, 32, v33
	v_sub_nc_u32_e32 v29, 31, v33
	v_lshlrev_b32_e32 v34, 23, v33
	v_alignbit_b32 v31, v31, v27, v29
	v_alignbit_b32 v25, v27, v25, v29
	v_lshlrev_b32_e32 v27, 31, v32
	v_alignbit_b32 v29, v31, v25, 9
	v_or_b32_e32 v32, 0.5, v27
	v_lshrrev_b32_e32 v31, 9, v31
	v_or_b32_e32 v27, 0x33000000, v27
	v_ffbh_u32_e32 v35, v29
	v_sub_nc_u32_e32 v32, v32, v34
	v_min_u32_e32 v34, 32, v35
	v_or_b32_e32 v31, v31, v32
	v_not_b32_e32 v32, v34
	v_mul_f32_e32 v35, 0x3fc90fda, v31
	v_add_lshl_u32 v33, v34, v33, 23
	v_alignbit_b32 v25, v29, v25, v32
	v_fma_f32 v29, 0x3fc90fda, v31, -v35
	v_sub_nc_u32_e32 v27, v27, v33
	v_lshrrev_b32_e32 v25, 9, v25
	v_fmamk_f32 v29, v31, 0x33a22168, v29
	v_or_b32_e32 v25, v27, v25
	v_fmac_f32_e32 v29, 0x3fc90fda, v25
	v_lshrrev_b32_e32 v25, 30, v26
	v_add_f32_e32 v27, v35, v29
	v_add_nc_u32_e32 v31, v30, v25
.LBB27_22:
	s_andn2_saveexec_b32 s4, s8
; %bb.23:
	v_mul_f32_e64 v25, 0x3f22f983, |v4|
	v_rndne_f32_e32 v25, v25
	v_fma_f32 v26, 0xbfc90fda, v25, |v4|
	v_cvt_i32_f32_e32 v31, v25
	v_fmamk_f32 v26, v25, 0xb3a22168, v26
	v_fmamk_f32 v27, v25, 0xa7c234c4, v26
; %bb.24:
	s_or_b32 exec_lo, exec_lo, s4
	v_lshlrev_b32_e32 v25, 16, v5
                                        ; implicit-def: $vgpr33
                                        ; implicit-def: $vgpr29
	s_mov_b32 s5, exec_lo
	v_and_b32_e32 v26, 0x7fffffff, v25
	v_cmpx_ngt_f32_e64 0x48000000, |v25|
	s_xor_b32 s8, exec_lo, s5
	s_cbranch_execz .LBB27_26
; %bb.25:
	s_mov_b32 s4, 0x7fffff
	v_mov_b32_e32 v33, 0
	v_and_or_b32 v48, v26, s4, 0x800000
	v_mad_u64_u32 v[29:30], null, 0xfe5163ab, v48, 0
	v_mov_b32_e32 v32, v30
	v_lshrrev_b32_e32 v30, 23, v26
	v_mad_u64_u32 v[34:35], null, 0x3c439041, v48, v[32:33]
	v_add_nc_u32_e32 v30, 0xffffff88, v30
	v_cmp_lt_u32_e32 vcc_lo, 63, v30
	v_mov_b32_e32 v32, v35
	v_cndmask_b32_e64 v39, 0, 0xffffffc0, vcc_lo
	v_mad_u64_u32 v[35:36], null, 0xdb629599, v48, v[32:33]
	v_add_nc_u32_e32 v30, v39, v30
	v_mov_b32_e32 v32, v36
	v_cmp_lt_u32_e64 s4, 31, v30
	v_cndmask_b32_e32 v29, v35, v29, vcc_lo
	v_mad_u64_u32 v[36:37], null, 0xf534ddc0, v48, v[32:33]
	v_cndmask_b32_e64 v49, 0, 0xffffffe0, s4
	v_add_nc_u32_e32 v30, v49, v30
	v_mov_b32_e32 v32, v37
	v_cndmask_b32_e32 v34, v36, v34, vcc_lo
	v_cmp_lt_u32_e64 s5, 31, v30
	v_mad_u64_u32 v[37:38], null, 0xfc2757d1, v48, v[32:33]
	v_cndmask_b32_e64 v29, v34, v29, s4
	v_mov_b32_e32 v32, v38
	v_mad_u64_u32 v[38:39], null, 0x4e441529, v48, v[32:33]
	v_mov_b32_e32 v32, v39
	v_cndmask_b32_e64 v39, 0, 0xffffffe0, s5
	v_mad_u64_u32 v[32:33], null, 0xa2f9836e, v48, v[32:33]
	v_cndmask_b32_e32 v48, v38, v36, vcc_lo
	v_add_nc_u32_e32 v30, v39, v30
	v_cndmask_b32_e32 v32, v32, v37, vcc_lo
	v_cndmask_b32_e32 v33, v33, v38, vcc_lo
	;; [unrolled: 1-line block ×3, first 2 shown]
	v_sub_nc_u32_e32 v38, 32, v30
	v_cmp_eq_u32_e32 vcc_lo, 0, v30
	v_cndmask_b32_e64 v36, v32, v48, s4
	v_cndmask_b32_e64 v32, v33, v32, s4
	;; [unrolled: 1-line block ×8, first 2 shown]
	v_alignbit_b32 v39, v32, v36, v38
	v_alignbit_b32 v35, v36, v33, v38
	;; [unrolled: 1-line block ×3, first 2 shown]
	v_cndmask_b32_e32 v30, v39, v32, vcc_lo
	v_cndmask_b32_e32 v32, v35, v36, vcc_lo
	;; [unrolled: 1-line block ×3, first 2 shown]
	v_bfe_u32 v34, v30, 29, 1
	v_alignbit_b32 v35, v30, v32, 30
	v_alignbit_b32 v32, v32, v33, 30
	v_alignbit_b32 v29, v33, v29, 30
	v_sub_nc_u32_e32 v36, 0, v34
	v_xor_b32_e32 v35, v35, v36
	v_xor_b32_e32 v32, v32, v36
	;; [unrolled: 1-line block ×3, first 2 shown]
	v_lshrrev_b32_e32 v36, 29, v30
	v_lshrrev_b32_e32 v30, 30, v30
	v_ffbh_u32_e32 v37, v35
	v_min_u32_e32 v37, 32, v37
	v_sub_nc_u32_e32 v33, 31, v37
	v_lshlrev_b32_e32 v38, 23, v37
	v_alignbit_b32 v35, v35, v32, v33
	v_alignbit_b32 v29, v32, v29, v33
	v_lshlrev_b32_e32 v32, 31, v36
	v_alignbit_b32 v33, v35, v29, 9
	v_or_b32_e32 v36, 0.5, v32
	v_lshrrev_b32_e32 v35, 9, v35
	v_or_b32_e32 v32, 0x33000000, v32
	v_ffbh_u32_e32 v39, v33
	v_sub_nc_u32_e32 v36, v36, v38
	v_min_u32_e32 v38, 32, v39
	v_or_b32_e32 v35, v35, v36
	v_not_b32_e32 v36, v38
	v_mul_f32_e32 v39, 0x3fc90fda, v35
	v_add_lshl_u32 v37, v38, v37, 23
	v_alignbit_b32 v29, v33, v29, v36
	v_fma_f32 v33, 0x3fc90fda, v35, -v39
	v_sub_nc_u32_e32 v32, v32, v37
	v_lshrrev_b32_e32 v29, 9, v29
	v_fmamk_f32 v33, v35, 0x33a22168, v33
	v_or_b32_e32 v29, v32, v29
	v_fmac_f32_e32 v33, 0x3fc90fda, v29
	v_add_f32_e32 v29, v39, v33
	v_add_nc_u32_e32 v33, v34, v30
.LBB27_26:
	s_andn2_saveexec_b32 s4, s8
; %bb.27:
	v_mul_f32_e64 v29, 0x3f22f983, |v25|
	v_rndne_f32_e32 v30, v29
	v_fma_f32 v29, 0xbfc90fda, v30, |v25|
	v_cvt_i32_f32_e32 v33, v30
	v_fmamk_f32 v29, v30, 0xb3a22168, v29
	v_fmamk_f32 v29, v30, 0xa7c234c4, v29
; %bb.28:
	s_or_b32 exec_lo, exec_lo, s4
	v_and_b32_e32 v5, 0xffff0000, v5
                                        ; implicit-def: $vgpr34
                                        ; implicit-def: $vgpr32
	s_mov_b32 s5, exec_lo
	v_and_b32_e32 v30, 0x7fffffff, v5
	v_cmpx_ngt_f32_e64 0x48000000, |v5|
	s_xor_b32 s8, exec_lo, s5
	s_cbranch_execz .LBB27_30
; %bb.29:
	s_mov_b32 s4, 0x7fffff
	v_mov_b32_e32 v36, 0
	v_and_or_b32 v32, v30, s4, 0x800000
	v_mad_u64_u32 v[34:35], null, 0xfe5163ab, v32, 0
	v_mad_u64_u32 v[37:38], null, 0x3c439041, v32, v[35:36]
	v_mov_b32_e32 v35, v38
	v_mad_u64_u32 v[38:39], null, 0xdb629599, v32, v[35:36]
	v_mov_b32_e32 v35, v39
	v_lshrrev_b32_e32 v39, 23, v30
	v_mad_u64_u32 v[48:49], null, 0xf534ddc0, v32, v[35:36]
	v_add_nc_u32_e32 v39, 0xffffff88, v39
	v_cmp_lt_u32_e32 vcc_lo, 63, v39
	v_mov_b32_e32 v35, v49
	v_cndmask_b32_e64 v51, 0, 0xffffffc0, vcc_lo
	v_mad_u64_u32 v[49:50], null, 0xfc2757d1, v32, v[35:36]
	v_cndmask_b32_e32 v37, v48, v37, vcc_lo
	v_cndmask_b32_e32 v34, v38, v34, vcc_lo
	v_add_nc_u32_e32 v39, v51, v39
	v_mov_b32_e32 v35, v50
	v_cmp_lt_u32_e64 s4, 31, v39
	v_mad_u64_u32 v[50:51], null, 0x4e441529, v32, v[35:36]
	v_cndmask_b32_e64 v52, 0, 0xffffffe0, s4
	v_cndmask_b32_e64 v34, v37, v34, s4
	v_add_nc_u32_e32 v39, v52, v39
	v_mov_b32_e32 v35, v51
	v_cndmask_b32_e32 v51, v50, v48, vcc_lo
	v_cmp_lt_u32_e64 s5, 31, v39
	v_mad_u64_u32 v[35:36], null, 0xa2f9836e, v32, v[35:36]
	v_cndmask_b32_e64 v32, 0, 0xffffffe0, s5
	v_cndmask_b32_e32 v35, v35, v49, vcc_lo
	v_cndmask_b32_e32 v36, v36, v50, vcc_lo
	;; [unrolled: 1-line block ×3, first 2 shown]
	v_add_nc_u32_e32 v32, v32, v39
	v_cndmask_b32_e64 v39, v35, v51, s4
	v_cndmask_b32_e64 v35, v36, v35, s4
	v_cndmask_b32_e64 v36, v51, v49, s4
	v_sub_nc_u32_e32 v48, 32, v32
	v_cndmask_b32_e64 v49, v49, v37, s4
	v_cmp_eq_u32_e32 vcc_lo, 0, v32
	v_cndmask_b32_e64 v35, v35, v39, s5
	v_cndmask_b32_e64 v39, v39, v36, s5
	;; [unrolled: 1-line block ×4, first 2 shown]
	v_alignbit_b32 v50, v35, v39, v48
	v_alignbit_b32 v38, v39, v36, v48
	;; [unrolled: 1-line block ×3, first 2 shown]
	v_cndmask_b32_e32 v32, v50, v35, vcc_lo
	v_cndmask_b32_e32 v35, v38, v39, vcc_lo
	;; [unrolled: 1-line block ×3, first 2 shown]
	v_bfe_u32 v37, v32, 29, 1
	v_alignbit_b32 v38, v32, v35, 30
	v_alignbit_b32 v35, v35, v36, 30
	;; [unrolled: 1-line block ×3, first 2 shown]
	v_sub_nc_u32_e32 v39, 0, v37
	v_xor_b32_e32 v38, v38, v39
	v_xor_b32_e32 v35, v35, v39
	;; [unrolled: 1-line block ×3, first 2 shown]
	v_lshrrev_b32_e32 v39, 29, v32
	v_ffbh_u32_e32 v48, v38
	v_min_u32_e32 v48, 32, v48
	v_sub_nc_u32_e32 v36, 31, v48
	v_lshlrev_b32_e32 v49, 23, v48
	v_alignbit_b32 v38, v38, v35, v36
	v_alignbit_b32 v34, v35, v34, v36
	v_lshlrev_b32_e32 v35, 31, v39
	v_alignbit_b32 v36, v38, v34, 9
	v_or_b32_e32 v39, 0.5, v35
	v_lshrrev_b32_e32 v38, 9, v38
	v_or_b32_e32 v35, 0x33000000, v35
	v_ffbh_u32_e32 v50, v36
	v_sub_nc_u32_e32 v39, v39, v49
	v_min_u32_e32 v49, 32, v50
	v_or_b32_e32 v38, v38, v39
	v_not_b32_e32 v39, v49
	v_mul_f32_e32 v50, 0x3fc90fda, v38
	v_add_lshl_u32 v48, v49, v48, 23
	v_alignbit_b32 v34, v36, v34, v39
	v_fma_f32 v36, 0x3fc90fda, v38, -v50
	v_sub_nc_u32_e32 v35, v35, v48
	v_lshrrev_b32_e32 v34, 9, v34
	v_fmamk_f32 v36, v38, 0x33a22168, v36
	v_or_b32_e32 v34, v35, v34
	v_fmac_f32_e32 v36, 0x3fc90fda, v34
	v_lshrrev_b32_e32 v34, 30, v32
	v_add_f32_e32 v32, v50, v36
	v_add_nc_u32_e32 v34, v37, v34
.LBB27_30:
	s_andn2_saveexec_b32 s4, s8
; %bb.31:
	v_mul_f32_e64 v32, 0x3f22f983, |v5|
	v_rndne_f32_e32 v34, v32
	v_fma_f32 v32, 0xbfc90fda, v34, |v5|
	v_fmamk_f32 v32, v34, 0xb3a22168, v32
	v_fmamk_f32 v32, v34, 0xa7c234c4, v32
	v_cvt_i32_f32_e32 v34, v34
; %bb.32:
	s_or_b32 exec_lo, exec_lo, s4
	v_mul_f32_e32 v68, v14, v14
	s_mov_b32 s4, 0xb94c1982
	s_mov_b32 s5, 0x37d75334
	v_mul_f32_e32 v71, v6, v6
	v_lshlrev_b32_e32 v69, 30, v15
	v_fmaak_f32 v80, s4, v68, 0x3c0881c4
	v_fmaak_f32 v81, s5, v68, 0xbab64f3b
	v_and_b32_e32 v15, 1, v15
	v_fmaak_f32 v82, s4, v71, 0x3c0881c4
	v_fmaak_f32 v83, s5, v71, 0xbab64f3b
	;; [unrolled: 1-line block ×4, first 2 shown]
	v_and_b32_e32 v69, 0x80000000, v69
	v_fmaak_f32 v82, v71, v82, 0xbe2aaa9d
	v_fmaak_f32 v83, v71, v83, 0x3d2aabf7
	v_mul_f32_e32 v80, v68, v80
	v_fmaak_f32 v81, v68, v81, 0xbf000004
	v_cmp_eq_u32_e32 vcc_lo, 0, v15
	v_lshlrev_b32_e32 v70, 30, v11
	v_and_b32_e32 v11, 1, v11
	v_fmac_f32_e32 v14, v14, v80
	v_fma_f32 v68, v68, v81, 1.0
	v_mul_f32_e32 v82, v71, v82
	v_fmaak_f32 v83, v71, v83, 0xbf000004
	v_xor_b32_e32 v7, v7, v69
	v_and_b32_e32 v70, 0x80000000, v70
	v_cndmask_b32_e32 v14, v68, v14, vcc_lo
	v_fmac_f32_e32 v6, v6, v82
	v_fma_f32 v69, v71, v83, 1.0
	v_cmp_eq_u32_e32 vcc_lo, 0, v11
	v_lshlrev_b32_e32 v66, 30, v18
	v_xor_b32_e32 v7, v7, v14
	v_mul_f32_e32 v14, v16, v16
	v_mul_f32_e32 v67, v21, v21
	v_xor_b32_e32 v10, v10, v70
	v_cndmask_b32_e32 v6, v69, v6, vcc_lo
	v_and_b32_e32 v11, 1, v18
	v_fmaak_f32 v18, s4, v14, 0x3c0881c4
	v_fmaak_f32 v68, s5, v14, 0xbab64f3b
	;; [unrolled: 1-line block ×3, first 2 shown]
	v_xor_b32_e32 v6, v10, v6
	v_fmaak_f32 v10, s5, v67, 0xbab64f3b
	v_fmaak_f32 v18, v14, v18, 0xbe2aaa9d
	v_fmaak_f32 v68, v14, v68, 0x3d2aabf7
	v_xor_b32_e32 v7, v7, v2
	v_cmp_class_f32_e64 vcc_lo, v2, 0x1f8
	v_fmaak_f32 v15, v67, v15, 0xbe2aaa9d
	v_fmaak_f32 v10, v67, v10, 0x3d2aabf7
	v_mul_f32_e32 v18, v14, v18
	v_fmaak_f32 v68, v14, v68, 0xbf000004
	v_lshlrev_b32_e32 v65, 30, v23
	v_and_b32_e32 v23, 1, v23
	v_cndmask_b32_e32 v2, 0x7fc00000, v7, vcc_lo
	v_and_b32_e32 v66, 0x80000000, v66
	v_mul_f32_e32 v15, v67, v15
	v_fmaak_f32 v10, v67, v10, 0xbf000004
	v_fmac_f32_e32 v16, v16, v18
	v_fma_f32 v14, v14, v68, 1.0
	v_cmp_eq_u32_e32 vcc_lo, 0, v11
	v_and_b32_e32 v65, 0x80000000, v65
	v_fmac_f32_e32 v21, v21, v15
	v_fma_f32 v10, v67, v10, 1.0
	v_xor_b32_e32 v13, v13, v66
	v_cndmask_b32_e32 v11, v14, v16, vcc_lo
	v_cmp_eq_u32_e32 vcc_lo, 0, v23
	v_mul_f32_e32 v52, v22, v22
	v_xor_b32_e32 v6, v6, v9
	v_xor_b32_e32 v17, v17, v65
	;; [unrolled: 1-line block ×3, first 2 shown]
	v_cndmask_b32_e32 v10, v10, v21, vcc_lo
	v_cmp_class_f32_e64 vcc_lo, v9, 0x1f8
	v_mul_f32_e32 v50, v27, v27
	v_fmaak_f32 v55, s4, v52, 0x3c0881c4
	v_fmaak_f32 v64, s5, v52, 0xbab64f3b
	v_xor_b32_e32 v10, v17, v10
	v_cndmask_b32_e32 v6, 0x7fc00000, v6, vcc_lo
	v_xor_b32_e32 v11, v11, v12
	v_cmp_class_f32_e64 vcc_lo, v12, 0x1f8
	v_fmaak_f32 v53, s4, v50, 0x3c0881c4
	v_fmaak_f32 v54, s5, v50, 0xbab64f3b
	;; [unrolled: 1-line block ×4, first 2 shown]
	v_xor_b32_e32 v10, v10, v3
	v_cndmask_b32_e32 v11, 0x7fc00000, v11, vcc_lo
	v_cmp_class_f32_e64 vcc_lo, v3, 0x1f8
	v_lshlrev_b32_e32 v51, 30, v28
	v_and_b32_e32 v28, 1, v28
	v_mov_b32_e32 v7, 1
	v_fmaak_f32 v21, v50, v53, 0xbe2aaa9d
	v_fmaak_f32 v23, v50, v54, 0x3d2aabf7
	v_mul_f32_e32 v17, v52, v17
	v_fmaak_f32 v18, v52, v18, 0xbf000004
	v_cndmask_b32_e32 v3, 0x7fc00000, v10, vcc_lo
	v_add_co_u32 v0, vcc_lo, v0, s6
	v_lshlrev_b32_e32 v49, 30, v31
	v_and_b32_e32 v31, 1, v31
	v_and_b32_sdwa v13, v2, v7 dst_sel:DWORD dst_unused:UNUSED_PAD src0_sel:WORD_1 src1_sel:DWORD
	v_and_b32_sdwa v14, v6, v7 dst_sel:DWORD dst_unused:UNUSED_PAD src0_sel:WORD_1 src1_sel:DWORD
	v_add_co_ci_u32_e64 v1, null, s7, v1, vcc_lo
	v_mul_f32_e32 v21, v50, v21
	v_fmaak_f32 v23, v50, v23, 0xbf000004
	v_fmac_f32_e32 v22, v22, v17
	v_fma_f32 v17, v52, v18, 1.0
	v_cmp_eq_u32_e32 vcc_lo, 0, v28
	v_add3_u32 v13, v2, v13, 0x7fff
	v_add3_u32 v14, v6, v14, 0x7fff
	v_and_b32_e32 v16, 0x80000000, v49
	v_and_b32_e32 v49, 0x80000000, v51
	v_fmac_f32_e32 v27, v27, v21
	v_fma_f32 v18, v50, v23, 1.0
	v_cndmask_b32_e32 v17, v17, v22, vcc_lo
	v_cmp_eq_u32_e32 vcc_lo, 0, v31
	v_lshrrev_b32_e32 v10, 16, v14
	v_lshrrev_b32_e32 v12, 16, v13
	v_and_b32_sdwa v13, v3, v7 dst_sel:DWORD dst_unused:UNUSED_PAD src0_sel:WORD_1 src1_sel:DWORD
	v_xor_b32_e32 v20, v20, v49
	v_cndmask_b32_e32 v18, v18, v27, vcc_lo
	v_cmp_o_f32_e32 vcc_lo, v6, v6
	v_mul_f32_e32 v38, v32, v32
	v_and_b32_sdwa v14, v11, v7 dst_sel:DWORD dst_unused:UNUSED_PAD src0_sel:WORD_1 src1_sel:DWORD
	v_xor_b32_e32 v16, v24, v16
	v_mul_f32_e32 v37, v29, v29
	v_cndmask_b32_e32 v6, 0x7fc0, v10, vcc_lo
	v_add3_u32 v10, v3, v13, 0x7fff
	v_xor_b32_e32 v13, v20, v17
	v_cmp_o_f32_e32 vcc_lo, v2, v2
	v_fmaak_f32 v9, s4, v38, 0x3c0881c4
	v_fmaak_f32 v15, s5, v38, 0xbab64f3b
	v_add3_u32 v14, v11, v14, 0x7fff
	v_xor_b32_e32 v16, v16, v18
	v_cndmask_b32_e32 v12, 0x7fc0, v12, vcc_lo
	v_xor_b32_e32 v2, v13, v19
	v_cmp_class_f32_e64 vcc_lo, v19, 0x1f8
	v_fmaak_f32 v39, s4, v37, 0x3c0881c4
	v_fmaak_f32 v48, s5, v37, 0xbab64f3b
	v_lshrrev_b32_e32 v13, 16, v14
	v_xor_b32_e32 v14, v16, v4
	v_cndmask_b32_e32 v2, 0x7fc00000, v2, vcc_lo
	v_cmp_class_f32_e64 vcc_lo, v4, 0x1f8
	v_fmaak_f32 v9, v38, v9, 0xbe2aaa9d
	v_fmaak_f32 v15, v38, v15, 0x3d2aabf7
	v_lshlrev_b32_e32 v35, 30, v34
	v_and_b32_e32 v34, 1, v34
	v_cndmask_b32_e32 v4, 0x7fc00000, v14, vcc_lo
	v_fmaak_f32 v14, v37, v39, 0xbe2aaa9d
	v_fmaak_f32 v16, v37, v48, 0x3d2aabf7
	v_mul_f32_e32 v9, v38, v9
	v_fmaak_f32 v15, v38, v15, 0xbf000004
	v_lshlrev_b32_e32 v36, 30, v33
	v_and_b32_e32 v33, 1, v33
	v_mul_f32_e32 v14, v37, v14
	v_fmaak_f32 v16, v37, v16, 0xbf000004
	v_fmac_f32_e32 v32, v32, v9
	v_fma_f32 v9, v38, v15, 1.0
	v_cmp_eq_u32_e32 vcc_lo, 0, v34
	v_fmac_f32_e32 v29, v29, v14
	v_fma_f32 v14, v37, v16, 1.0
	v_and_b32_e32 v16, 0x80000000, v36
	v_and_b32_e32 v15, 0x80000000, v35
	v_cndmask_b32_e32 v9, v9, v32, vcc_lo
	v_cmp_eq_u32_e32 vcc_lo, 0, v33
	v_lshrrev_b32_e32 v10, 16, v10
	v_xor_b32_e32 v16, v26, v16
	v_xor_b32_e32 v15, v30, v15
	v_and_b32_sdwa v18, v2, v7 dst_sel:DWORD dst_unused:UNUSED_PAD src0_sel:WORD_1 src1_sel:DWORD
	v_cndmask_b32_e32 v14, v14, v29, vcc_lo
	v_cmp_o_f32_e32 vcc_lo, v11, v11
	v_and_b32_sdwa v17, v4, v7 dst_sel:DWORD dst_unused:UNUSED_PAD src0_sel:WORD_1 src1_sel:DWORD
	v_xor_b32_e32 v9, v15, v9
	v_xor_b32_e32 v14, v16, v14
	v_cndmask_b32_e32 v11, 0x7fc0, v13, vcc_lo
	v_cmp_o_f32_e32 vcc_lo, v3, v3
	v_add3_u32 v16, v2, v18, 0x7fff
	v_xor_b32_e32 v9, v9, v5
	v_xor_b32_e32 v3, v14, v25
	v_add3_u32 v13, v4, v17, 0x7fff
	v_cndmask_b32_e32 v10, 0x7fc0, v10, vcc_lo
	v_cmp_class_f32_e64 vcc_lo, v25, 0x1f8
	v_lshrrev_b32_e32 v14, 16, v16
	v_lshrrev_b32_e32 v13, 16, v13
	v_cndmask_b32_e32 v3, 0x7fc00000, v3, vcc_lo
	v_cmp_class_f32_e64 vcc_lo, v5, 0x1f8
	v_cndmask_b32_e32 v5, 0x7fc00000, v9, vcc_lo
	v_cmp_o_f32_e32 vcc_lo, v2, v2
	v_and_b32_sdwa v9, v3, v7 dst_sel:DWORD dst_unused:UNUSED_PAD src0_sel:WORD_1 src1_sel:DWORD
	v_cmp_o_f32_e64 s4, v5, v5
	v_cndmask_b32_e32 v2, 0x7fc0, v14, vcc_lo
	v_cmp_o_f32_e32 vcc_lo, v4, v4
	v_and_b32_sdwa v4, v5, v7 dst_sel:DWORD dst_unused:UNUSED_PAD src0_sel:WORD_1 src1_sel:DWORD
	v_mov_b32_e32 v7, 0x7fc0
	v_cndmask_b32_e32 v13, 0x7fc0, v13, vcc_lo
	v_cmp_o_f32_e32 vcc_lo, v3, v3
	v_add3_u32 v3, v3, v9, 0x7fff
	v_add3_u32 v4, v5, v4, 0x7fff
	v_perm_b32 v2, v13, v2, 0x5040100
	v_cndmask_b32_sdwa v3, v7, v3, vcc_lo dst_sel:DWORD dst_unused:UNUSED_PAD src0_sel:DWORD src1_sel:WORD_1
	s_mov_b32 vcc_lo, s4
	v_cndmask_b32_sdwa v7, v7, v4, vcc_lo dst_sel:DWORD dst_unused:UNUSED_PAD src0_sel:DWORD src1_sel:WORD_1
	v_add_co_u32 v4, vcc_lo, v0, v8
	v_add_co_ci_u32_e64 v5, null, 0, v1, vcc_lo
	v_perm_b32 v3, v7, v3, 0x5040100
	v_perm_b32 v1, v10, v11, 0x5040100
	;; [unrolled: 1-line block ×3, first 2 shown]
	flat_store_dwordx4 v[4:5], v[0:3]
	s_waitcnt lgkmcnt(0)
	s_setpc_b64 s[30:31]
.Lfunc_end27:
	.size	_ZN2at6native25elementwise_kernel_helperILb0EZZZNS0_15sin_kernel_cudaERNS_18TensorIteratorBaseEENKUlvE0_clEvENKUlvE2_clEvEUlN3c108BFloat16EE_NS0_6memory8policies10vectorizedILi8ESt5arrayIPcLm2EELi8EEEEEvT0_T1_, .Lfunc_end27-_ZN2at6native25elementwise_kernel_helperILb0EZZZNS0_15sin_kernel_cudaERNS_18TensorIteratorBaseEENKUlvE0_clEvENKUlvE2_clEvEUlN3c108BFloat16EE_NS0_6memory8policies10vectorizedILi8ESt5arrayIPcLm2EELi8EEEEEvT0_T1_
                                        ; -- End function
	.set .L_ZN2at6native25elementwise_kernel_helperILb0EZZZNS0_15sin_kernel_cudaERNS_18TensorIteratorBaseEENKUlvE0_clEvENKUlvE2_clEvEUlN3c108BFloat16EE_NS0_6memory8policies10vectorizedILi8ESt5arrayIPcLm2EELi8EEEEEvT0_T1_.num_vgpr, 84
	.set .L_ZN2at6native25elementwise_kernel_helperILb0EZZZNS0_15sin_kernel_cudaERNS_18TensorIteratorBaseEENKUlvE0_clEvENKUlvE2_clEvEUlN3c108BFloat16EE_NS0_6memory8policies10vectorizedILi8ESt5arrayIPcLm2EELi8EEEEEvT0_T1_.num_agpr, 0
	.set .L_ZN2at6native25elementwise_kernel_helperILb0EZZZNS0_15sin_kernel_cudaERNS_18TensorIteratorBaseEENKUlvE0_clEvENKUlvE2_clEvEUlN3c108BFloat16EE_NS0_6memory8policies10vectorizedILi8ESt5arrayIPcLm2EELi8EEEEEvT0_T1_.numbered_sgpr, 32
	.set .L_ZN2at6native25elementwise_kernel_helperILb0EZZZNS0_15sin_kernel_cudaERNS_18TensorIteratorBaseEENKUlvE0_clEvENKUlvE2_clEvEUlN3c108BFloat16EE_NS0_6memory8policies10vectorizedILi8ESt5arrayIPcLm2EELi8EEEEEvT0_T1_.num_named_barrier, 0
	.set .L_ZN2at6native25elementwise_kernel_helperILb0EZZZNS0_15sin_kernel_cudaERNS_18TensorIteratorBaseEENKUlvE0_clEvENKUlvE2_clEvEUlN3c108BFloat16EE_NS0_6memory8policies10vectorizedILi8ESt5arrayIPcLm2EELi8EEEEEvT0_T1_.private_seg_size, 0
	.set .L_ZN2at6native25elementwise_kernel_helperILb0EZZZNS0_15sin_kernel_cudaERNS_18TensorIteratorBaseEENKUlvE0_clEvENKUlvE2_clEvEUlN3c108BFloat16EE_NS0_6memory8policies10vectorizedILi8ESt5arrayIPcLm2EELi8EEEEEvT0_T1_.uses_vcc, 1
	.set .L_ZN2at6native25elementwise_kernel_helperILb0EZZZNS0_15sin_kernel_cudaERNS_18TensorIteratorBaseEENKUlvE0_clEvENKUlvE2_clEvEUlN3c108BFloat16EE_NS0_6memory8policies10vectorizedILi8ESt5arrayIPcLm2EELi8EEEEEvT0_T1_.uses_flat_scratch, 0
	.set .L_ZN2at6native25elementwise_kernel_helperILb0EZZZNS0_15sin_kernel_cudaERNS_18TensorIteratorBaseEENKUlvE0_clEvENKUlvE2_clEvEUlN3c108BFloat16EE_NS0_6memory8policies10vectorizedILi8ESt5arrayIPcLm2EELi8EEEEEvT0_T1_.has_dyn_sized_stack, 0
	.set .L_ZN2at6native25elementwise_kernel_helperILb0EZZZNS0_15sin_kernel_cudaERNS_18TensorIteratorBaseEENKUlvE0_clEvENKUlvE2_clEvEUlN3c108BFloat16EE_NS0_6memory8policies10vectorizedILi8ESt5arrayIPcLm2EELi8EEEEEvT0_T1_.has_recursion, 0
	.set .L_ZN2at6native25elementwise_kernel_helperILb0EZZZNS0_15sin_kernel_cudaERNS_18TensorIteratorBaseEENKUlvE0_clEvENKUlvE2_clEvEUlN3c108BFloat16EE_NS0_6memory8policies10vectorizedILi8ESt5arrayIPcLm2EELi8EEEEEvT0_T1_.has_indirect_call, 0
	.section	.AMDGPU.csdata,"",@progbits
; Function info:
; codeLenInByte = 6620
; TotalNumSgprs: 34
; NumVgprs: 84
; ScratchSize: 0
; MemoryBound: 0
	.section	.text._ZN2at6native29vectorized_elementwise_kernelILi16EZZZNS0_15sin_kernel_cudaERNS_18TensorIteratorBaseEENKUlvE0_clEvENKUlvE2_clEvEUlN3c108BFloat16EE_St5arrayIPcLm2EEEEviT0_T1_,"axG",@progbits,_ZN2at6native29vectorized_elementwise_kernelILi16EZZZNS0_15sin_kernel_cudaERNS_18TensorIteratorBaseEENKUlvE0_clEvENKUlvE2_clEvEUlN3c108BFloat16EE_St5arrayIPcLm2EEEEviT0_T1_,comdat
	.globl	_ZN2at6native29vectorized_elementwise_kernelILi16EZZZNS0_15sin_kernel_cudaERNS_18TensorIteratorBaseEENKUlvE0_clEvENKUlvE2_clEvEUlN3c108BFloat16EE_St5arrayIPcLm2EEEEviT0_T1_ ; -- Begin function _ZN2at6native29vectorized_elementwise_kernelILi16EZZZNS0_15sin_kernel_cudaERNS_18TensorIteratorBaseEENKUlvE0_clEvENKUlvE2_clEvEUlN3c108BFloat16EE_St5arrayIPcLm2EEEEviT0_T1_
	.p2align	8
	.type	_ZN2at6native29vectorized_elementwise_kernelILi16EZZZNS0_15sin_kernel_cudaERNS_18TensorIteratorBaseEENKUlvE0_clEvENKUlvE2_clEvEUlN3c108BFloat16EE_St5arrayIPcLm2EEEEviT0_T1_,@function
_ZN2at6native29vectorized_elementwise_kernelILi16EZZZNS0_15sin_kernel_cudaERNS_18TensorIteratorBaseEENKUlvE0_clEvENKUlvE2_clEvEUlN3c108BFloat16EE_St5arrayIPcLm2EEEEviT0_T1_: ; @_ZN2at6native29vectorized_elementwise_kernelILi16EZZZNS0_15sin_kernel_cudaERNS_18TensorIteratorBaseEENKUlvE0_clEvENKUlvE2_clEvEUlN3c108BFloat16EE_St5arrayIPcLm2EEEEviT0_T1_
; %bb.0:
	s_mov_b32 s12, s6
	s_clause 0x1
	s_load_dword s6, s[4:5], 0x0
	s_load_dwordx4 s[16:19], s[4:5], 0x8
	s_add_u32 s0, s0, s7
	s_addc_u32 s1, s1, 0
	s_lshl_b32 s4, s12, 11
	v_mov_b32_e32 v40, v0
	s_mov_b32 s32, 0
	s_waitcnt lgkmcnt(0)
	s_sub_i32 s9, s6, s4
	s_mov_b32 s4, -1
	s_cmpk_gt_i32 s9, 0x7ff
	s_cbranch_scc1 .LBB28_3
; %bb.1:
	s_andn2_b32 vcc_lo, exec_lo, s4
	s_cbranch_vccz .LBB28_4
.LBB28_2:
	s_endpgm
.LBB28_3:
	v_mov_b32_e32 v31, v40
	v_mov_b32_e32 v0, s16
	;; [unrolled: 1-line block ×5, first 2 shown]
	s_getpc_b64 s[4:5]
	s_add_u32 s4, s4, _ZN2at6native25elementwise_kernel_helperILb0EZZZNS0_15sin_kernel_cudaERNS_18TensorIteratorBaseEENKUlvE0_clEvENKUlvE2_clEvEUlN3c108BFloat16EE_NS0_6memory8policies10vectorizedILi8ESt5arrayIPcLm2EELi8EEEEEvT0_T1_@rel32@lo+4
	s_addc_u32 s5, s5, _ZN2at6native25elementwise_kernel_helperILb0EZZZNS0_15sin_kernel_cudaERNS_18TensorIteratorBaseEENKUlvE0_clEvENKUlvE2_clEvEUlN3c108BFloat16EE_NS0_6memory8policies10vectorizedILi8ESt5arrayIPcLm2EELi8EEEEEvT0_T1_@rel32@hi+12
	s_swappc_b64 s[30:31], s[4:5]
	s_cbranch_execnz .LBB28_2
.LBB28_4:
	v_mov_b32_e32 v31, v40
	v_mov_b32_e32 v0, s16
	;; [unrolled: 1-line block ×6, first 2 shown]
	s_getpc_b64 s[4:5]
	s_add_u32 s4, s4, _ZN2at6native25elementwise_kernel_helperILb0EZZZNS0_15sin_kernel_cudaERNS_18TensorIteratorBaseEENKUlvE0_clEvENKUlvE2_clEvEUlN3c108BFloat16EE_NS0_6memory8policies11unroll_baseILi256ESt5arrayIPcLm2EE23TrivialOffsetCalculatorILi1EjESG_NS9_15LoadWithoutCastENS9_16StoreWithoutCastELi8ELi1EEEEEvT0_T1_@rel32@lo+4
	s_addc_u32 s5, s5, _ZN2at6native25elementwise_kernel_helperILb0EZZZNS0_15sin_kernel_cudaERNS_18TensorIteratorBaseEENKUlvE0_clEvENKUlvE2_clEvEUlN3c108BFloat16EE_NS0_6memory8policies11unroll_baseILi256ESt5arrayIPcLm2EE23TrivialOffsetCalculatorILi1EjESG_NS9_15LoadWithoutCastENS9_16StoreWithoutCastELi8ELi1EEEEEvT0_T1_@rel32@hi+12
	s_swappc_b64 s[30:31], s[4:5]
	s_endpgm
	.section	.rodata,"a",@progbits
	.p2align	6, 0x0
	.amdhsa_kernel _ZN2at6native29vectorized_elementwise_kernelILi16EZZZNS0_15sin_kernel_cudaERNS_18TensorIteratorBaseEENKUlvE0_clEvENKUlvE2_clEvEUlN3c108BFloat16EE_St5arrayIPcLm2EEEEviT0_T1_
		.amdhsa_group_segment_fixed_size 0
		.amdhsa_private_segment_fixed_size 0
		.amdhsa_kernarg_size 24
		.amdhsa_user_sgpr_count 6
		.amdhsa_user_sgpr_private_segment_buffer 1
		.amdhsa_user_sgpr_dispatch_ptr 0
		.amdhsa_user_sgpr_queue_ptr 0
		.amdhsa_user_sgpr_kernarg_segment_ptr 1
		.amdhsa_user_sgpr_dispatch_id 0
		.amdhsa_user_sgpr_flat_scratch_init 0
		.amdhsa_user_sgpr_private_segment_size 0
		.amdhsa_wavefront_size32 1
		.amdhsa_uses_dynamic_stack 0
		.amdhsa_system_sgpr_private_segment_wavefront_offset 0
		.amdhsa_system_sgpr_workgroup_id_x 1
		.amdhsa_system_sgpr_workgroup_id_y 0
		.amdhsa_system_sgpr_workgroup_id_z 0
		.amdhsa_system_sgpr_workgroup_info 0
		.amdhsa_system_vgpr_workitem_id 0
		.amdhsa_next_free_vgpr 84
		.amdhsa_next_free_sgpr 33
		.amdhsa_reserve_vcc 1
		.amdhsa_reserve_flat_scratch 0
		.amdhsa_float_round_mode_32 0
		.amdhsa_float_round_mode_16_64 0
		.amdhsa_float_denorm_mode_32 3
		.amdhsa_float_denorm_mode_16_64 3
		.amdhsa_dx10_clamp 1
		.amdhsa_ieee_mode 1
		.amdhsa_fp16_overflow 0
		.amdhsa_workgroup_processor_mode 1
		.amdhsa_memory_ordered 1
		.amdhsa_forward_progress 1
		.amdhsa_shared_vgpr_count 0
		.amdhsa_exception_fp_ieee_invalid_op 0
		.amdhsa_exception_fp_denorm_src 0
		.amdhsa_exception_fp_ieee_div_zero 0
		.amdhsa_exception_fp_ieee_overflow 0
		.amdhsa_exception_fp_ieee_underflow 0
		.amdhsa_exception_fp_ieee_inexact 0
		.amdhsa_exception_int_div_zero 0
	.end_amdhsa_kernel
	.section	.text._ZN2at6native29vectorized_elementwise_kernelILi16EZZZNS0_15sin_kernel_cudaERNS_18TensorIteratorBaseEENKUlvE0_clEvENKUlvE2_clEvEUlN3c108BFloat16EE_St5arrayIPcLm2EEEEviT0_T1_,"axG",@progbits,_ZN2at6native29vectorized_elementwise_kernelILi16EZZZNS0_15sin_kernel_cudaERNS_18TensorIteratorBaseEENKUlvE0_clEvENKUlvE2_clEvEUlN3c108BFloat16EE_St5arrayIPcLm2EEEEviT0_T1_,comdat
.Lfunc_end28:
	.size	_ZN2at6native29vectorized_elementwise_kernelILi16EZZZNS0_15sin_kernel_cudaERNS_18TensorIteratorBaseEENKUlvE0_clEvENKUlvE2_clEvEUlN3c108BFloat16EE_St5arrayIPcLm2EEEEviT0_T1_, .Lfunc_end28-_ZN2at6native29vectorized_elementwise_kernelILi16EZZZNS0_15sin_kernel_cudaERNS_18TensorIteratorBaseEENKUlvE0_clEvENKUlvE2_clEvEUlN3c108BFloat16EE_St5arrayIPcLm2EEEEviT0_T1_
                                        ; -- End function
	.set _ZN2at6native29vectorized_elementwise_kernelILi16EZZZNS0_15sin_kernel_cudaERNS_18TensorIteratorBaseEENKUlvE0_clEvENKUlvE2_clEvEUlN3c108BFloat16EE_St5arrayIPcLm2EEEEviT0_T1_.num_vgpr, max(41, .L_ZN2at6native25elementwise_kernel_helperILb0EZZZNS0_15sin_kernel_cudaERNS_18TensorIteratorBaseEENKUlvE0_clEvENKUlvE2_clEvEUlN3c108BFloat16EE_NS0_6memory8policies10vectorizedILi8ESt5arrayIPcLm2EELi8EEEEEvT0_T1_.num_vgpr, .L_ZN2at6native25elementwise_kernel_helperILb0EZZZNS0_15sin_kernel_cudaERNS_18TensorIteratorBaseEENKUlvE0_clEvENKUlvE2_clEvEUlN3c108BFloat16EE_NS0_6memory8policies11unroll_baseILi256ESt5arrayIPcLm2EE23TrivialOffsetCalculatorILi1EjESG_NS9_15LoadWithoutCastENS9_16StoreWithoutCastELi8ELi1EEEEEvT0_T1_.num_vgpr)
	.set _ZN2at6native29vectorized_elementwise_kernelILi16EZZZNS0_15sin_kernel_cudaERNS_18TensorIteratorBaseEENKUlvE0_clEvENKUlvE2_clEvEUlN3c108BFloat16EE_St5arrayIPcLm2EEEEviT0_T1_.num_agpr, max(0, .L_ZN2at6native25elementwise_kernel_helperILb0EZZZNS0_15sin_kernel_cudaERNS_18TensorIteratorBaseEENKUlvE0_clEvENKUlvE2_clEvEUlN3c108BFloat16EE_NS0_6memory8policies10vectorizedILi8ESt5arrayIPcLm2EELi8EEEEEvT0_T1_.num_agpr, .L_ZN2at6native25elementwise_kernel_helperILb0EZZZNS0_15sin_kernel_cudaERNS_18TensorIteratorBaseEENKUlvE0_clEvENKUlvE2_clEvEUlN3c108BFloat16EE_NS0_6memory8policies11unroll_baseILi256ESt5arrayIPcLm2EE23TrivialOffsetCalculatorILi1EjESG_NS9_15LoadWithoutCastENS9_16StoreWithoutCastELi8ELi1EEEEEvT0_T1_.num_agpr)
	.set _ZN2at6native29vectorized_elementwise_kernelILi16EZZZNS0_15sin_kernel_cudaERNS_18TensorIteratorBaseEENKUlvE0_clEvENKUlvE2_clEvEUlN3c108BFloat16EE_St5arrayIPcLm2EEEEviT0_T1_.numbered_sgpr, max(33, .L_ZN2at6native25elementwise_kernel_helperILb0EZZZNS0_15sin_kernel_cudaERNS_18TensorIteratorBaseEENKUlvE0_clEvENKUlvE2_clEvEUlN3c108BFloat16EE_NS0_6memory8policies10vectorizedILi8ESt5arrayIPcLm2EELi8EEEEEvT0_T1_.numbered_sgpr, .L_ZN2at6native25elementwise_kernel_helperILb0EZZZNS0_15sin_kernel_cudaERNS_18TensorIteratorBaseEENKUlvE0_clEvENKUlvE2_clEvEUlN3c108BFloat16EE_NS0_6memory8policies11unroll_baseILi256ESt5arrayIPcLm2EE23TrivialOffsetCalculatorILi1EjESG_NS9_15LoadWithoutCastENS9_16StoreWithoutCastELi8ELi1EEEEEvT0_T1_.numbered_sgpr)
	.set _ZN2at6native29vectorized_elementwise_kernelILi16EZZZNS0_15sin_kernel_cudaERNS_18TensorIteratorBaseEENKUlvE0_clEvENKUlvE2_clEvEUlN3c108BFloat16EE_St5arrayIPcLm2EEEEviT0_T1_.num_named_barrier, max(0, .L_ZN2at6native25elementwise_kernel_helperILb0EZZZNS0_15sin_kernel_cudaERNS_18TensorIteratorBaseEENKUlvE0_clEvENKUlvE2_clEvEUlN3c108BFloat16EE_NS0_6memory8policies10vectorizedILi8ESt5arrayIPcLm2EELi8EEEEEvT0_T1_.num_named_barrier, .L_ZN2at6native25elementwise_kernel_helperILb0EZZZNS0_15sin_kernel_cudaERNS_18TensorIteratorBaseEENKUlvE0_clEvENKUlvE2_clEvEUlN3c108BFloat16EE_NS0_6memory8policies11unroll_baseILi256ESt5arrayIPcLm2EE23TrivialOffsetCalculatorILi1EjESG_NS9_15LoadWithoutCastENS9_16StoreWithoutCastELi8ELi1EEEEEvT0_T1_.num_named_barrier)
	.set _ZN2at6native29vectorized_elementwise_kernelILi16EZZZNS0_15sin_kernel_cudaERNS_18TensorIteratorBaseEENKUlvE0_clEvENKUlvE2_clEvEUlN3c108BFloat16EE_St5arrayIPcLm2EEEEviT0_T1_.private_seg_size, 0+max(.L_ZN2at6native25elementwise_kernel_helperILb0EZZZNS0_15sin_kernel_cudaERNS_18TensorIteratorBaseEENKUlvE0_clEvENKUlvE2_clEvEUlN3c108BFloat16EE_NS0_6memory8policies10vectorizedILi8ESt5arrayIPcLm2EELi8EEEEEvT0_T1_.private_seg_size, .L_ZN2at6native25elementwise_kernel_helperILb0EZZZNS0_15sin_kernel_cudaERNS_18TensorIteratorBaseEENKUlvE0_clEvENKUlvE2_clEvEUlN3c108BFloat16EE_NS0_6memory8policies11unroll_baseILi256ESt5arrayIPcLm2EE23TrivialOffsetCalculatorILi1EjESG_NS9_15LoadWithoutCastENS9_16StoreWithoutCastELi8ELi1EEEEEvT0_T1_.private_seg_size)
	.set _ZN2at6native29vectorized_elementwise_kernelILi16EZZZNS0_15sin_kernel_cudaERNS_18TensorIteratorBaseEENKUlvE0_clEvENKUlvE2_clEvEUlN3c108BFloat16EE_St5arrayIPcLm2EEEEviT0_T1_.uses_vcc, or(1, .L_ZN2at6native25elementwise_kernel_helperILb0EZZZNS0_15sin_kernel_cudaERNS_18TensorIteratorBaseEENKUlvE0_clEvENKUlvE2_clEvEUlN3c108BFloat16EE_NS0_6memory8policies10vectorizedILi8ESt5arrayIPcLm2EELi8EEEEEvT0_T1_.uses_vcc, .L_ZN2at6native25elementwise_kernel_helperILb0EZZZNS0_15sin_kernel_cudaERNS_18TensorIteratorBaseEENKUlvE0_clEvENKUlvE2_clEvEUlN3c108BFloat16EE_NS0_6memory8policies11unroll_baseILi256ESt5arrayIPcLm2EE23TrivialOffsetCalculatorILi1EjESG_NS9_15LoadWithoutCastENS9_16StoreWithoutCastELi8ELi1EEEEEvT0_T1_.uses_vcc)
	.set _ZN2at6native29vectorized_elementwise_kernelILi16EZZZNS0_15sin_kernel_cudaERNS_18TensorIteratorBaseEENKUlvE0_clEvENKUlvE2_clEvEUlN3c108BFloat16EE_St5arrayIPcLm2EEEEviT0_T1_.uses_flat_scratch, or(0, .L_ZN2at6native25elementwise_kernel_helperILb0EZZZNS0_15sin_kernel_cudaERNS_18TensorIteratorBaseEENKUlvE0_clEvENKUlvE2_clEvEUlN3c108BFloat16EE_NS0_6memory8policies10vectorizedILi8ESt5arrayIPcLm2EELi8EEEEEvT0_T1_.uses_flat_scratch, .L_ZN2at6native25elementwise_kernel_helperILb0EZZZNS0_15sin_kernel_cudaERNS_18TensorIteratorBaseEENKUlvE0_clEvENKUlvE2_clEvEUlN3c108BFloat16EE_NS0_6memory8policies11unroll_baseILi256ESt5arrayIPcLm2EE23TrivialOffsetCalculatorILi1EjESG_NS9_15LoadWithoutCastENS9_16StoreWithoutCastELi8ELi1EEEEEvT0_T1_.uses_flat_scratch)
	.set _ZN2at6native29vectorized_elementwise_kernelILi16EZZZNS0_15sin_kernel_cudaERNS_18TensorIteratorBaseEENKUlvE0_clEvENKUlvE2_clEvEUlN3c108BFloat16EE_St5arrayIPcLm2EEEEviT0_T1_.has_dyn_sized_stack, or(0, .L_ZN2at6native25elementwise_kernel_helperILb0EZZZNS0_15sin_kernel_cudaERNS_18TensorIteratorBaseEENKUlvE0_clEvENKUlvE2_clEvEUlN3c108BFloat16EE_NS0_6memory8policies10vectorizedILi8ESt5arrayIPcLm2EELi8EEEEEvT0_T1_.has_dyn_sized_stack, .L_ZN2at6native25elementwise_kernel_helperILb0EZZZNS0_15sin_kernel_cudaERNS_18TensorIteratorBaseEENKUlvE0_clEvENKUlvE2_clEvEUlN3c108BFloat16EE_NS0_6memory8policies11unroll_baseILi256ESt5arrayIPcLm2EE23TrivialOffsetCalculatorILi1EjESG_NS9_15LoadWithoutCastENS9_16StoreWithoutCastELi8ELi1EEEEEvT0_T1_.has_dyn_sized_stack)
	.set _ZN2at6native29vectorized_elementwise_kernelILi16EZZZNS0_15sin_kernel_cudaERNS_18TensorIteratorBaseEENKUlvE0_clEvENKUlvE2_clEvEUlN3c108BFloat16EE_St5arrayIPcLm2EEEEviT0_T1_.has_recursion, or(0, .L_ZN2at6native25elementwise_kernel_helperILb0EZZZNS0_15sin_kernel_cudaERNS_18TensorIteratorBaseEENKUlvE0_clEvENKUlvE2_clEvEUlN3c108BFloat16EE_NS0_6memory8policies10vectorizedILi8ESt5arrayIPcLm2EELi8EEEEEvT0_T1_.has_recursion, .L_ZN2at6native25elementwise_kernel_helperILb0EZZZNS0_15sin_kernel_cudaERNS_18TensorIteratorBaseEENKUlvE0_clEvENKUlvE2_clEvEUlN3c108BFloat16EE_NS0_6memory8policies11unroll_baseILi256ESt5arrayIPcLm2EE23TrivialOffsetCalculatorILi1EjESG_NS9_15LoadWithoutCastENS9_16StoreWithoutCastELi8ELi1EEEEEvT0_T1_.has_recursion)
	.set _ZN2at6native29vectorized_elementwise_kernelILi16EZZZNS0_15sin_kernel_cudaERNS_18TensorIteratorBaseEENKUlvE0_clEvENKUlvE2_clEvEUlN3c108BFloat16EE_St5arrayIPcLm2EEEEviT0_T1_.has_indirect_call, or(0, .L_ZN2at6native25elementwise_kernel_helperILb0EZZZNS0_15sin_kernel_cudaERNS_18TensorIteratorBaseEENKUlvE0_clEvENKUlvE2_clEvEUlN3c108BFloat16EE_NS0_6memory8policies10vectorizedILi8ESt5arrayIPcLm2EELi8EEEEEvT0_T1_.has_indirect_call, .L_ZN2at6native25elementwise_kernel_helperILb0EZZZNS0_15sin_kernel_cudaERNS_18TensorIteratorBaseEENKUlvE0_clEvENKUlvE2_clEvEUlN3c108BFloat16EE_NS0_6memory8policies11unroll_baseILi256ESt5arrayIPcLm2EE23TrivialOffsetCalculatorILi1EjESG_NS9_15LoadWithoutCastENS9_16StoreWithoutCastELi8ELi1EEEEEvT0_T1_.has_indirect_call)
	.section	.AMDGPU.csdata,"",@progbits
; Kernel info:
; codeLenInByte = 176
; TotalNumSgprs: 35
; NumVgprs: 84
; ScratchSize: 0
; MemoryBound: 0
; FloatMode: 240
; IeeeMode: 1
; LDSByteSize: 0 bytes/workgroup (compile time only)
; SGPRBlocks: 0
; VGPRBlocks: 10
; NumSGPRsForWavesPerEU: 35
; NumVGPRsForWavesPerEU: 84
; Occupancy: 10
; WaveLimiterHint : 0
; COMPUTE_PGM_RSRC2:SCRATCH_EN: 0
; COMPUTE_PGM_RSRC2:USER_SGPR: 6
; COMPUTE_PGM_RSRC2:TRAP_HANDLER: 0
; COMPUTE_PGM_RSRC2:TGID_X_EN: 1
; COMPUTE_PGM_RSRC2:TGID_Y_EN: 0
; COMPUTE_PGM_RSRC2:TGID_Z_EN: 0
; COMPUTE_PGM_RSRC2:TIDIG_COMP_CNT: 0
	.section	.text._ZN2at6native29vectorized_elementwise_kernelILi8EZZZNS0_15sin_kernel_cudaERNS_18TensorIteratorBaseEENKUlvE0_clEvENKUlvE2_clEvEUlN3c108BFloat16EE_St5arrayIPcLm2EEEEviT0_T1_,"axG",@progbits,_ZN2at6native29vectorized_elementwise_kernelILi8EZZZNS0_15sin_kernel_cudaERNS_18TensorIteratorBaseEENKUlvE0_clEvENKUlvE2_clEvEUlN3c108BFloat16EE_St5arrayIPcLm2EEEEviT0_T1_,comdat
	.globl	_ZN2at6native29vectorized_elementwise_kernelILi8EZZZNS0_15sin_kernel_cudaERNS_18TensorIteratorBaseEENKUlvE0_clEvENKUlvE2_clEvEUlN3c108BFloat16EE_St5arrayIPcLm2EEEEviT0_T1_ ; -- Begin function _ZN2at6native29vectorized_elementwise_kernelILi8EZZZNS0_15sin_kernel_cudaERNS_18TensorIteratorBaseEENKUlvE0_clEvENKUlvE2_clEvEUlN3c108BFloat16EE_St5arrayIPcLm2EEEEviT0_T1_
	.p2align	8
	.type	_ZN2at6native29vectorized_elementwise_kernelILi8EZZZNS0_15sin_kernel_cudaERNS_18TensorIteratorBaseEENKUlvE0_clEvENKUlvE2_clEvEUlN3c108BFloat16EE_St5arrayIPcLm2EEEEviT0_T1_,@function
_ZN2at6native29vectorized_elementwise_kernelILi8EZZZNS0_15sin_kernel_cudaERNS_18TensorIteratorBaseEENKUlvE0_clEvENKUlvE2_clEvEUlN3c108BFloat16EE_St5arrayIPcLm2EEEEviT0_T1_: ; @_ZN2at6native29vectorized_elementwise_kernelILi8EZZZNS0_15sin_kernel_cudaERNS_18TensorIteratorBaseEENKUlvE0_clEvENKUlvE2_clEvEUlN3c108BFloat16EE_St5arrayIPcLm2EEEEviT0_T1_
; %bb.0:
	s_mov_b32 s12, s6
	s_clause 0x1
	s_load_dword s6, s[4:5], 0x0
	s_load_dwordx4 s[16:19], s[4:5], 0x8
	s_add_u32 s0, s0, s7
	s_addc_u32 s1, s1, 0
	s_lshl_b32 s4, s12, 11
	v_mov_b32_e32 v40, v0
	s_mov_b32 s32, 0
	s_waitcnt lgkmcnt(0)
	s_sub_i32 s9, s6, s4
	s_mov_b32 s4, -1
	s_cmpk_gt_i32 s9, 0x7ff
	s_cbranch_scc1 .LBB29_3
; %bb.1:
	s_andn2_b32 vcc_lo, exec_lo, s4
	s_cbranch_vccz .LBB29_4
.LBB29_2:
	s_endpgm
.LBB29_3:
	v_mov_b32_e32 v31, v40
	v_mov_b32_e32 v0, s16
	;; [unrolled: 1-line block ×5, first 2 shown]
	s_getpc_b64 s[4:5]
	s_add_u32 s4, s4, _ZN2at6native25elementwise_kernel_helperILb0EZZZNS0_15sin_kernel_cudaERNS_18TensorIteratorBaseEENKUlvE0_clEvENKUlvE2_clEvEUlN3c108BFloat16EE_NS0_6memory8policies10vectorizedILi8ESt5arrayIPcLm2EELi8EEEEEvT0_T1_@rel32@lo+4
	s_addc_u32 s5, s5, _ZN2at6native25elementwise_kernel_helperILb0EZZZNS0_15sin_kernel_cudaERNS_18TensorIteratorBaseEENKUlvE0_clEvENKUlvE2_clEvEUlN3c108BFloat16EE_NS0_6memory8policies10vectorizedILi8ESt5arrayIPcLm2EELi8EEEEEvT0_T1_@rel32@hi+12
	s_swappc_b64 s[30:31], s[4:5]
	s_cbranch_execnz .LBB29_2
.LBB29_4:
	v_mov_b32_e32 v31, v40
	v_mov_b32_e32 v0, s16
	;; [unrolled: 1-line block ×6, first 2 shown]
	s_getpc_b64 s[4:5]
	s_add_u32 s4, s4, _ZN2at6native25elementwise_kernel_helperILb0EZZZNS0_15sin_kernel_cudaERNS_18TensorIteratorBaseEENKUlvE0_clEvENKUlvE2_clEvEUlN3c108BFloat16EE_NS0_6memory8policies11unroll_baseILi256ESt5arrayIPcLm2EE23TrivialOffsetCalculatorILi1EjESG_NS9_15LoadWithoutCastENS9_16StoreWithoutCastELi8ELi1EEEEEvT0_T1_@rel32@lo+4
	s_addc_u32 s5, s5, _ZN2at6native25elementwise_kernel_helperILb0EZZZNS0_15sin_kernel_cudaERNS_18TensorIteratorBaseEENKUlvE0_clEvENKUlvE2_clEvEUlN3c108BFloat16EE_NS0_6memory8policies11unroll_baseILi256ESt5arrayIPcLm2EE23TrivialOffsetCalculatorILi1EjESG_NS9_15LoadWithoutCastENS9_16StoreWithoutCastELi8ELi1EEEEEvT0_T1_@rel32@hi+12
	s_swappc_b64 s[30:31], s[4:5]
	s_endpgm
	.section	.rodata,"a",@progbits
	.p2align	6, 0x0
	.amdhsa_kernel _ZN2at6native29vectorized_elementwise_kernelILi8EZZZNS0_15sin_kernel_cudaERNS_18TensorIteratorBaseEENKUlvE0_clEvENKUlvE2_clEvEUlN3c108BFloat16EE_St5arrayIPcLm2EEEEviT0_T1_
		.amdhsa_group_segment_fixed_size 0
		.amdhsa_private_segment_fixed_size 0
		.amdhsa_kernarg_size 24
		.amdhsa_user_sgpr_count 6
		.amdhsa_user_sgpr_private_segment_buffer 1
		.amdhsa_user_sgpr_dispatch_ptr 0
		.amdhsa_user_sgpr_queue_ptr 0
		.amdhsa_user_sgpr_kernarg_segment_ptr 1
		.amdhsa_user_sgpr_dispatch_id 0
		.amdhsa_user_sgpr_flat_scratch_init 0
		.amdhsa_user_sgpr_private_segment_size 0
		.amdhsa_wavefront_size32 1
		.amdhsa_uses_dynamic_stack 0
		.amdhsa_system_sgpr_private_segment_wavefront_offset 0
		.amdhsa_system_sgpr_workgroup_id_x 1
		.amdhsa_system_sgpr_workgroup_id_y 0
		.amdhsa_system_sgpr_workgroup_id_z 0
		.amdhsa_system_sgpr_workgroup_info 0
		.amdhsa_system_vgpr_workitem_id 0
		.amdhsa_next_free_vgpr 84
		.amdhsa_next_free_sgpr 33
		.amdhsa_reserve_vcc 1
		.amdhsa_reserve_flat_scratch 0
		.amdhsa_float_round_mode_32 0
		.amdhsa_float_round_mode_16_64 0
		.amdhsa_float_denorm_mode_32 3
		.amdhsa_float_denorm_mode_16_64 3
		.amdhsa_dx10_clamp 1
		.amdhsa_ieee_mode 1
		.amdhsa_fp16_overflow 0
		.amdhsa_workgroup_processor_mode 1
		.amdhsa_memory_ordered 1
		.amdhsa_forward_progress 1
		.amdhsa_shared_vgpr_count 0
		.amdhsa_exception_fp_ieee_invalid_op 0
		.amdhsa_exception_fp_denorm_src 0
		.amdhsa_exception_fp_ieee_div_zero 0
		.amdhsa_exception_fp_ieee_overflow 0
		.amdhsa_exception_fp_ieee_underflow 0
		.amdhsa_exception_fp_ieee_inexact 0
		.amdhsa_exception_int_div_zero 0
	.end_amdhsa_kernel
	.section	.text._ZN2at6native29vectorized_elementwise_kernelILi8EZZZNS0_15sin_kernel_cudaERNS_18TensorIteratorBaseEENKUlvE0_clEvENKUlvE2_clEvEUlN3c108BFloat16EE_St5arrayIPcLm2EEEEviT0_T1_,"axG",@progbits,_ZN2at6native29vectorized_elementwise_kernelILi8EZZZNS0_15sin_kernel_cudaERNS_18TensorIteratorBaseEENKUlvE0_clEvENKUlvE2_clEvEUlN3c108BFloat16EE_St5arrayIPcLm2EEEEviT0_T1_,comdat
.Lfunc_end29:
	.size	_ZN2at6native29vectorized_elementwise_kernelILi8EZZZNS0_15sin_kernel_cudaERNS_18TensorIteratorBaseEENKUlvE0_clEvENKUlvE2_clEvEUlN3c108BFloat16EE_St5arrayIPcLm2EEEEviT0_T1_, .Lfunc_end29-_ZN2at6native29vectorized_elementwise_kernelILi8EZZZNS0_15sin_kernel_cudaERNS_18TensorIteratorBaseEENKUlvE0_clEvENKUlvE2_clEvEUlN3c108BFloat16EE_St5arrayIPcLm2EEEEviT0_T1_
                                        ; -- End function
	.set _ZN2at6native29vectorized_elementwise_kernelILi8EZZZNS0_15sin_kernel_cudaERNS_18TensorIteratorBaseEENKUlvE0_clEvENKUlvE2_clEvEUlN3c108BFloat16EE_St5arrayIPcLm2EEEEviT0_T1_.num_vgpr, max(41, .L_ZN2at6native25elementwise_kernel_helperILb0EZZZNS0_15sin_kernel_cudaERNS_18TensorIteratorBaseEENKUlvE0_clEvENKUlvE2_clEvEUlN3c108BFloat16EE_NS0_6memory8policies10vectorizedILi8ESt5arrayIPcLm2EELi8EEEEEvT0_T1_.num_vgpr, .L_ZN2at6native25elementwise_kernel_helperILb0EZZZNS0_15sin_kernel_cudaERNS_18TensorIteratorBaseEENKUlvE0_clEvENKUlvE2_clEvEUlN3c108BFloat16EE_NS0_6memory8policies11unroll_baseILi256ESt5arrayIPcLm2EE23TrivialOffsetCalculatorILi1EjESG_NS9_15LoadWithoutCastENS9_16StoreWithoutCastELi8ELi1EEEEEvT0_T1_.num_vgpr)
	.set _ZN2at6native29vectorized_elementwise_kernelILi8EZZZNS0_15sin_kernel_cudaERNS_18TensorIteratorBaseEENKUlvE0_clEvENKUlvE2_clEvEUlN3c108BFloat16EE_St5arrayIPcLm2EEEEviT0_T1_.num_agpr, max(0, .L_ZN2at6native25elementwise_kernel_helperILb0EZZZNS0_15sin_kernel_cudaERNS_18TensorIteratorBaseEENKUlvE0_clEvENKUlvE2_clEvEUlN3c108BFloat16EE_NS0_6memory8policies10vectorizedILi8ESt5arrayIPcLm2EELi8EEEEEvT0_T1_.num_agpr, .L_ZN2at6native25elementwise_kernel_helperILb0EZZZNS0_15sin_kernel_cudaERNS_18TensorIteratorBaseEENKUlvE0_clEvENKUlvE2_clEvEUlN3c108BFloat16EE_NS0_6memory8policies11unroll_baseILi256ESt5arrayIPcLm2EE23TrivialOffsetCalculatorILi1EjESG_NS9_15LoadWithoutCastENS9_16StoreWithoutCastELi8ELi1EEEEEvT0_T1_.num_agpr)
	.set _ZN2at6native29vectorized_elementwise_kernelILi8EZZZNS0_15sin_kernel_cudaERNS_18TensorIteratorBaseEENKUlvE0_clEvENKUlvE2_clEvEUlN3c108BFloat16EE_St5arrayIPcLm2EEEEviT0_T1_.numbered_sgpr, max(33, .L_ZN2at6native25elementwise_kernel_helperILb0EZZZNS0_15sin_kernel_cudaERNS_18TensorIteratorBaseEENKUlvE0_clEvENKUlvE2_clEvEUlN3c108BFloat16EE_NS0_6memory8policies10vectorizedILi8ESt5arrayIPcLm2EELi8EEEEEvT0_T1_.numbered_sgpr, .L_ZN2at6native25elementwise_kernel_helperILb0EZZZNS0_15sin_kernel_cudaERNS_18TensorIteratorBaseEENKUlvE0_clEvENKUlvE2_clEvEUlN3c108BFloat16EE_NS0_6memory8policies11unroll_baseILi256ESt5arrayIPcLm2EE23TrivialOffsetCalculatorILi1EjESG_NS9_15LoadWithoutCastENS9_16StoreWithoutCastELi8ELi1EEEEEvT0_T1_.numbered_sgpr)
	.set _ZN2at6native29vectorized_elementwise_kernelILi8EZZZNS0_15sin_kernel_cudaERNS_18TensorIteratorBaseEENKUlvE0_clEvENKUlvE2_clEvEUlN3c108BFloat16EE_St5arrayIPcLm2EEEEviT0_T1_.num_named_barrier, max(0, .L_ZN2at6native25elementwise_kernel_helperILb0EZZZNS0_15sin_kernel_cudaERNS_18TensorIteratorBaseEENKUlvE0_clEvENKUlvE2_clEvEUlN3c108BFloat16EE_NS0_6memory8policies10vectorizedILi8ESt5arrayIPcLm2EELi8EEEEEvT0_T1_.num_named_barrier, .L_ZN2at6native25elementwise_kernel_helperILb0EZZZNS0_15sin_kernel_cudaERNS_18TensorIteratorBaseEENKUlvE0_clEvENKUlvE2_clEvEUlN3c108BFloat16EE_NS0_6memory8policies11unroll_baseILi256ESt5arrayIPcLm2EE23TrivialOffsetCalculatorILi1EjESG_NS9_15LoadWithoutCastENS9_16StoreWithoutCastELi8ELi1EEEEEvT0_T1_.num_named_barrier)
	.set _ZN2at6native29vectorized_elementwise_kernelILi8EZZZNS0_15sin_kernel_cudaERNS_18TensorIteratorBaseEENKUlvE0_clEvENKUlvE2_clEvEUlN3c108BFloat16EE_St5arrayIPcLm2EEEEviT0_T1_.private_seg_size, 0+max(.L_ZN2at6native25elementwise_kernel_helperILb0EZZZNS0_15sin_kernel_cudaERNS_18TensorIteratorBaseEENKUlvE0_clEvENKUlvE2_clEvEUlN3c108BFloat16EE_NS0_6memory8policies10vectorizedILi8ESt5arrayIPcLm2EELi8EEEEEvT0_T1_.private_seg_size, .L_ZN2at6native25elementwise_kernel_helperILb0EZZZNS0_15sin_kernel_cudaERNS_18TensorIteratorBaseEENKUlvE0_clEvENKUlvE2_clEvEUlN3c108BFloat16EE_NS0_6memory8policies11unroll_baseILi256ESt5arrayIPcLm2EE23TrivialOffsetCalculatorILi1EjESG_NS9_15LoadWithoutCastENS9_16StoreWithoutCastELi8ELi1EEEEEvT0_T1_.private_seg_size)
	.set _ZN2at6native29vectorized_elementwise_kernelILi8EZZZNS0_15sin_kernel_cudaERNS_18TensorIteratorBaseEENKUlvE0_clEvENKUlvE2_clEvEUlN3c108BFloat16EE_St5arrayIPcLm2EEEEviT0_T1_.uses_vcc, or(1, .L_ZN2at6native25elementwise_kernel_helperILb0EZZZNS0_15sin_kernel_cudaERNS_18TensorIteratorBaseEENKUlvE0_clEvENKUlvE2_clEvEUlN3c108BFloat16EE_NS0_6memory8policies10vectorizedILi8ESt5arrayIPcLm2EELi8EEEEEvT0_T1_.uses_vcc, .L_ZN2at6native25elementwise_kernel_helperILb0EZZZNS0_15sin_kernel_cudaERNS_18TensorIteratorBaseEENKUlvE0_clEvENKUlvE2_clEvEUlN3c108BFloat16EE_NS0_6memory8policies11unroll_baseILi256ESt5arrayIPcLm2EE23TrivialOffsetCalculatorILi1EjESG_NS9_15LoadWithoutCastENS9_16StoreWithoutCastELi8ELi1EEEEEvT0_T1_.uses_vcc)
	.set _ZN2at6native29vectorized_elementwise_kernelILi8EZZZNS0_15sin_kernel_cudaERNS_18TensorIteratorBaseEENKUlvE0_clEvENKUlvE2_clEvEUlN3c108BFloat16EE_St5arrayIPcLm2EEEEviT0_T1_.uses_flat_scratch, or(0, .L_ZN2at6native25elementwise_kernel_helperILb0EZZZNS0_15sin_kernel_cudaERNS_18TensorIteratorBaseEENKUlvE0_clEvENKUlvE2_clEvEUlN3c108BFloat16EE_NS0_6memory8policies10vectorizedILi8ESt5arrayIPcLm2EELi8EEEEEvT0_T1_.uses_flat_scratch, .L_ZN2at6native25elementwise_kernel_helperILb0EZZZNS0_15sin_kernel_cudaERNS_18TensorIteratorBaseEENKUlvE0_clEvENKUlvE2_clEvEUlN3c108BFloat16EE_NS0_6memory8policies11unroll_baseILi256ESt5arrayIPcLm2EE23TrivialOffsetCalculatorILi1EjESG_NS9_15LoadWithoutCastENS9_16StoreWithoutCastELi8ELi1EEEEEvT0_T1_.uses_flat_scratch)
	.set _ZN2at6native29vectorized_elementwise_kernelILi8EZZZNS0_15sin_kernel_cudaERNS_18TensorIteratorBaseEENKUlvE0_clEvENKUlvE2_clEvEUlN3c108BFloat16EE_St5arrayIPcLm2EEEEviT0_T1_.has_dyn_sized_stack, or(0, .L_ZN2at6native25elementwise_kernel_helperILb0EZZZNS0_15sin_kernel_cudaERNS_18TensorIteratorBaseEENKUlvE0_clEvENKUlvE2_clEvEUlN3c108BFloat16EE_NS0_6memory8policies10vectorizedILi8ESt5arrayIPcLm2EELi8EEEEEvT0_T1_.has_dyn_sized_stack, .L_ZN2at6native25elementwise_kernel_helperILb0EZZZNS0_15sin_kernel_cudaERNS_18TensorIteratorBaseEENKUlvE0_clEvENKUlvE2_clEvEUlN3c108BFloat16EE_NS0_6memory8policies11unroll_baseILi256ESt5arrayIPcLm2EE23TrivialOffsetCalculatorILi1EjESG_NS9_15LoadWithoutCastENS9_16StoreWithoutCastELi8ELi1EEEEEvT0_T1_.has_dyn_sized_stack)
	.set _ZN2at6native29vectorized_elementwise_kernelILi8EZZZNS0_15sin_kernel_cudaERNS_18TensorIteratorBaseEENKUlvE0_clEvENKUlvE2_clEvEUlN3c108BFloat16EE_St5arrayIPcLm2EEEEviT0_T1_.has_recursion, or(0, .L_ZN2at6native25elementwise_kernel_helperILb0EZZZNS0_15sin_kernel_cudaERNS_18TensorIteratorBaseEENKUlvE0_clEvENKUlvE2_clEvEUlN3c108BFloat16EE_NS0_6memory8policies10vectorizedILi8ESt5arrayIPcLm2EELi8EEEEEvT0_T1_.has_recursion, .L_ZN2at6native25elementwise_kernel_helperILb0EZZZNS0_15sin_kernel_cudaERNS_18TensorIteratorBaseEENKUlvE0_clEvENKUlvE2_clEvEUlN3c108BFloat16EE_NS0_6memory8policies11unroll_baseILi256ESt5arrayIPcLm2EE23TrivialOffsetCalculatorILi1EjESG_NS9_15LoadWithoutCastENS9_16StoreWithoutCastELi8ELi1EEEEEvT0_T1_.has_recursion)
	.set _ZN2at6native29vectorized_elementwise_kernelILi8EZZZNS0_15sin_kernel_cudaERNS_18TensorIteratorBaseEENKUlvE0_clEvENKUlvE2_clEvEUlN3c108BFloat16EE_St5arrayIPcLm2EEEEviT0_T1_.has_indirect_call, or(0, .L_ZN2at6native25elementwise_kernel_helperILb0EZZZNS0_15sin_kernel_cudaERNS_18TensorIteratorBaseEENKUlvE0_clEvENKUlvE2_clEvEUlN3c108BFloat16EE_NS0_6memory8policies10vectorizedILi8ESt5arrayIPcLm2EELi8EEEEEvT0_T1_.has_indirect_call, .L_ZN2at6native25elementwise_kernel_helperILb0EZZZNS0_15sin_kernel_cudaERNS_18TensorIteratorBaseEENKUlvE0_clEvENKUlvE2_clEvEUlN3c108BFloat16EE_NS0_6memory8policies11unroll_baseILi256ESt5arrayIPcLm2EE23TrivialOffsetCalculatorILi1EjESG_NS9_15LoadWithoutCastENS9_16StoreWithoutCastELi8ELi1EEEEEvT0_T1_.has_indirect_call)
	.section	.AMDGPU.csdata,"",@progbits
; Kernel info:
; codeLenInByte = 176
; TotalNumSgprs: 35
; NumVgprs: 84
; ScratchSize: 0
; MemoryBound: 0
; FloatMode: 240
; IeeeMode: 1
; LDSByteSize: 0 bytes/workgroup (compile time only)
; SGPRBlocks: 0
; VGPRBlocks: 10
; NumSGPRsForWavesPerEU: 35
; NumVGPRsForWavesPerEU: 84
; Occupancy: 10
; WaveLimiterHint : 0
; COMPUTE_PGM_RSRC2:SCRATCH_EN: 0
; COMPUTE_PGM_RSRC2:USER_SGPR: 6
; COMPUTE_PGM_RSRC2:TRAP_HANDLER: 0
; COMPUTE_PGM_RSRC2:TGID_X_EN: 1
; COMPUTE_PGM_RSRC2:TGID_Y_EN: 0
; COMPUTE_PGM_RSRC2:TGID_Z_EN: 0
; COMPUTE_PGM_RSRC2:TIDIG_COMP_CNT: 0
	.section	.text._ZN2at6native29vectorized_elementwise_kernelILi4EZZZNS0_15sin_kernel_cudaERNS_18TensorIteratorBaseEENKUlvE0_clEvENKUlvE2_clEvEUlN3c108BFloat16EE_St5arrayIPcLm2EEEEviT0_T1_,"axG",@progbits,_ZN2at6native29vectorized_elementwise_kernelILi4EZZZNS0_15sin_kernel_cudaERNS_18TensorIteratorBaseEENKUlvE0_clEvENKUlvE2_clEvEUlN3c108BFloat16EE_St5arrayIPcLm2EEEEviT0_T1_,comdat
	.globl	_ZN2at6native29vectorized_elementwise_kernelILi4EZZZNS0_15sin_kernel_cudaERNS_18TensorIteratorBaseEENKUlvE0_clEvENKUlvE2_clEvEUlN3c108BFloat16EE_St5arrayIPcLm2EEEEviT0_T1_ ; -- Begin function _ZN2at6native29vectorized_elementwise_kernelILi4EZZZNS0_15sin_kernel_cudaERNS_18TensorIteratorBaseEENKUlvE0_clEvENKUlvE2_clEvEUlN3c108BFloat16EE_St5arrayIPcLm2EEEEviT0_T1_
	.p2align	8
	.type	_ZN2at6native29vectorized_elementwise_kernelILi4EZZZNS0_15sin_kernel_cudaERNS_18TensorIteratorBaseEENKUlvE0_clEvENKUlvE2_clEvEUlN3c108BFloat16EE_St5arrayIPcLm2EEEEviT0_T1_,@function
_ZN2at6native29vectorized_elementwise_kernelILi4EZZZNS0_15sin_kernel_cudaERNS_18TensorIteratorBaseEENKUlvE0_clEvENKUlvE2_clEvEUlN3c108BFloat16EE_St5arrayIPcLm2EEEEviT0_T1_: ; @_ZN2at6native29vectorized_elementwise_kernelILi4EZZZNS0_15sin_kernel_cudaERNS_18TensorIteratorBaseEENKUlvE0_clEvENKUlvE2_clEvEUlN3c108BFloat16EE_St5arrayIPcLm2EEEEviT0_T1_
; %bb.0:
	s_add_u32 s0, s0, s7
	s_clause 0x1
	s_load_dword s7, s[4:5], 0x0
	s_load_dwordx4 s[8:11], s[4:5], 0x8
	s_addc_u32 s1, s1, 0
	s_lshl_b32 s4, s6, 11
	s_mov_b32 s5, -1
	s_mov_b32 s32, 0
	s_waitcnt lgkmcnt(0)
	s_sub_i32 s7, s7, s4
	s_cmpk_gt_i32 s7, 0x7ff
	s_cbranch_scc1 .LBB30_3
; %bb.1:
	s_and_b32 vcc_lo, exec_lo, s5
	s_cbranch_vccnz .LBB30_36
.LBB30_2:
	s_endpgm
.LBB30_3:
	s_ashr_i32 s5, s4, 31
	v_lshlrev_b32_e32 v7, 3, v0
	s_lshl_b64 s[12:13], s[4:5], 1
	v_mov_b32_e32 v6, 0
	s_add_u32 s4, s10, s12
	s_addc_u32 s5, s11, s13
                                        ; implicit-def: $vgpr11
                                        ; implicit-def: $vgpr10
	global_load_dwordx2 v[3:4], v7, s[4:5]
	v_add_co_u32 v1, s4, s4, v7
	v_add_co_ci_u32_e64 v2, null, s5, 0, s4
	s_mov_b32 s5, exec_lo
	v_add_co_u32 v1, vcc_lo, 0x800, v1
	v_add_co_ci_u32_e64 v2, null, 0, v2, vcc_lo
	global_load_dwordx2 v[1:2], v[1:2], off
	s_waitcnt vmcnt(1)
	v_lshlrev_b32_e32 v8, 16, v3
	v_and_b32_e32 v9, 0x7fffffff, v8
	v_cmpx_ngt_f32_e64 0x48000000, |v8|
	s_xor_b32 s14, exec_lo, s5
	s_cbranch_execz .LBB30_5
; %bb.4:
	s_mov_b32 s4, 0x7fffff
	v_lshrrev_b32_e32 v15, 23, v9
	v_and_or_b32 v17, v9, s4, 0x800000
	v_add_nc_u32_e32 v16, 0xffffff88, v15
	v_mad_u64_u32 v[10:11], null, 0xfe5163ab, v17, 0
	v_cmp_lt_u32_e32 vcc_lo, 63, v16
	v_mov_b32_e32 v5, v11
	v_cndmask_b32_e64 v18, 0, 0xffffffc0, vcc_lo
	v_mad_u64_u32 v[11:12], null, 0x3c439041, v17, v[5:6]
	v_add_nc_u32_e32 v18, v18, v16
	v_cmp_lt_u32_e64 s4, 31, v18
	v_mov_b32_e32 v5, v12
	v_cndmask_b32_e64 v19, 0, 0xffffffe0, s4
	v_mad_u64_u32 v[12:13], null, 0xdb629599, v17, v[5:6]
	v_mov_b32_e32 v5, v13
	v_cndmask_b32_e32 v10, v12, v10, vcc_lo
	v_mad_u64_u32 v[13:14], null, 0xf534ddc0, v17, v[5:6]
	v_mov_b32_e32 v5, v14
	v_cndmask_b32_e32 v11, v13, v11, vcc_lo
	v_mad_u64_u32 v[14:15], null, 0xfc2757d1, v17, v[5:6]
	v_cndmask_b32_e64 v10, v11, v10, s4
	v_mov_b32_e32 v5, v15
	v_mad_u64_u32 v[15:16], null, 0x4e441529, v17, v[5:6]
	v_mov_b32_e32 v5, v16
	v_add_nc_u32_e32 v16, v19, v18
	v_cndmask_b32_e32 v18, v15, v13, vcc_lo
	v_mad_u64_u32 v[5:6], null, 0xa2f9836e, v17, v[5:6]
	v_cmp_lt_u32_e64 s5, 31, v16
	v_cndmask_b32_e64 v17, 0, 0xffffffe0, s5
	v_cndmask_b32_e32 v5, v5, v14, vcc_lo
	v_cndmask_b32_e32 v6, v6, v15, vcc_lo
	;; [unrolled: 1-line block ×3, first 2 shown]
	v_add_nc_u32_e32 v15, v17, v16
	v_cndmask_b32_e64 v13, v5, v18, s4
	v_cndmask_b32_e64 v5, v6, v5, s4
	;; [unrolled: 1-line block ×4, first 2 shown]
	v_sub_nc_u32_e32 v16, 32, v15
	v_cmp_eq_u32_e32 vcc_lo, 0, v15
	v_cndmask_b32_e64 v5, v5, v13, s5
	v_cndmask_b32_e64 v13, v13, v6, s5
	;; [unrolled: 1-line block ×4, first 2 shown]
	v_alignbit_b32 v17, v5, v13, v16
	v_alignbit_b32 v12, v13, v6, v16
	;; [unrolled: 1-line block ×3, first 2 shown]
	v_cndmask_b32_e32 v5, v17, v5, vcc_lo
	v_cndmask_b32_e32 v11, v12, v13, vcc_lo
	;; [unrolled: 1-line block ×3, first 2 shown]
	v_bfe_u32 v12, v5, 29, 1
	v_alignbit_b32 v13, v5, v11, 30
	v_alignbit_b32 v11, v11, v6, 30
	;; [unrolled: 1-line block ×3, first 2 shown]
	v_sub_nc_u32_e32 v14, 0, v12
	v_xor_b32_e32 v13, v13, v14
	v_xor_b32_e32 v10, v11, v14
	;; [unrolled: 1-line block ×3, first 2 shown]
	v_lshrrev_b32_e32 v14, 29, v5
	v_lshrrev_b32_e32 v5, 30, v5
	v_ffbh_u32_e32 v15, v13
	v_min_u32_e32 v15, 32, v15
	v_sub_nc_u32_e32 v11, 31, v15
	v_lshlrev_b32_e32 v16, 23, v15
	v_alignbit_b32 v13, v13, v10, v11
	v_alignbit_b32 v6, v10, v6, v11
	v_lshlrev_b32_e32 v10, 31, v14
	v_alignbit_b32 v11, v13, v6, 9
	v_or_b32_e32 v14, 0.5, v10
	v_lshrrev_b32_e32 v13, 9, v13
	v_or_b32_e32 v10, 0x33000000, v10
	v_ffbh_u32_e32 v17, v11
	v_sub_nc_u32_e32 v14, v14, v16
	v_min_u32_e32 v16, 32, v17
	v_or_b32_e32 v13, v13, v14
	v_not_b32_e32 v14, v16
	v_mul_f32_e32 v17, 0x3fc90fda, v13
	v_add_lshl_u32 v15, v16, v15, 23
	v_alignbit_b32 v6, v11, v6, v14
	v_fma_f32 v11, 0x3fc90fda, v13, -v17
	v_sub_nc_u32_e32 v10, v10, v15
	v_lshrrev_b32_e32 v6, 9, v6
	v_fmamk_f32 v11, v13, 0x33a22168, v11
	v_or_b32_e32 v6, v10, v6
	v_fmac_f32_e32 v11, 0x3fc90fda, v6
	v_add_f32_e32 v10, v17, v11
	v_add_nc_u32_e32 v11, v12, v5
.LBB30_5:
	s_andn2_saveexec_b32 s4, s14
; %bb.6:
	v_mul_f32_e64 v5, 0x3f22f983, |v8|
	v_rndne_f32_e32 v5, v5
	v_fma_f32 v6, 0xbfc90fda, v5, |v8|
	v_cvt_i32_f32_e32 v11, v5
	v_fmamk_f32 v6, v5, 0xb3a22168, v6
	v_fmamk_f32 v10, v5, 0xa7c234c4, v6
; %bb.7:
	s_or_b32 exec_lo, exec_lo, s4
	v_and_b32_e32 v3, 0xffff0000, v3
                                        ; implicit-def: $vgpr14
                                        ; implicit-def: $vgpr13
	s_mov_b32 s5, exec_lo
	v_and_b32_e32 v5, 0x7fffffff, v3
	v_cmpx_ngt_f32_e64 0x48000000, |v3|
	s_xor_b32 s14, exec_lo, s5
	s_cbranch_execz .LBB30_9
; %bb.8:
	s_mov_b32 s4, 0x7fffff
	v_mov_b32_e32 v14, 0
	v_and_or_b32 v6, v5, s4, 0x800000
	v_lshrrev_b32_e32 v19, 23, v5
	v_mad_u64_u32 v[12:13], null, 0xfe5163ab, v6, 0
	v_add_nc_u32_e32 v20, 0xffffff88, v19
	v_cmp_lt_u32_e32 vcc_lo, 63, v20
	v_mad_u64_u32 v[15:16], null, 0x3c439041, v6, v[13:14]
	v_cndmask_b32_e64 v21, 0, 0xffffffc0, vcc_lo
	v_mov_b32_e32 v13, v16
	v_add_nc_u32_e32 v21, v21, v20
	v_mad_u64_u32 v[16:17], null, 0xdb629599, v6, v[13:14]
	v_cmp_lt_u32_e64 s4, 31, v21
	v_cndmask_b32_e64 v22, 0, 0xffffffe0, s4
	v_mov_b32_e32 v13, v17
	v_cndmask_b32_e32 v12, v16, v12, vcc_lo
	v_mad_u64_u32 v[17:18], null, 0xf534ddc0, v6, v[13:14]
	v_mov_b32_e32 v13, v18
	v_cndmask_b32_e32 v15, v17, v15, vcc_lo
	v_mad_u64_u32 v[18:19], null, 0xfc2757d1, v6, v[13:14]
	v_cndmask_b32_e64 v12, v15, v12, s4
	v_mov_b32_e32 v13, v19
	v_mad_u64_u32 v[19:20], null, 0x4e441529, v6, v[13:14]
	v_mov_b32_e32 v13, v20
	v_add_nc_u32_e32 v20, v22, v21
	v_cndmask_b32_e32 v21, v19, v17, vcc_lo
	v_mad_u64_u32 v[13:14], null, 0xa2f9836e, v6, v[13:14]
	v_cmp_lt_u32_e64 s5, 31, v20
	v_cndmask_b32_e64 v6, 0, 0xffffffe0, s5
	v_cndmask_b32_e32 v13, v13, v18, vcc_lo
	v_cndmask_b32_e32 v14, v14, v19, vcc_lo
	;; [unrolled: 1-line block ×3, first 2 shown]
	v_add_nc_u32_e32 v6, v6, v20
	v_cndmask_b32_e64 v17, v13, v21, s4
	v_cndmask_b32_e64 v13, v14, v13, s4
	;; [unrolled: 1-line block ×4, first 2 shown]
	v_sub_nc_u32_e32 v19, 32, v6
	v_cmp_eq_u32_e32 vcc_lo, 0, v6
	v_cndmask_b32_e64 v13, v13, v17, s5
	v_cndmask_b32_e64 v17, v17, v14, s5
	;; [unrolled: 1-line block ×4, first 2 shown]
	v_alignbit_b32 v20, v13, v17, v19
	v_alignbit_b32 v16, v17, v14, v19
	;; [unrolled: 1-line block ×3, first 2 shown]
	v_cndmask_b32_e32 v6, v20, v13, vcc_lo
	v_cndmask_b32_e32 v13, v16, v17, vcc_lo
	;; [unrolled: 1-line block ×3, first 2 shown]
	v_bfe_u32 v15, v6, 29, 1
	v_alignbit_b32 v16, v6, v13, 30
	v_alignbit_b32 v13, v13, v14, 30
	;; [unrolled: 1-line block ×3, first 2 shown]
	v_sub_nc_u32_e32 v17, 0, v15
	v_xor_b32_e32 v16, v16, v17
	v_xor_b32_e32 v13, v13, v17
	;; [unrolled: 1-line block ×3, first 2 shown]
	v_lshrrev_b32_e32 v17, 29, v6
	v_lshrrev_b32_e32 v6, 30, v6
	v_ffbh_u32_e32 v18, v16
	v_min_u32_e32 v18, 32, v18
	v_sub_nc_u32_e32 v14, 31, v18
	v_lshlrev_b32_e32 v19, 23, v18
	v_alignbit_b32 v16, v16, v13, v14
	v_alignbit_b32 v12, v13, v12, v14
	v_lshlrev_b32_e32 v13, 31, v17
	v_alignbit_b32 v14, v16, v12, 9
	v_or_b32_e32 v17, 0.5, v13
	v_lshrrev_b32_e32 v16, 9, v16
	v_or_b32_e32 v13, 0x33000000, v13
	v_ffbh_u32_e32 v20, v14
	v_sub_nc_u32_e32 v17, v17, v19
	v_min_u32_e32 v19, 32, v20
	v_or_b32_e32 v16, v16, v17
	v_not_b32_e32 v17, v19
	v_mul_f32_e32 v20, 0x3fc90fda, v16
	v_add_lshl_u32 v18, v19, v18, 23
	v_alignbit_b32 v12, v14, v12, v17
	v_fma_f32 v14, 0x3fc90fda, v16, -v20
	v_sub_nc_u32_e32 v13, v13, v18
	v_lshrrev_b32_e32 v12, 9, v12
	v_fmamk_f32 v14, v16, 0x33a22168, v14
	v_or_b32_e32 v12, v13, v12
	v_fmac_f32_e32 v14, 0x3fc90fda, v12
	v_add_f32_e32 v13, v20, v14
	v_add_nc_u32_e32 v14, v15, v6
.LBB30_9:
	s_andn2_saveexec_b32 s4, s14
; %bb.10:
	v_mul_f32_e64 v6, 0x3f22f983, |v3|
	v_rndne_f32_e32 v6, v6
	v_fma_f32 v12, 0xbfc90fda, v6, |v3|
	v_cvt_i32_f32_e32 v14, v6
	v_fmamk_f32 v12, v6, 0xb3a22168, v12
	v_fmamk_f32 v13, v6, 0xa7c234c4, v12
; %bb.11:
	s_or_b32 exec_lo, exec_lo, s4
	v_lshlrev_b32_e32 v6, 16, v4
                                        ; implicit-def: $vgpr17
                                        ; implicit-def: $vgpr16
	s_mov_b32 s5, exec_lo
	v_and_b32_e32 v12, 0x7fffffff, v6
	v_cmpx_ngt_f32_e64 0x48000000, |v6|
	s_xor_b32 s14, exec_lo, s5
	s_cbranch_execz .LBB30_13
; %bb.12:
	s_mov_b32 s4, 0x7fffff
	v_mov_b32_e32 v17, 0
	v_and_or_b32 v24, v12, s4, 0x800000
	v_lshrrev_b32_e32 v22, 23, v12
	v_mad_u64_u32 v[15:16], null, 0xfe5163ab, v24, 0
	v_add_nc_u32_e32 v23, 0xffffff88, v22
	v_cmp_lt_u32_e32 vcc_lo, 63, v23
	v_mad_u64_u32 v[18:19], null, 0x3c439041, v24, v[16:17]
	v_cndmask_b32_e64 v25, 0, 0xffffffc0, vcc_lo
	v_mov_b32_e32 v16, v19
	v_add_nc_u32_e32 v25, v25, v23
	v_mad_u64_u32 v[19:20], null, 0xdb629599, v24, v[16:17]
	v_cmp_lt_u32_e64 s4, 31, v25
	v_cndmask_b32_e64 v26, 0, 0xffffffe0, s4
	v_mov_b32_e32 v16, v20
	v_cndmask_b32_e32 v15, v19, v15, vcc_lo
	v_mad_u64_u32 v[20:21], null, 0xf534ddc0, v24, v[16:17]
	v_mov_b32_e32 v16, v21
	v_cndmask_b32_e32 v18, v20, v18, vcc_lo
	v_mad_u64_u32 v[21:22], null, 0xfc2757d1, v24, v[16:17]
	v_cndmask_b32_e64 v15, v18, v15, s4
	v_mov_b32_e32 v16, v22
	v_mad_u64_u32 v[22:23], null, 0x4e441529, v24, v[16:17]
	v_mov_b32_e32 v16, v23
	v_add_nc_u32_e32 v23, v26, v25
	v_cndmask_b32_e32 v25, v22, v20, vcc_lo
	v_mad_u64_u32 v[16:17], null, 0xa2f9836e, v24, v[16:17]
	v_cmp_lt_u32_e64 s5, 31, v23
	v_cndmask_b32_e64 v24, 0, 0xffffffe0, s5
	v_cndmask_b32_e32 v16, v16, v21, vcc_lo
	v_cndmask_b32_e32 v17, v17, v22, vcc_lo
	v_cndmask_b32_e32 v21, v21, v19, vcc_lo
	v_add_nc_u32_e32 v22, v24, v23
	v_cndmask_b32_e64 v20, v16, v25, s4
	v_cndmask_b32_e64 v16, v17, v16, s4
	v_cndmask_b32_e64 v17, v25, v21, s4
	v_cndmask_b32_e64 v21, v21, v18, s4
	v_sub_nc_u32_e32 v23, 32, v22
	v_cmp_eq_u32_e32 vcc_lo, 0, v22
	v_cndmask_b32_e64 v16, v16, v20, s5
	v_cndmask_b32_e64 v20, v20, v17, s5
	;; [unrolled: 1-line block ×4, first 2 shown]
	v_alignbit_b32 v24, v16, v20, v23
	v_alignbit_b32 v19, v20, v17, v23
	;; [unrolled: 1-line block ×3, first 2 shown]
	v_cndmask_b32_e32 v16, v24, v16, vcc_lo
	v_cndmask_b32_e32 v18, v19, v20, vcc_lo
	v_cndmask_b32_e32 v17, v22, v17, vcc_lo
	v_bfe_u32 v19, v16, 29, 1
	v_alignbit_b32 v20, v16, v18, 30
	v_alignbit_b32 v18, v18, v17, 30
	;; [unrolled: 1-line block ×3, first 2 shown]
	v_sub_nc_u32_e32 v21, 0, v19
	v_xor_b32_e32 v20, v20, v21
	v_xor_b32_e32 v17, v18, v21
	;; [unrolled: 1-line block ×3, first 2 shown]
	v_lshrrev_b32_e32 v21, 29, v16
	v_ffbh_u32_e32 v22, v20
	v_min_u32_e32 v22, 32, v22
	v_sub_nc_u32_e32 v18, 31, v22
	v_lshlrev_b32_e32 v23, 23, v22
	v_alignbit_b32 v20, v20, v17, v18
	v_alignbit_b32 v15, v17, v15, v18
	v_lshlrev_b32_e32 v17, 31, v21
	v_alignbit_b32 v18, v20, v15, 9
	v_or_b32_e32 v21, 0.5, v17
	v_lshrrev_b32_e32 v20, 9, v20
	v_or_b32_e32 v17, 0x33000000, v17
	v_ffbh_u32_e32 v24, v18
	v_sub_nc_u32_e32 v21, v21, v23
	v_min_u32_e32 v23, 32, v24
	v_or_b32_e32 v20, v20, v21
	v_not_b32_e32 v21, v23
	v_mul_f32_e32 v24, 0x3fc90fda, v20
	v_add_lshl_u32 v22, v23, v22, 23
	v_alignbit_b32 v15, v18, v15, v21
	v_fma_f32 v18, 0x3fc90fda, v20, -v24
	v_sub_nc_u32_e32 v17, v17, v22
	v_lshrrev_b32_e32 v15, 9, v15
	v_fmamk_f32 v18, v20, 0x33a22168, v18
	v_or_b32_e32 v15, v17, v15
	v_fmac_f32_e32 v18, 0x3fc90fda, v15
	v_lshrrev_b32_e32 v15, 30, v16
	v_add_f32_e32 v16, v24, v18
	v_add_nc_u32_e32 v17, v19, v15
.LBB30_13:
	s_andn2_saveexec_b32 s4, s14
; %bb.14:
	v_mul_f32_e64 v15, 0x3f22f983, |v6|
	v_rndne_f32_e32 v15, v15
	v_fma_f32 v16, 0xbfc90fda, v15, |v6|
	v_cvt_i32_f32_e32 v17, v15
	v_fmamk_f32 v16, v15, 0xb3a22168, v16
	v_fmamk_f32 v16, v15, 0xa7c234c4, v16
; %bb.15:
	s_or_b32 exec_lo, exec_lo, s4
	v_and_b32_e32 v4, 0xffff0000, v4
                                        ; implicit-def: $vgpr19
                                        ; implicit-def: $vgpr18
	s_mov_b32 s5, exec_lo
	v_and_b32_e32 v15, 0x7fffffff, v4
	v_cmpx_ngt_f32_e64 0x48000000, |v4|
	s_xor_b32 s14, exec_lo, s5
	s_cbranch_execz .LBB30_17
; %bb.16:
	s_mov_b32 s4, 0x7fffff
	v_mov_b32_e32 v20, 0
	v_and_or_b32 v27, v15, s4, 0x800000
	v_lshrrev_b32_e32 v25, 23, v15
	v_mad_u64_u32 v[18:19], null, 0xfe5163ab, v27, 0
	v_add_nc_u32_e32 v26, 0xffffff88, v25
	v_cmp_lt_u32_e32 vcc_lo, 63, v26
	v_mad_u64_u32 v[21:22], null, 0x3c439041, v27, v[19:20]
	v_cndmask_b32_e64 v28, 0, 0xffffffc0, vcc_lo
	v_mov_b32_e32 v19, v22
	v_add_nc_u32_e32 v28, v28, v26
	v_mad_u64_u32 v[22:23], null, 0xdb629599, v27, v[19:20]
	v_cmp_lt_u32_e64 s4, 31, v28
	v_cndmask_b32_e64 v29, 0, 0xffffffe0, s4
	v_mov_b32_e32 v19, v23
	v_cndmask_b32_e32 v18, v22, v18, vcc_lo
	v_mad_u64_u32 v[23:24], null, 0xf534ddc0, v27, v[19:20]
	v_mov_b32_e32 v19, v24
	v_cndmask_b32_e32 v21, v23, v21, vcc_lo
	v_mad_u64_u32 v[24:25], null, 0xfc2757d1, v27, v[19:20]
	v_cndmask_b32_e64 v18, v21, v18, s4
	v_mov_b32_e32 v19, v25
	v_mad_u64_u32 v[25:26], null, 0x4e441529, v27, v[19:20]
	v_mov_b32_e32 v19, v26
	v_add_nc_u32_e32 v26, v29, v28
	v_cndmask_b32_e32 v28, v25, v23, vcc_lo
	v_mad_u64_u32 v[19:20], null, 0xa2f9836e, v27, v[19:20]
	v_cmp_lt_u32_e64 s5, 31, v26
	v_cndmask_b32_e64 v27, 0, 0xffffffe0, s5
	v_cndmask_b32_e32 v19, v19, v24, vcc_lo
	v_cndmask_b32_e32 v20, v20, v25, vcc_lo
	;; [unrolled: 1-line block ×3, first 2 shown]
	v_add_nc_u32_e32 v25, v27, v26
	v_cndmask_b32_e64 v23, v19, v28, s4
	v_cndmask_b32_e64 v19, v20, v19, s4
	v_cndmask_b32_e64 v20, v28, v24, s4
	v_cndmask_b32_e64 v24, v24, v21, s4
	v_sub_nc_u32_e32 v26, 32, v25
	v_cmp_eq_u32_e32 vcc_lo, 0, v25
	v_cndmask_b32_e64 v19, v19, v23, s5
	v_cndmask_b32_e64 v23, v23, v20, s5
	;; [unrolled: 1-line block ×4, first 2 shown]
	v_alignbit_b32 v27, v19, v23, v26
	v_alignbit_b32 v22, v23, v20, v26
	;; [unrolled: 1-line block ×3, first 2 shown]
	v_cndmask_b32_e32 v19, v27, v19, vcc_lo
	v_cndmask_b32_e32 v21, v22, v23, vcc_lo
	;; [unrolled: 1-line block ×3, first 2 shown]
	v_bfe_u32 v22, v19, 29, 1
	v_alignbit_b32 v23, v19, v21, 30
	v_alignbit_b32 v21, v21, v20, 30
	;; [unrolled: 1-line block ×3, first 2 shown]
	v_sub_nc_u32_e32 v24, 0, v22
	v_xor_b32_e32 v23, v23, v24
	v_xor_b32_e32 v20, v21, v24
	;; [unrolled: 1-line block ×3, first 2 shown]
	v_lshrrev_b32_e32 v24, 29, v19
	v_lshrrev_b32_e32 v19, 30, v19
	v_ffbh_u32_e32 v25, v23
	v_add_nc_u32_e32 v19, v22, v19
	v_min_u32_e32 v25, 32, v25
	v_sub_nc_u32_e32 v21, 31, v25
	v_lshlrev_b32_e32 v26, 23, v25
	v_alignbit_b32 v23, v23, v20, v21
	v_alignbit_b32 v18, v20, v18, v21
	v_lshlrev_b32_e32 v20, 31, v24
	v_alignbit_b32 v21, v23, v18, 9
	v_or_b32_e32 v24, 0.5, v20
	v_lshrrev_b32_e32 v23, 9, v23
	v_or_b32_e32 v20, 0x33000000, v20
	v_ffbh_u32_e32 v27, v21
	v_sub_nc_u32_e32 v24, v24, v26
	v_min_u32_e32 v26, 32, v27
	v_or_b32_e32 v23, v23, v24
	v_not_b32_e32 v24, v26
	v_mul_f32_e32 v27, 0x3fc90fda, v23
	v_add_lshl_u32 v25, v26, v25, 23
	v_alignbit_b32 v18, v21, v18, v24
	v_fma_f32 v21, 0x3fc90fda, v23, -v27
	v_sub_nc_u32_e32 v20, v20, v25
	v_lshrrev_b32_e32 v18, 9, v18
	v_fmamk_f32 v21, v23, 0x33a22168, v21
	v_or_b32_e32 v18, v20, v18
	v_fmac_f32_e32 v21, 0x3fc90fda, v18
	v_add_f32_e32 v18, v27, v21
.LBB30_17:
	s_andn2_saveexec_b32 s4, s14
; %bb.18:
	v_mul_f32_e64 v18, 0x3f22f983, |v4|
	v_rndne_f32_e32 v19, v18
	v_fma_f32 v18, 0xbfc90fda, v19, |v4|
	v_fmamk_f32 v18, v19, 0xb3a22168, v18
	v_fmamk_f32 v18, v19, 0xa7c234c4, v18
	v_cvt_i32_f32_e32 v19, v19
; %bb.19:
	s_or_b32 exec_lo, exec_lo, s4
	s_waitcnt vmcnt(0)
	v_lshlrev_b32_e32 v20, 16, v1
                                        ; implicit-def: $vgpr24
                                        ; implicit-def: $vgpr22
	s_mov_b32 s5, exec_lo
	v_and_b32_e32 v21, 0x7fffffff, v20
	v_cmpx_ngt_f32_e64 0x48000000, |v20|
	s_xor_b32 s14, exec_lo, s5
	s_cbranch_execz .LBB30_21
; %bb.20:
	s_mov_b32 s4, 0x7fffff
	v_mov_b32_e32 v24, 0
	v_and_or_b32 v31, v21, s4, 0x800000
	v_lshrrev_b32_e32 v29, 23, v21
	v_mad_u64_u32 v[22:23], null, 0xfe5163ab, v31, 0
	v_add_nc_u32_e32 v30, 0xffffff88, v29
	v_cmp_lt_u32_e32 vcc_lo, 63, v30
	v_mad_u64_u32 v[25:26], null, 0x3c439041, v31, v[23:24]
	v_cndmask_b32_e64 v32, 0, 0xffffffc0, vcc_lo
	v_mov_b32_e32 v23, v26
	v_add_nc_u32_e32 v32, v32, v30
	v_mad_u64_u32 v[26:27], null, 0xdb629599, v31, v[23:24]
	v_cmp_lt_u32_e64 s4, 31, v32
	v_cndmask_b32_e64 v33, 0, 0xffffffe0, s4
	v_mov_b32_e32 v23, v27
	v_cndmask_b32_e32 v22, v26, v22, vcc_lo
	v_mad_u64_u32 v[27:28], null, 0xf534ddc0, v31, v[23:24]
	v_mov_b32_e32 v23, v28
	v_cndmask_b32_e32 v25, v27, v25, vcc_lo
	v_mad_u64_u32 v[28:29], null, 0xfc2757d1, v31, v[23:24]
	v_cndmask_b32_e64 v22, v25, v22, s4
	v_mov_b32_e32 v23, v29
	v_mad_u64_u32 v[29:30], null, 0x4e441529, v31, v[23:24]
	v_mov_b32_e32 v23, v30
	v_add_nc_u32_e32 v30, v33, v32
	v_cndmask_b32_e32 v32, v29, v27, vcc_lo
	v_mad_u64_u32 v[23:24], null, 0xa2f9836e, v31, v[23:24]
	v_cmp_lt_u32_e64 s5, 31, v30
	v_cndmask_b32_e64 v31, 0, 0xffffffe0, s5
	v_cndmask_b32_e32 v23, v23, v28, vcc_lo
	v_cndmask_b32_e32 v24, v24, v29, vcc_lo
	;; [unrolled: 1-line block ×3, first 2 shown]
	v_add_nc_u32_e32 v29, v31, v30
	v_cndmask_b32_e64 v27, v23, v32, s4
	v_cndmask_b32_e64 v23, v24, v23, s4
	;; [unrolled: 1-line block ×4, first 2 shown]
	v_sub_nc_u32_e32 v30, 32, v29
	v_cmp_eq_u32_e32 vcc_lo, 0, v29
	v_cndmask_b32_e64 v23, v23, v27, s5
	v_cndmask_b32_e64 v27, v27, v24, s5
	;; [unrolled: 1-line block ×4, first 2 shown]
	v_alignbit_b32 v31, v23, v27, v30
	v_alignbit_b32 v26, v27, v24, v30
	;; [unrolled: 1-line block ×3, first 2 shown]
	v_cndmask_b32_e32 v23, v31, v23, vcc_lo
	v_cndmask_b32_e32 v25, v26, v27, vcc_lo
	;; [unrolled: 1-line block ×3, first 2 shown]
	v_bfe_u32 v26, v23, 29, 1
	v_alignbit_b32 v27, v23, v25, 30
	v_alignbit_b32 v25, v25, v24, 30
	;; [unrolled: 1-line block ×3, first 2 shown]
	v_sub_nc_u32_e32 v28, 0, v26
	v_xor_b32_e32 v27, v27, v28
	v_xor_b32_e32 v24, v25, v28
	;; [unrolled: 1-line block ×3, first 2 shown]
	v_lshrrev_b32_e32 v28, 29, v23
	v_lshrrev_b32_e32 v23, 30, v23
	v_ffbh_u32_e32 v29, v27
	v_min_u32_e32 v29, 32, v29
	v_sub_nc_u32_e32 v25, 31, v29
	v_lshlrev_b32_e32 v30, 23, v29
	v_alignbit_b32 v27, v27, v24, v25
	v_alignbit_b32 v22, v24, v22, v25
	v_lshlrev_b32_e32 v24, 31, v28
	v_alignbit_b32 v25, v27, v22, 9
	v_or_b32_e32 v28, 0.5, v24
	v_lshrrev_b32_e32 v27, 9, v27
	v_or_b32_e32 v24, 0x33000000, v24
	v_ffbh_u32_e32 v31, v25
	v_sub_nc_u32_e32 v28, v28, v30
	v_min_u32_e32 v30, 32, v31
	v_or_b32_e32 v27, v27, v28
	v_not_b32_e32 v28, v30
	v_mul_f32_e32 v31, 0x3fc90fda, v27
	v_add_lshl_u32 v29, v30, v29, 23
	v_alignbit_b32 v22, v25, v22, v28
	v_fma_f32 v25, 0x3fc90fda, v27, -v31
	v_sub_nc_u32_e32 v24, v24, v29
	v_lshrrev_b32_e32 v22, 9, v22
	v_fmamk_f32 v25, v27, 0x33a22168, v25
	v_or_b32_e32 v22, v24, v22
	v_add_nc_u32_e32 v24, v26, v23
	v_fmac_f32_e32 v25, 0x3fc90fda, v22
	v_add_f32_e32 v22, v31, v25
.LBB30_21:
	s_andn2_saveexec_b32 s4, s14
; %bb.22:
	v_mul_f32_e64 v22, 0x3f22f983, |v20|
	v_rndne_f32_e32 v23, v22
	v_fma_f32 v22, 0xbfc90fda, v23, |v20|
	v_cvt_i32_f32_e32 v24, v23
	v_fmamk_f32 v22, v23, 0xb3a22168, v22
	v_fmamk_f32 v22, v23, 0xa7c234c4, v22
; %bb.23:
	s_or_b32 exec_lo, exec_lo, s4
	v_and_b32_e32 v1, 0xffff0000, v1
                                        ; implicit-def: $vgpr29
                                        ; implicit-def: $vgpr27
	s_mov_b32 s5, exec_lo
	v_and_b32_e32 v23, 0x7fffffff, v1
	v_cmpx_ngt_f32_e64 0x48000000, |v1|
	s_xor_b32 s14, exec_lo, s5
	s_cbranch_execz .LBB30_25
; %bb.24:
	s_mov_b32 s4, 0x7fffff
	v_mov_b32_e32 v27, 0
	v_and_or_b32 v34, v23, s4, 0x800000
	v_lshrrev_b32_e32 v32, 23, v23
	v_mad_u64_u32 v[25:26], null, 0xfe5163ab, v34, 0
	v_add_nc_u32_e32 v33, 0xffffff88, v32
	v_cmp_lt_u32_e32 vcc_lo, 63, v33
	v_mad_u64_u32 v[28:29], null, 0x3c439041, v34, v[26:27]
	v_cndmask_b32_e64 v35, 0, 0xffffffc0, vcc_lo
	v_mov_b32_e32 v26, v29
	v_add_nc_u32_e32 v35, v35, v33
	v_mad_u64_u32 v[29:30], null, 0xdb629599, v34, v[26:27]
	v_cmp_lt_u32_e64 s4, 31, v35
	v_cndmask_b32_e64 v36, 0, 0xffffffe0, s4
	v_mov_b32_e32 v26, v30
	v_cndmask_b32_e32 v25, v29, v25, vcc_lo
	v_mad_u64_u32 v[30:31], null, 0xf534ddc0, v34, v[26:27]
	v_mov_b32_e32 v26, v31
	v_cndmask_b32_e32 v28, v30, v28, vcc_lo
	v_mad_u64_u32 v[31:32], null, 0xfc2757d1, v34, v[26:27]
	v_cndmask_b32_e64 v25, v28, v25, s4
	v_mov_b32_e32 v26, v32
	v_mad_u64_u32 v[32:33], null, 0x4e441529, v34, v[26:27]
	v_mov_b32_e32 v26, v33
	v_add_nc_u32_e32 v33, v36, v35
	v_cndmask_b32_e32 v35, v32, v30, vcc_lo
	v_mad_u64_u32 v[26:27], null, 0xa2f9836e, v34, v[26:27]
	v_cmp_lt_u32_e64 s5, 31, v33
	v_cndmask_b32_e64 v34, 0, 0xffffffe0, s5
	v_cndmask_b32_e32 v26, v26, v31, vcc_lo
	v_cndmask_b32_e32 v27, v27, v32, vcc_lo
	;; [unrolled: 1-line block ×3, first 2 shown]
	v_add_nc_u32_e32 v32, v34, v33
	v_cndmask_b32_e64 v30, v26, v35, s4
	v_cndmask_b32_e64 v26, v27, v26, s4
	;; [unrolled: 1-line block ×4, first 2 shown]
	v_sub_nc_u32_e32 v33, 32, v32
	v_cmp_eq_u32_e32 vcc_lo, 0, v32
	v_cndmask_b32_e64 v26, v26, v30, s5
	v_cndmask_b32_e64 v30, v30, v27, s5
	;; [unrolled: 1-line block ×4, first 2 shown]
	v_alignbit_b32 v34, v26, v30, v33
	v_alignbit_b32 v29, v30, v27, v33
	v_alignbit_b32 v32, v27, v25, v33
	v_cndmask_b32_e32 v26, v34, v26, vcc_lo
	v_cndmask_b32_e32 v28, v29, v30, vcc_lo
	;; [unrolled: 1-line block ×3, first 2 shown]
	v_bfe_u32 v29, v26, 29, 1
	v_alignbit_b32 v30, v26, v28, 30
	v_alignbit_b32 v28, v28, v27, 30
	;; [unrolled: 1-line block ×3, first 2 shown]
	v_sub_nc_u32_e32 v31, 0, v29
	v_xor_b32_e32 v30, v30, v31
	v_xor_b32_e32 v27, v28, v31
	;; [unrolled: 1-line block ×3, first 2 shown]
	v_lshrrev_b32_e32 v31, 29, v26
	v_ffbh_u32_e32 v32, v30
	v_min_u32_e32 v32, 32, v32
	v_sub_nc_u32_e32 v28, 31, v32
	v_lshlrev_b32_e32 v33, 23, v32
	v_alignbit_b32 v30, v30, v27, v28
	v_alignbit_b32 v25, v27, v25, v28
	v_lshlrev_b32_e32 v27, 31, v31
	v_alignbit_b32 v28, v30, v25, 9
	v_or_b32_e32 v31, 0.5, v27
	v_lshrrev_b32_e32 v30, 9, v30
	v_or_b32_e32 v27, 0x33000000, v27
	v_ffbh_u32_e32 v34, v28
	v_sub_nc_u32_e32 v31, v31, v33
	v_min_u32_e32 v33, 32, v34
	v_or_b32_e32 v30, v30, v31
	v_not_b32_e32 v31, v33
	v_mul_f32_e32 v34, 0x3fc90fda, v30
	v_add_lshl_u32 v32, v33, v32, 23
	v_alignbit_b32 v25, v28, v25, v31
	v_fma_f32 v28, 0x3fc90fda, v30, -v34
	v_sub_nc_u32_e32 v27, v27, v32
	v_lshrrev_b32_e32 v25, 9, v25
	v_fmamk_f32 v28, v30, 0x33a22168, v28
	v_or_b32_e32 v25, v27, v25
	v_fmac_f32_e32 v28, 0x3fc90fda, v25
	v_lshrrev_b32_e32 v25, 30, v26
	v_add_f32_e32 v27, v34, v28
	v_add_nc_u32_e32 v29, v29, v25
.LBB30_25:
	s_andn2_saveexec_b32 s4, s14
; %bb.26:
	v_mul_f32_e64 v25, 0x3f22f983, |v1|
	v_rndne_f32_e32 v25, v25
	v_fma_f32 v26, 0xbfc90fda, v25, |v1|
	v_cvt_i32_f32_e32 v29, v25
	v_fmamk_f32 v26, v25, 0xb3a22168, v26
	v_fmamk_f32 v27, v25, 0xa7c234c4, v26
; %bb.27:
	s_or_b32 exec_lo, exec_lo, s4
	v_lshlrev_b32_e32 v25, 16, v2
                                        ; implicit-def: $vgpr33
                                        ; implicit-def: $vgpr30
	s_mov_b32 s5, exec_lo
	v_and_b32_e32 v26, 0x7fffffff, v25
	v_cmpx_ngt_f32_e64 0x48000000, |v25|
	s_xor_b32 s14, exec_lo, s5
	s_cbranch_execz .LBB30_29
; %bb.28:
	s_mov_b32 s4, 0x7fffff
	v_mov_b32_e32 v32, 0
	v_and_or_b32 v28, v26, s4, 0x800000
	v_lshrrev_b32_e32 v37, 23, v26
	v_mad_u64_u32 v[30:31], null, 0xfe5163ab, v28, 0
	v_add_nc_u32_e32 v38, 0xffffff88, v37
	v_cmp_lt_u32_e32 vcc_lo, 63, v38
	v_mad_u64_u32 v[33:34], null, 0x3c439041, v28, v[31:32]
	v_cndmask_b32_e64 v39, 0, 0xffffffc0, vcc_lo
	v_mov_b32_e32 v31, v34
	v_add_nc_u32_e32 v39, v39, v38
	v_mad_u64_u32 v[34:35], null, 0xdb629599, v28, v[31:32]
	v_cmp_lt_u32_e64 s4, 31, v39
	v_cndmask_b32_e64 v40, 0, 0xffffffe0, s4
	v_mov_b32_e32 v31, v35
	v_cndmask_b32_e32 v30, v34, v30, vcc_lo
	v_mad_u64_u32 v[35:36], null, 0xf534ddc0, v28, v[31:32]
	v_mov_b32_e32 v31, v36
	v_cndmask_b32_e32 v33, v35, v33, vcc_lo
	v_mad_u64_u32 v[36:37], null, 0xfc2757d1, v28, v[31:32]
	v_cndmask_b32_e64 v30, v33, v30, s4
	v_mov_b32_e32 v31, v37
	v_mad_u64_u32 v[37:38], null, 0x4e441529, v28, v[31:32]
	v_mov_b32_e32 v31, v38
	v_add_nc_u32_e32 v38, v40, v39
	v_cndmask_b32_e32 v39, v37, v35, vcc_lo
	v_mad_u64_u32 v[31:32], null, 0xa2f9836e, v28, v[31:32]
	v_cmp_lt_u32_e64 s5, 31, v38
	v_cndmask_b32_e64 v28, 0, 0xffffffe0, s5
	v_cndmask_b32_e32 v31, v31, v36, vcc_lo
	v_cndmask_b32_e32 v32, v32, v37, vcc_lo
	;; [unrolled: 1-line block ×3, first 2 shown]
	v_add_nc_u32_e32 v28, v28, v38
	v_cndmask_b32_e64 v35, v31, v39, s4
	v_cndmask_b32_e64 v31, v32, v31, s4
	;; [unrolled: 1-line block ×4, first 2 shown]
	v_sub_nc_u32_e32 v37, 32, v28
	v_cmp_eq_u32_e32 vcc_lo, 0, v28
	v_cndmask_b32_e64 v31, v31, v35, s5
	v_cndmask_b32_e64 v35, v35, v32, s5
	;; [unrolled: 1-line block ×4, first 2 shown]
	v_alignbit_b32 v38, v31, v35, v37
	v_alignbit_b32 v34, v35, v32, v37
	;; [unrolled: 1-line block ×3, first 2 shown]
	v_cndmask_b32_e32 v28, v38, v31, vcc_lo
	v_cndmask_b32_e32 v31, v34, v35, vcc_lo
	;; [unrolled: 1-line block ×3, first 2 shown]
	v_bfe_u32 v33, v28, 29, 1
	v_alignbit_b32 v34, v28, v31, 30
	v_alignbit_b32 v31, v31, v32, 30
	;; [unrolled: 1-line block ×3, first 2 shown]
	v_sub_nc_u32_e32 v35, 0, v33
	v_xor_b32_e32 v34, v34, v35
	v_xor_b32_e32 v31, v31, v35
	;; [unrolled: 1-line block ×3, first 2 shown]
	v_lshrrev_b32_e32 v35, 29, v28
	v_lshrrev_b32_e32 v28, 30, v28
	v_ffbh_u32_e32 v36, v34
	v_add_nc_u32_e32 v33, v33, v28
	v_min_u32_e32 v36, 32, v36
	v_sub_nc_u32_e32 v32, 31, v36
	v_lshlrev_b32_e32 v37, 23, v36
	v_alignbit_b32 v34, v34, v31, v32
	v_alignbit_b32 v30, v31, v30, v32
	v_lshlrev_b32_e32 v31, 31, v35
	v_alignbit_b32 v32, v34, v30, 9
	v_or_b32_e32 v35, 0.5, v31
	v_lshrrev_b32_e32 v34, 9, v34
	v_or_b32_e32 v31, 0x33000000, v31
	v_ffbh_u32_e32 v38, v32
	v_sub_nc_u32_e32 v35, v35, v37
	v_min_u32_e32 v37, 32, v38
	v_or_b32_e32 v34, v34, v35
	v_not_b32_e32 v35, v37
	v_mul_f32_e32 v38, 0x3fc90fda, v34
	v_add_lshl_u32 v36, v37, v36, 23
	v_alignbit_b32 v30, v32, v30, v35
	v_fma_f32 v32, 0x3fc90fda, v34, -v38
	v_sub_nc_u32_e32 v31, v31, v36
	v_lshrrev_b32_e32 v30, 9, v30
	v_fmamk_f32 v32, v34, 0x33a22168, v32
	v_or_b32_e32 v30, v31, v30
	v_fmac_f32_e32 v32, 0x3fc90fda, v30
	v_add_f32_e32 v30, v38, v32
.LBB30_29:
	s_andn2_saveexec_b32 s4, s14
; %bb.30:
	v_mul_f32_e64 v28, 0x3f22f983, |v25|
	v_rndne_f32_e32 v28, v28
	v_fma_f32 v30, 0xbfc90fda, v28, |v25|
	v_cvt_i32_f32_e32 v33, v28
	v_fmamk_f32 v30, v28, 0xb3a22168, v30
	v_fmamk_f32 v30, v28, 0xa7c234c4, v30
; %bb.31:
	s_or_b32 exec_lo, exec_lo, s4
	v_and_b32_e32 v2, 0xffff0000, v2
                                        ; implicit-def: $vgpr32
                                        ; implicit-def: $vgpr31
	s_mov_b32 s5, exec_lo
	v_and_b32_e32 v28, 0x7fffffff, v2
	v_cmpx_ngt_f32_e64 0x48000000, |v2|
	s_xor_b32 s14, exec_lo, s5
	s_cbranch_execz .LBB30_33
; %bb.32:
	s_mov_b32 s4, 0x7fffff
	v_mov_b32_e32 v35, 0
	v_and_or_b32 v42, v28, s4, 0x800000
	v_mad_u64_u32 v[31:32], null, 0xfe5163ab, v42, 0
	v_mov_b32_e32 v34, v32
	v_lshrrev_b32_e32 v32, 23, v28
	v_mad_u64_u32 v[36:37], null, 0x3c439041, v42, v[34:35]
	v_add_nc_u32_e32 v32, 0xffffff88, v32
	v_cmp_lt_u32_e32 vcc_lo, 63, v32
	v_mov_b32_e32 v34, v37
	v_cndmask_b32_e64 v41, 0, 0xffffffc0, vcc_lo
	v_mad_u64_u32 v[37:38], null, 0xdb629599, v42, v[34:35]
	v_add_nc_u32_e32 v32, v41, v32
	v_mov_b32_e32 v34, v38
	v_cmp_lt_u32_e64 s4, 31, v32
	v_cndmask_b32_e32 v31, v37, v31, vcc_lo
	v_mad_u64_u32 v[38:39], null, 0xf534ddc0, v42, v[34:35]
	v_cndmask_b32_e64 v43, 0, 0xffffffe0, s4
	v_add_nc_u32_e32 v32, v43, v32
	v_mov_b32_e32 v34, v39
	v_cndmask_b32_e32 v36, v38, v36, vcc_lo
	v_cmp_lt_u32_e64 s5, 31, v32
	v_mad_u64_u32 v[39:40], null, 0xfc2757d1, v42, v[34:35]
	v_cndmask_b32_e64 v31, v36, v31, s4
	v_mov_b32_e32 v34, v40
	v_mad_u64_u32 v[40:41], null, 0x4e441529, v42, v[34:35]
	v_mov_b32_e32 v34, v41
	v_cndmask_b32_e64 v41, 0, 0xffffffe0, s5
	v_mad_u64_u32 v[34:35], null, 0xa2f9836e, v42, v[34:35]
	v_cndmask_b32_e32 v42, v40, v38, vcc_lo
	v_add_nc_u32_e32 v32, v41, v32
	v_cndmask_b32_e32 v34, v34, v39, vcc_lo
	v_cndmask_b32_e32 v35, v35, v40, vcc_lo
	;; [unrolled: 1-line block ×3, first 2 shown]
	v_sub_nc_u32_e32 v40, 32, v32
	v_cmp_eq_u32_e32 vcc_lo, 0, v32
	v_cndmask_b32_e64 v38, v34, v42, s4
	v_cndmask_b32_e64 v34, v35, v34, s4
	;; [unrolled: 1-line block ×8, first 2 shown]
	v_alignbit_b32 v41, v34, v38, v40
	v_alignbit_b32 v37, v38, v35, v40
	;; [unrolled: 1-line block ×3, first 2 shown]
	v_cndmask_b32_e32 v32, v41, v34, vcc_lo
	v_cndmask_b32_e32 v34, v37, v38, vcc_lo
	;; [unrolled: 1-line block ×3, first 2 shown]
	v_bfe_u32 v36, v32, 29, 1
	v_alignbit_b32 v37, v32, v34, 30
	v_alignbit_b32 v34, v34, v35, 30
	;; [unrolled: 1-line block ×3, first 2 shown]
	v_sub_nc_u32_e32 v38, 0, v36
	v_xor_b32_e32 v37, v37, v38
	v_xor_b32_e32 v34, v34, v38
	;; [unrolled: 1-line block ×3, first 2 shown]
	v_lshrrev_b32_e32 v38, 29, v32
	v_lshrrev_b32_e32 v32, 30, v32
	v_ffbh_u32_e32 v39, v37
	v_add_nc_u32_e32 v32, v36, v32
	v_min_u32_e32 v39, 32, v39
	v_sub_nc_u32_e32 v35, 31, v39
	v_lshlrev_b32_e32 v40, 23, v39
	v_alignbit_b32 v37, v37, v34, v35
	v_alignbit_b32 v31, v34, v31, v35
	v_lshlrev_b32_e32 v34, 31, v38
	v_alignbit_b32 v35, v37, v31, 9
	v_or_b32_e32 v38, 0.5, v34
	v_lshrrev_b32_e32 v37, 9, v37
	v_or_b32_e32 v34, 0x33000000, v34
	v_ffbh_u32_e32 v41, v35
	v_sub_nc_u32_e32 v38, v38, v40
	v_min_u32_e32 v40, 32, v41
	v_or_b32_e32 v37, v37, v38
	v_not_b32_e32 v38, v40
	v_mul_f32_e32 v41, 0x3fc90fda, v37
	v_add_lshl_u32 v39, v40, v39, 23
	v_alignbit_b32 v31, v35, v31, v38
	v_fma_f32 v35, 0x3fc90fda, v37, -v41
	v_sub_nc_u32_e32 v34, v34, v39
	v_lshrrev_b32_e32 v31, 9, v31
	v_fmamk_f32 v35, v37, 0x33a22168, v35
	v_or_b32_e32 v31, v34, v31
	v_fmac_f32_e32 v35, 0x3fc90fda, v31
	v_add_f32_e32 v31, v41, v35
.LBB30_33:
	s_andn2_saveexec_b32 s4, s14
; %bb.34:
	v_mul_f32_e64 v31, 0x3f22f983, |v2|
	v_rndne_f32_e32 v32, v31
	v_fma_f32 v31, 0xbfc90fda, v32, |v2|
	v_fmamk_f32 v31, v32, 0xb3a22168, v31
	v_fmamk_f32 v31, v32, 0xa7c234c4, v31
	v_cvt_i32_f32_e32 v32, v32
; %bb.35:
	s_or_b32 exec_lo, exec_lo, s4
	v_mul_f32_e32 v34, v22, v22
	s_mov_b32 s4, 0xb94c1982
	s_mov_b32 s5, 0x37d75334
	v_mul_f32_e32 v38, v27, v27
	v_lshlrev_b32_e32 v35, 30, v24
	v_fmaak_f32 v36, s4, v34, 0x3c0881c4
	v_fmaak_f32 v37, s5, v34, 0xbab64f3b
	v_and_b32_e32 v24, 1, v24
	v_fmaak_f32 v40, s4, v38, 0x3c0881c4
	v_fmaak_f32 v41, s5, v38, 0xbab64f3b
	;; [unrolled: 1-line block ×4, first 2 shown]
	v_and_b32_e32 v35, 0x80000000, v35
	v_fmaak_f32 v40, v38, v40, 0xbe2aaa9d
	v_fmaak_f32 v41, v38, v41, 0x3d2aabf7
	v_mul_f32_e32 v36, v34, v36
	v_fmaak_f32 v37, v34, v37, 0xbf000004
	v_lshlrev_b32_e32 v39, 30, v29
	v_and_b32_e32 v29, 1, v29
	v_xor_b32_e32 v21, v21, v35
	v_fmac_f32_e32 v22, v22, v36
	v_fma_f32 v34, v34, v37, 1.0
	v_mul_f32_e32 v35, v38, v40
	v_fmaak_f32 v36, v38, v41, 0xbf000004
	v_cmp_eq_u32_e32 vcc_lo, 0, v24
	v_and_b32_e32 v24, 0x80000000, v39
	s_add_u32 s12, s8, s12
	v_fmac_f32_e32 v27, v27, v35
	v_mul_f32_e32 v35, v30, v30
	v_cndmask_b32_e32 v22, v34, v22, vcc_lo
	v_fma_f32 v34, v38, v36, 1.0
	v_cmp_eq_u32_e32 vcc_lo, 0, v29
	s_addc_u32 s13, s9, s13
	v_xor3_b32 v21, v21, v22, v20
	v_xor_b32_e32 v22, v23, v24
	v_cndmask_b32_e32 v23, v34, v27, vcc_lo
	v_cmp_class_f32_e64 vcc_lo, v20, 0x1f8
	v_fmaak_f32 v24, s5, v35, 0xbab64f3b
	v_lshlrev_b32_e32 v27, 30, v33
	v_xor3_b32 v22, v22, v23, v1
	v_cndmask_b32_e32 v20, 0x7fc00000, v21, vcc_lo
	v_fmaak_f32 v21, s4, v35, 0x3c0881c4
	v_fmaak_f32 v24, v35, v24, 0x3d2aabf7
	v_cmp_class_f32_e64 vcc_lo, v1, 0x1f8
	v_and_b32_e32 v27, 0x80000000, v27
	v_bfe_u32 v23, v20, 16, 1
	v_fmaak_f32 v21, v35, v21, 0xbe2aaa9d
	v_cndmask_b32_e32 v1, 0x7fc00000, v22, vcc_lo
	v_xor_b32_e32 v26, v26, v27
	v_add3_u32 v22, v20, v23, 0x7fff
	v_mul_f32_e32 v21, v35, v21
	v_fmaak_f32 v23, v35, v24, 0xbf000004
	v_and_b32_e32 v24, 1, v33
	v_bfe_u32 v29, v1, 16, 1
	v_lshrrev_b32_e32 v22, 16, v22
	v_fmac_f32_e32 v30, v30, v21
	v_fma_f32 v21, v35, v23, 1.0
	v_mul_f32_e32 v23, v10, v10
	v_cmp_eq_u32_e32 vcc_lo, 0, v24
	v_add3_u32 v29, v1, v29, 0x7fff
	v_fmaak_f32 v24, s4, v23, 0x3c0881c4
	v_cndmask_b32_e32 v21, v21, v30, vcc_lo
	v_fmaak_f32 v30, s5, v23, 0xbab64f3b
	v_cmp_o_f32_e32 vcc_lo, v20, v20
	v_and_b32_e32 v27, 0xffff0000, v29
	v_xor3_b32 v21, v26, v21, v25
	v_lshlrev_b32_e32 v26, 30, v11
	v_cndmask_b32_e32 v20, 0x7fc0, v22, vcc_lo
	v_fmaak_f32 v22, v23, v24, 0xbe2aaa9d
	v_fmaak_f32 v24, v23, v30, 0x3d2aabf7
	v_cmp_class_f32_e64 vcc_lo, v25, 0x1f8
	v_and_b32_e32 v11, 1, v11
	v_mul_f32_e32 v22, v23, v22
	v_fmaak_f32 v24, v23, v24, 0xbf000004
	v_cndmask_b32_e32 v21, 0x7fc00000, v21, vcc_lo
	v_cmp_eq_u32_e32 vcc_lo, 0, v11
	v_fmac_f32_e32 v10, v10, v22
	v_fma_f32 v22, v23, v24, 1.0
	v_and_b32_e32 v23, 0x80000000, v26
	v_mul_f32_e32 v24, v13, v13
	v_bfe_u32 v25, v21, 16, 1
	v_cndmask_b32_e32 v10, v22, v10, vcc_lo
	v_xor_b32_e32 v9, v9, v23
	v_fmaak_f32 v11, s4, v24, 0x3c0881c4
	v_fmaak_f32 v22, s5, v24, 0xbab64f3b
	v_cmp_o_f32_e32 vcc_lo, v1, v1
	v_mul_f32_e32 v23, v16, v16
	v_xor3_b32 v9, v9, v10, v8
	v_fmaak_f32 v10, v24, v11, 0xbe2aaa9d
	v_fmaak_f32 v11, v24, v22, 0x3d2aabf7
	v_cndmask_b32_e32 v1, 0x7fc00000, v27, vcc_lo
	v_cmp_class_f32_e64 vcc_lo, v8, 0x1f8
	v_add3_u32 v22, v21, v25, 0x7fff
	v_cndmask_b32_e32 v8, 0x7fc00000, v9, vcc_lo
	v_mul_f32_e32 v9, v24, v10
	v_fmaak_f32 v10, v24, v11, 0xbf000004
	v_lshlrev_b32_e32 v11, 30, v14
	v_and_b32_e32 v14, 1, v14
	v_fmac_f32_e32 v13, v13, v9
	v_fma_f32 v9, v24, v10, 1.0
	v_and_b32_e32 v10, 0x80000000, v11
	v_cmp_eq_u32_e32 vcc_lo, 0, v14
	v_fmaak_f32 v11, s4, v23, 0x3c0881c4
	v_fmaak_f32 v24, s5, v23, 0xbab64f3b
	v_lshrrev_b32_e32 v14, 16, v22
	v_xor_b32_e32 v5, v5, v10
	v_cndmask_b32_e32 v9, v9, v13, vcc_lo
	v_cmp_class_f32_e64 vcc_lo, v3, 0x1f8
	v_bfe_u32 v10, v8, 16, 1
	v_fmaak_f32 v11, v23, v11, 0xbe2aaa9d
	v_fmaak_f32 v13, v23, v24, 0x3d2aabf7
	v_xor3_b32 v5, v5, v9, v3
	v_add3_u32 v9, v8, v10, 0x7fff
	v_mul_f32_e32 v10, v23, v11
	v_fmaak_f32 v11, v23, v13, 0xbf000004
	v_cndmask_b32_e32 v3, 0x7fc00000, v5, vcc_lo
	v_lshlrev_b32_e32 v5, 30, v17
	v_and_b32_e32 v13, 1, v17
	v_mul_f32_e32 v17, v18, v18
	v_fmac_f32_e32 v16, v16, v10
	v_fma_f32 v10, v23, v11, 1.0
	v_and_b32_e32 v5, 0x80000000, v5
	v_cmp_eq_u32_e32 vcc_lo, 0, v13
	v_mul_f32_e32 v13, v31, v31
	v_fmaak_f32 v22, s5, v17, 0xbab64f3b
	v_bfe_u32 v11, v3, 16, 1
	v_xor_b32_e32 v5, v12, v5
	v_fmaak_f32 v12, s4, v17, 0x3c0881c4
	v_fmaak_f32 v23, s4, v13, 0x3c0881c4
	;; [unrolled: 1-line block ×4, first 2 shown]
	v_cndmask_b32_e32 v10, v10, v16, vcc_lo
	v_fmaak_f32 v12, v17, v12, 0xbe2aaa9d
	v_lshlrev_b32_e32 v16, 30, v19
	v_fmaak_f32 v23, v13, v23, 0xbe2aaa9d
	v_fmaak_f32 v24, v13, v24, 0x3d2aabf7
	v_and_b32_e32 v19, 1, v19
	v_mul_f32_e32 v12, v17, v12
	v_fmaak_f32 v22, v17, v22, 0xbf000004
	v_mul_f32_e32 v23, v13, v23
	v_fmaak_f32 v24, v13, v24, 0xbf000004
	v_cmp_eq_u32_e32 vcc_lo, 0, v19
	v_fmac_f32_e32 v18, v18, v12
	v_fma_f32 v17, v17, v22, 1.0
	v_and_b32_e32 v22, 1, v32
	v_and_b32_e32 v16, 0x80000000, v16
	v_lshlrev_b32_e32 v12, 30, v32
	v_fmac_f32_e32 v31, v31, v23
	v_fma_f32 v13, v13, v24, 1.0
	v_cndmask_b32_e32 v17, v17, v18, vcc_lo
	v_cmp_eq_u32_e32 vcc_lo, 0, v22
	v_and_b32_e32 v12, 0x80000000, v12
	v_xor_b32_e32 v15, v15, v16
	v_xor3_b32 v5, v5, v10, v6
	v_add3_u32 v10, v3, v11, 0x7fff
	v_cndmask_b32_e32 v13, v13, v31, vcc_lo
	v_cmp_class_f32_e64 vcc_lo, v6, 0x1f8
	v_xor_b32_e32 v12, v28, v12
	v_xor3_b32 v11, v15, v17, v4
	v_lshrrev_b32_e32 v9, 16, v9
	v_cndmask_b32_e32 v5, 0x7fc00000, v5, vcc_lo
	v_cmp_class_f32_e64 vcc_lo, v4, 0x1f8
	v_xor3_b32 v12, v12, v13, v2
	v_cndmask_b32_e32 v4, 0x7fc00000, v11, vcc_lo
	v_cmp_class_f32_e64 vcc_lo, v2, 0x1f8
	v_cndmask_b32_e32 v2, 0x7fc00000, v12, vcc_lo
	v_cmp_o_f32_e32 vcc_lo, v8, v8
	v_and_b32_e32 v8, 0xffff0000, v10
	v_bfe_u32 v10, v4, 16, 1
	v_bfe_u32 v11, v2, 16, 1
	v_cndmask_b32_e32 v6, 0x7fc0, v9, vcc_lo
	v_bfe_u32 v9, v5, 16, 1
	v_cmp_o_f32_e32 vcc_lo, v3, v3
	v_cndmask_b32_e32 v3, 0x7fc00000, v8, vcc_lo
	v_add3_u32 v8, v5, v9, 0x7fff
	v_cmp_o_f32_e32 vcc_lo, v21, v21
	v_add3_u32 v9, v4, v10, 0x7fff
	v_add3_u32 v10, v2, v11, 0x7fff
	v_or_b32_e32 v3, v3, v6
	v_lshrrev_b32_e32 v8, 16, v8
	v_cndmask_b32_e32 v11, 0x7fc0, v14, vcc_lo
	v_cmp_o_f32_e32 vcc_lo, v5, v5
	v_and_b32_e32 v6, 0xffff0000, v9
	v_and_b32_e32 v9, 0xffff0000, v10
	v_cndmask_b32_e32 v5, 0x7fc0, v8, vcc_lo
	v_cmp_o_f32_e32 vcc_lo, v4, v4
	v_or_b32_e32 v8, v1, v20
	v_or3_b32 v1, v3, 0, 0
	v_cndmask_b32_e32 v4, 0x7fc00000, v6, vcc_lo
	v_cmp_o_f32_e32 vcc_lo, v2, v2
	v_or3_b32 v3, v8, 0, 0
	v_or3_b32 v2, 0, v5, v4
	v_cndmask_b32_e32 v6, 0x7fc00000, v9, vcc_lo
	v_add_co_u32 v5, s4, s12, v7
	v_or3_b32 v4, 0, v11, v6
	v_add_co_ci_u32_e64 v6, null, s13, 0, s4
	v_add_co_u32 v5, vcc_lo, 0x800, v5
	v_add_co_ci_u32_e64 v6, null, 0, v6, vcc_lo
	global_store_dwordx2 v7, v[1:2], s[12:13]
	global_store_dwordx2 v[5:6], v[3:4], off
	s_branch .LBB30_2
.LBB30_36:
	v_mov_b32_e32 v31, v0
	v_mov_b32_e32 v0, s8
	;; [unrolled: 1-line block ×6, first 2 shown]
	s_getpc_b64 s[4:5]
	s_add_u32 s4, s4, _ZN2at6native25elementwise_kernel_helperILb0EZZZNS0_15sin_kernel_cudaERNS_18TensorIteratorBaseEENKUlvE0_clEvENKUlvE2_clEvEUlN3c108BFloat16EE_NS0_6memory8policies11unroll_baseILi256ESt5arrayIPcLm2EE23TrivialOffsetCalculatorILi1EjESG_NS9_15LoadWithoutCastENS9_16StoreWithoutCastELi8ELi1EEEEEvT0_T1_@rel32@lo+4
	s_addc_u32 s5, s5, _ZN2at6native25elementwise_kernel_helperILb0EZZZNS0_15sin_kernel_cudaERNS_18TensorIteratorBaseEENKUlvE0_clEvENKUlvE2_clEvEUlN3c108BFloat16EE_NS0_6memory8policies11unroll_baseILi256ESt5arrayIPcLm2EE23TrivialOffsetCalculatorILi1EjESG_NS9_15LoadWithoutCastENS9_16StoreWithoutCastELi8ELi1EEEEEvT0_T1_@rel32@hi+12
	s_mov_b32 s12, s6
	s_swappc_b64 s[30:31], s[4:5]
	s_endpgm
	.section	.rodata,"a",@progbits
	.p2align	6, 0x0
	.amdhsa_kernel _ZN2at6native29vectorized_elementwise_kernelILi4EZZZNS0_15sin_kernel_cudaERNS_18TensorIteratorBaseEENKUlvE0_clEvENKUlvE2_clEvEUlN3c108BFloat16EE_St5arrayIPcLm2EEEEviT0_T1_
		.amdhsa_group_segment_fixed_size 0
		.amdhsa_private_segment_fixed_size 0
		.amdhsa_kernarg_size 24
		.amdhsa_user_sgpr_count 6
		.amdhsa_user_sgpr_private_segment_buffer 1
		.amdhsa_user_sgpr_dispatch_ptr 0
		.amdhsa_user_sgpr_queue_ptr 0
		.amdhsa_user_sgpr_kernarg_segment_ptr 1
		.amdhsa_user_sgpr_dispatch_id 0
		.amdhsa_user_sgpr_flat_scratch_init 0
		.amdhsa_user_sgpr_private_segment_size 0
		.amdhsa_wavefront_size32 1
		.amdhsa_uses_dynamic_stack 0
		.amdhsa_system_sgpr_private_segment_wavefront_offset 0
		.amdhsa_system_sgpr_workgroup_id_x 1
		.amdhsa_system_sgpr_workgroup_id_y 0
		.amdhsa_system_sgpr_workgroup_id_z 0
		.amdhsa_system_sgpr_workgroup_info 0
		.amdhsa_system_vgpr_workitem_id 0
		.amdhsa_next_free_vgpr 44
		.amdhsa_next_free_sgpr 33
		.amdhsa_reserve_vcc 1
		.amdhsa_reserve_flat_scratch 0
		.amdhsa_float_round_mode_32 0
		.amdhsa_float_round_mode_16_64 0
		.amdhsa_float_denorm_mode_32 3
		.amdhsa_float_denorm_mode_16_64 3
		.amdhsa_dx10_clamp 1
		.amdhsa_ieee_mode 1
		.amdhsa_fp16_overflow 0
		.amdhsa_workgroup_processor_mode 1
		.amdhsa_memory_ordered 1
		.amdhsa_forward_progress 1
		.amdhsa_shared_vgpr_count 0
		.amdhsa_exception_fp_ieee_invalid_op 0
		.amdhsa_exception_fp_denorm_src 0
		.amdhsa_exception_fp_ieee_div_zero 0
		.amdhsa_exception_fp_ieee_overflow 0
		.amdhsa_exception_fp_ieee_underflow 0
		.amdhsa_exception_fp_ieee_inexact 0
		.amdhsa_exception_int_div_zero 0
	.end_amdhsa_kernel
	.section	.text._ZN2at6native29vectorized_elementwise_kernelILi4EZZZNS0_15sin_kernel_cudaERNS_18TensorIteratorBaseEENKUlvE0_clEvENKUlvE2_clEvEUlN3c108BFloat16EE_St5arrayIPcLm2EEEEviT0_T1_,"axG",@progbits,_ZN2at6native29vectorized_elementwise_kernelILi4EZZZNS0_15sin_kernel_cudaERNS_18TensorIteratorBaseEENKUlvE0_clEvENKUlvE2_clEvEUlN3c108BFloat16EE_St5arrayIPcLm2EEEEviT0_T1_,comdat
.Lfunc_end30:
	.size	_ZN2at6native29vectorized_elementwise_kernelILi4EZZZNS0_15sin_kernel_cudaERNS_18TensorIteratorBaseEENKUlvE0_clEvENKUlvE2_clEvEUlN3c108BFloat16EE_St5arrayIPcLm2EEEEviT0_T1_, .Lfunc_end30-_ZN2at6native29vectorized_elementwise_kernelILi4EZZZNS0_15sin_kernel_cudaERNS_18TensorIteratorBaseEENKUlvE0_clEvENKUlvE2_clEvEUlN3c108BFloat16EE_St5arrayIPcLm2EEEEviT0_T1_
                                        ; -- End function
	.set _ZN2at6native29vectorized_elementwise_kernelILi4EZZZNS0_15sin_kernel_cudaERNS_18TensorIteratorBaseEENKUlvE0_clEvENKUlvE2_clEvEUlN3c108BFloat16EE_St5arrayIPcLm2EEEEviT0_T1_.num_vgpr, max(44, .L_ZN2at6native25elementwise_kernel_helperILb0EZZZNS0_15sin_kernel_cudaERNS_18TensorIteratorBaseEENKUlvE0_clEvENKUlvE2_clEvEUlN3c108BFloat16EE_NS0_6memory8policies11unroll_baseILi256ESt5arrayIPcLm2EE23TrivialOffsetCalculatorILi1EjESG_NS9_15LoadWithoutCastENS9_16StoreWithoutCastELi8ELi1EEEEEvT0_T1_.num_vgpr)
	.set _ZN2at6native29vectorized_elementwise_kernelILi4EZZZNS0_15sin_kernel_cudaERNS_18TensorIteratorBaseEENKUlvE0_clEvENKUlvE2_clEvEUlN3c108BFloat16EE_St5arrayIPcLm2EEEEviT0_T1_.num_agpr, max(0, .L_ZN2at6native25elementwise_kernel_helperILb0EZZZNS0_15sin_kernel_cudaERNS_18TensorIteratorBaseEENKUlvE0_clEvENKUlvE2_clEvEUlN3c108BFloat16EE_NS0_6memory8policies11unroll_baseILi256ESt5arrayIPcLm2EE23TrivialOffsetCalculatorILi1EjESG_NS9_15LoadWithoutCastENS9_16StoreWithoutCastELi8ELi1EEEEEvT0_T1_.num_agpr)
	.set _ZN2at6native29vectorized_elementwise_kernelILi4EZZZNS0_15sin_kernel_cudaERNS_18TensorIteratorBaseEENKUlvE0_clEvENKUlvE2_clEvEUlN3c108BFloat16EE_St5arrayIPcLm2EEEEviT0_T1_.numbered_sgpr, max(33, .L_ZN2at6native25elementwise_kernel_helperILb0EZZZNS0_15sin_kernel_cudaERNS_18TensorIteratorBaseEENKUlvE0_clEvENKUlvE2_clEvEUlN3c108BFloat16EE_NS0_6memory8policies11unroll_baseILi256ESt5arrayIPcLm2EE23TrivialOffsetCalculatorILi1EjESG_NS9_15LoadWithoutCastENS9_16StoreWithoutCastELi8ELi1EEEEEvT0_T1_.numbered_sgpr)
	.set _ZN2at6native29vectorized_elementwise_kernelILi4EZZZNS0_15sin_kernel_cudaERNS_18TensorIteratorBaseEENKUlvE0_clEvENKUlvE2_clEvEUlN3c108BFloat16EE_St5arrayIPcLm2EEEEviT0_T1_.num_named_barrier, max(0, .L_ZN2at6native25elementwise_kernel_helperILb0EZZZNS0_15sin_kernel_cudaERNS_18TensorIteratorBaseEENKUlvE0_clEvENKUlvE2_clEvEUlN3c108BFloat16EE_NS0_6memory8policies11unroll_baseILi256ESt5arrayIPcLm2EE23TrivialOffsetCalculatorILi1EjESG_NS9_15LoadWithoutCastENS9_16StoreWithoutCastELi8ELi1EEEEEvT0_T1_.num_named_barrier)
	.set _ZN2at6native29vectorized_elementwise_kernelILi4EZZZNS0_15sin_kernel_cudaERNS_18TensorIteratorBaseEENKUlvE0_clEvENKUlvE2_clEvEUlN3c108BFloat16EE_St5arrayIPcLm2EEEEviT0_T1_.private_seg_size, 0+max(.L_ZN2at6native25elementwise_kernel_helperILb0EZZZNS0_15sin_kernel_cudaERNS_18TensorIteratorBaseEENKUlvE0_clEvENKUlvE2_clEvEUlN3c108BFloat16EE_NS0_6memory8policies11unroll_baseILi256ESt5arrayIPcLm2EE23TrivialOffsetCalculatorILi1EjESG_NS9_15LoadWithoutCastENS9_16StoreWithoutCastELi8ELi1EEEEEvT0_T1_.private_seg_size)
	.set _ZN2at6native29vectorized_elementwise_kernelILi4EZZZNS0_15sin_kernel_cudaERNS_18TensorIteratorBaseEENKUlvE0_clEvENKUlvE2_clEvEUlN3c108BFloat16EE_St5arrayIPcLm2EEEEviT0_T1_.uses_vcc, or(1, .L_ZN2at6native25elementwise_kernel_helperILb0EZZZNS0_15sin_kernel_cudaERNS_18TensorIteratorBaseEENKUlvE0_clEvENKUlvE2_clEvEUlN3c108BFloat16EE_NS0_6memory8policies11unroll_baseILi256ESt5arrayIPcLm2EE23TrivialOffsetCalculatorILi1EjESG_NS9_15LoadWithoutCastENS9_16StoreWithoutCastELi8ELi1EEEEEvT0_T1_.uses_vcc)
	.set _ZN2at6native29vectorized_elementwise_kernelILi4EZZZNS0_15sin_kernel_cudaERNS_18TensorIteratorBaseEENKUlvE0_clEvENKUlvE2_clEvEUlN3c108BFloat16EE_St5arrayIPcLm2EEEEviT0_T1_.uses_flat_scratch, or(0, .L_ZN2at6native25elementwise_kernel_helperILb0EZZZNS0_15sin_kernel_cudaERNS_18TensorIteratorBaseEENKUlvE0_clEvENKUlvE2_clEvEUlN3c108BFloat16EE_NS0_6memory8policies11unroll_baseILi256ESt5arrayIPcLm2EE23TrivialOffsetCalculatorILi1EjESG_NS9_15LoadWithoutCastENS9_16StoreWithoutCastELi8ELi1EEEEEvT0_T1_.uses_flat_scratch)
	.set _ZN2at6native29vectorized_elementwise_kernelILi4EZZZNS0_15sin_kernel_cudaERNS_18TensorIteratorBaseEENKUlvE0_clEvENKUlvE2_clEvEUlN3c108BFloat16EE_St5arrayIPcLm2EEEEviT0_T1_.has_dyn_sized_stack, or(0, .L_ZN2at6native25elementwise_kernel_helperILb0EZZZNS0_15sin_kernel_cudaERNS_18TensorIteratorBaseEENKUlvE0_clEvENKUlvE2_clEvEUlN3c108BFloat16EE_NS0_6memory8policies11unroll_baseILi256ESt5arrayIPcLm2EE23TrivialOffsetCalculatorILi1EjESG_NS9_15LoadWithoutCastENS9_16StoreWithoutCastELi8ELi1EEEEEvT0_T1_.has_dyn_sized_stack)
	.set _ZN2at6native29vectorized_elementwise_kernelILi4EZZZNS0_15sin_kernel_cudaERNS_18TensorIteratorBaseEENKUlvE0_clEvENKUlvE2_clEvEUlN3c108BFloat16EE_St5arrayIPcLm2EEEEviT0_T1_.has_recursion, or(0, .L_ZN2at6native25elementwise_kernel_helperILb0EZZZNS0_15sin_kernel_cudaERNS_18TensorIteratorBaseEENKUlvE0_clEvENKUlvE2_clEvEUlN3c108BFloat16EE_NS0_6memory8policies11unroll_baseILi256ESt5arrayIPcLm2EE23TrivialOffsetCalculatorILi1EjESG_NS9_15LoadWithoutCastENS9_16StoreWithoutCastELi8ELi1EEEEEvT0_T1_.has_recursion)
	.set _ZN2at6native29vectorized_elementwise_kernelILi4EZZZNS0_15sin_kernel_cudaERNS_18TensorIteratorBaseEENKUlvE0_clEvENKUlvE2_clEvEUlN3c108BFloat16EE_St5arrayIPcLm2EEEEviT0_T1_.has_indirect_call, or(0, .L_ZN2at6native25elementwise_kernel_helperILb0EZZZNS0_15sin_kernel_cudaERNS_18TensorIteratorBaseEENKUlvE0_clEvENKUlvE2_clEvEUlN3c108BFloat16EE_NS0_6memory8policies11unroll_baseILi256ESt5arrayIPcLm2EE23TrivialOffsetCalculatorILi1EjESG_NS9_15LoadWithoutCastENS9_16StoreWithoutCastELi8ELi1EEEEEvT0_T1_.has_indirect_call)
	.section	.AMDGPU.csdata,"",@progbits
; Kernel info:
; codeLenInByte = 6764
; TotalNumSgprs: 35
; NumVgprs: 44
; ScratchSize: 0
; MemoryBound: 0
; FloatMode: 240
; IeeeMode: 1
; LDSByteSize: 0 bytes/workgroup (compile time only)
; SGPRBlocks: 0
; VGPRBlocks: 5
; NumSGPRsForWavesPerEU: 35
; NumVGPRsForWavesPerEU: 44
; Occupancy: 16
; WaveLimiterHint : 1
; COMPUTE_PGM_RSRC2:SCRATCH_EN: 0
; COMPUTE_PGM_RSRC2:USER_SGPR: 6
; COMPUTE_PGM_RSRC2:TRAP_HANDLER: 0
; COMPUTE_PGM_RSRC2:TGID_X_EN: 1
; COMPUTE_PGM_RSRC2:TGID_Y_EN: 0
; COMPUTE_PGM_RSRC2:TGID_Z_EN: 0
; COMPUTE_PGM_RSRC2:TIDIG_COMP_CNT: 0
	.section	.text._ZN2at6native29vectorized_elementwise_kernelILi2EZZZNS0_15sin_kernel_cudaERNS_18TensorIteratorBaseEENKUlvE0_clEvENKUlvE2_clEvEUlN3c108BFloat16EE_St5arrayIPcLm2EEEEviT0_T1_,"axG",@progbits,_ZN2at6native29vectorized_elementwise_kernelILi2EZZZNS0_15sin_kernel_cudaERNS_18TensorIteratorBaseEENKUlvE0_clEvENKUlvE2_clEvEUlN3c108BFloat16EE_St5arrayIPcLm2EEEEviT0_T1_,comdat
	.globl	_ZN2at6native29vectorized_elementwise_kernelILi2EZZZNS0_15sin_kernel_cudaERNS_18TensorIteratorBaseEENKUlvE0_clEvENKUlvE2_clEvEUlN3c108BFloat16EE_St5arrayIPcLm2EEEEviT0_T1_ ; -- Begin function _ZN2at6native29vectorized_elementwise_kernelILi2EZZZNS0_15sin_kernel_cudaERNS_18TensorIteratorBaseEENKUlvE0_clEvENKUlvE2_clEvEUlN3c108BFloat16EE_St5arrayIPcLm2EEEEviT0_T1_
	.p2align	8
	.type	_ZN2at6native29vectorized_elementwise_kernelILi2EZZZNS0_15sin_kernel_cudaERNS_18TensorIteratorBaseEENKUlvE0_clEvENKUlvE2_clEvEUlN3c108BFloat16EE_St5arrayIPcLm2EEEEviT0_T1_,@function
_ZN2at6native29vectorized_elementwise_kernelILi2EZZZNS0_15sin_kernel_cudaERNS_18TensorIteratorBaseEENKUlvE0_clEvENKUlvE2_clEvEUlN3c108BFloat16EE_St5arrayIPcLm2EEEEviT0_T1_: ; @_ZN2at6native29vectorized_elementwise_kernelILi2EZZZNS0_15sin_kernel_cudaERNS_18TensorIteratorBaseEENKUlvE0_clEvENKUlvE2_clEvEUlN3c108BFloat16EE_St5arrayIPcLm2EEEEviT0_T1_
; %bb.0:
	s_add_u32 s0, s0, s7
	s_clause 0x1
	s_load_dword s7, s[4:5], 0x0
	s_load_dwordx4 s[8:11], s[4:5], 0x8
	s_addc_u32 s1, s1, 0
	s_lshl_b32 s4, s6, 11
	s_mov_b32 s5, -1
	s_mov_b32 s32, 0
	s_waitcnt lgkmcnt(0)
	s_sub_i32 s7, s7, s4
	s_cmpk_gt_i32 s7, 0x7ff
	s_cbranch_scc1 .LBB31_3
; %bb.1:
	s_and_b32 vcc_lo, exec_lo, s5
	s_cbranch_vccnz .LBB31_36
.LBB31_2:
	s_endpgm
.LBB31_3:
	s_ashr_i32 s5, s4, 31
	v_lshlrev_b32_e32 v3, 2, v0
	s_lshl_b64 s[12:13], s[4:5], 1
                                        ; implicit-def: $vgpr7
                                        ; implicit-def: $vgpr6
	s_add_u32 s4, s10, s12
	s_addc_u32 s5, s11, s13
	v_add_co_u32 v1, s14, s4, v3
	v_add_co_ci_u32_e64 v2, null, s5, 0, s14
	global_load_dword v8, v3, s[4:5]
	v_add_co_u32 v1, vcc_lo, 0x800, v1
	v_add_co_ci_u32_e64 v2, null, 0, v2, vcc_lo
	s_clause 0x2
	global_load_dword v13, v3, s[4:5] offset:1024
	global_load_dword v19, v[1:2], off
	global_load_dword v11, v[1:2], off offset:1024
	v_mov_b32_e32 v2, 0
	s_mov_b32 s5, exec_lo
	s_waitcnt vmcnt(3)
	v_lshlrev_b32_e32 v4, 16, v8
	v_and_b32_e32 v5, 0x7fffffff, v4
	v_cmpx_ngt_f32_e64 0x48000000, |v4|
	s_xor_b32 s14, exec_lo, s5
	s_cbranch_execz .LBB31_5
; %bb.4:
	s_mov_b32 s4, 0x7fffff
	v_and_or_b32 v12, v5, s4, 0x800000
	v_mad_u64_u32 v[6:7], null, 0xfe5163ab, v12, 0
	v_mov_b32_e32 v1, v7
	v_lshrrev_b32_e32 v7, 23, v5
	v_mad_u64_u32 v[9:10], null, 0x3c439041, v12, v[1:2]
	v_add_nc_u32_e32 v7, 0xffffff88, v7
	v_cmp_lt_u32_e32 vcc_lo, 63, v7
	v_mov_b32_e32 v1, v10
	v_cndmask_b32_e64 v10, 0, 0xffffffc0, vcc_lo
	v_mad_u64_u32 v[14:15], null, 0xdb629599, v12, v[1:2]
	v_add_nc_u32_e32 v7, v10, v7
	v_mov_b32_e32 v1, v15
	v_cmp_lt_u32_e64 s4, 31, v7
	v_cndmask_b32_e32 v6, v14, v6, vcc_lo
	v_mad_u64_u32 v[15:16], null, 0xf534ddc0, v12, v[1:2]
	v_cndmask_b32_e64 v10, 0, 0xffffffe0, s4
	v_add_nc_u32_e32 v7, v10, v7
	v_mov_b32_e32 v1, v16
	v_cndmask_b32_e32 v9, v15, v9, vcc_lo
	v_cmp_lt_u32_e64 s5, 31, v7
	v_mad_u64_u32 v[16:17], null, 0xfc2757d1, v12, v[1:2]
	v_cndmask_b32_e64 v6, v9, v6, s4
	v_cndmask_b32_e64 v10, 0, 0xffffffe0, s5
	v_mov_b32_e32 v1, v17
	v_add_nc_u32_e32 v7, v10, v7
	v_mad_u64_u32 v[17:18], null, 0x4e441529, v12, v[1:2]
	v_mov_b32_e32 v1, v18
	v_mad_u64_u32 v[1:2], null, 0xa2f9836e, v12, v[1:2]
	v_cndmask_b32_e32 v12, v17, v15, vcc_lo
	v_cndmask_b32_e32 v1, v1, v16, vcc_lo
	;; [unrolled: 1-line block ×4, first 2 shown]
	v_cmp_eq_u32_e32 vcc_lo, 0, v7
	v_cndmask_b32_e64 v10, v1, v12, s4
	v_cndmask_b32_e64 v1, v2, v1, s4
	;; [unrolled: 1-line block ×3, first 2 shown]
	v_sub_nc_u32_e32 v12, 32, v7
	v_cndmask_b32_e64 v15, v16, v9, s4
	v_cndmask_b32_e64 v1, v1, v10, s5
	;; [unrolled: 1-line block ×5, first 2 shown]
	v_alignbit_b32 v16, v1, v10, v12
	v_alignbit_b32 v14, v10, v2, v12
	;; [unrolled: 1-line block ×3, first 2 shown]
	v_cndmask_b32_e32 v1, v16, v1, vcc_lo
	v_cndmask_b32_e32 v7, v14, v10, vcc_lo
	v_cndmask_b32_e32 v2, v12, v2, vcc_lo
	v_bfe_u32 v9, v1, 29, 1
	v_alignbit_b32 v10, v1, v7, 30
	v_alignbit_b32 v7, v7, v2, 30
	;; [unrolled: 1-line block ×3, first 2 shown]
	v_sub_nc_u32_e32 v14, 0, v9
	v_xor_b32_e32 v10, v10, v14
	v_xor_b32_e32 v6, v7, v14
	;; [unrolled: 1-line block ×3, first 2 shown]
	v_lshrrev_b32_e32 v14, 29, v1
	v_lshrrev_b32_e32 v1, 30, v1
	v_ffbh_u32_e32 v12, v10
	v_min_u32_e32 v12, 32, v12
	v_sub_nc_u32_e32 v7, 31, v12
	v_lshlrev_b32_e32 v15, 23, v12
	v_alignbit_b32 v10, v10, v6, v7
	v_alignbit_b32 v2, v6, v2, v7
	v_lshlrev_b32_e32 v6, 31, v14
	v_alignbit_b32 v7, v10, v2, 9
	v_or_b32_e32 v14, 0.5, v6
	v_lshrrev_b32_e32 v10, 9, v10
	v_or_b32_e32 v6, 0x33000000, v6
	v_ffbh_u32_e32 v16, v7
	v_sub_nc_u32_e32 v14, v14, v15
	v_min_u32_e32 v15, 32, v16
	v_or_b32_e32 v10, v10, v14
	v_not_b32_e32 v14, v15
	v_mul_f32_e32 v16, 0x3fc90fda, v10
	v_add_lshl_u32 v12, v15, v12, 23
	v_alignbit_b32 v2, v7, v2, v14
	v_fma_f32 v7, 0x3fc90fda, v10, -v16
	v_sub_nc_u32_e32 v6, v6, v12
	v_lshrrev_b32_e32 v2, 9, v2
	v_fmamk_f32 v7, v10, 0x33a22168, v7
	v_or_b32_e32 v2, v6, v2
	v_fmac_f32_e32 v7, 0x3fc90fda, v2
	v_add_f32_e32 v6, v16, v7
	v_add_nc_u32_e32 v7, v9, v1
.LBB31_5:
	s_andn2_saveexec_b32 s4, s14
; %bb.6:
	v_mul_f32_e64 v1, 0x3f22f983, |v4|
	v_rndne_f32_e32 v1, v1
	v_fma_f32 v2, 0xbfc90fda, v1, |v4|
	v_cvt_i32_f32_e32 v7, v1
	v_fmamk_f32 v2, v1, 0xb3a22168, v2
	v_fmamk_f32 v6, v1, 0xa7c234c4, v2
; %bb.7:
	s_or_b32 exec_lo, exec_lo, s4
	v_and_b32_e32 v1, 0xffff0000, v8
                                        ; implicit-def: $vgpr9
                                        ; implicit-def: $vgpr8
	s_mov_b32 s5, exec_lo
	v_and_b32_e32 v2, 0x7fffffff, v1
	v_cmpx_ngt_f32_e64 0x48000000, |v1|
	s_xor_b32 s14, exec_lo, s5
	s_cbranch_execz .LBB31_9
; %bb.8:
	s_mov_b32 s4, 0x7fffff
	v_mov_b32_e32 v10, 0
	v_and_or_b32 v12, v2, s4, 0x800000
	v_lshrrev_b32_e32 v18, 23, v2
	v_mad_u64_u32 v[8:9], null, 0xfe5163ab, v12, 0
	v_add_nc_u32_e32 v20, 0xffffff88, v18
	v_cmp_lt_u32_e32 vcc_lo, 63, v20
	v_mad_u64_u32 v[14:15], null, 0x3c439041, v12, v[9:10]
	v_cndmask_b32_e64 v21, 0, 0xffffffc0, vcc_lo
	v_mov_b32_e32 v9, v15
	v_mad_u64_u32 v[15:16], null, 0xdb629599, v12, v[9:10]
	v_mov_b32_e32 v9, v16
	v_cndmask_b32_e32 v8, v15, v8, vcc_lo
	v_mad_u64_u32 v[16:17], null, 0xf534ddc0, v12, v[9:10]
	v_mov_b32_e32 v9, v17
	v_cndmask_b32_e32 v14, v16, v14, vcc_lo
	v_mad_u64_u32 v[17:18], null, 0xfc2757d1, v12, v[9:10]
	v_mov_b32_e32 v9, v18
	v_add_nc_u32_e32 v18, v21, v20
	v_mad_u64_u32 v[20:21], null, 0x4e441529, v12, v[9:10]
	v_cmp_lt_u32_e64 s4, 31, v18
	v_cndmask_b32_e64 v22, 0, 0xffffffe0, s4
	v_mov_b32_e32 v9, v21
	v_cndmask_b32_e32 v21, v20, v16, vcc_lo
	v_cndmask_b32_e64 v8, v14, v8, s4
	v_add_nc_u32_e32 v18, v22, v18
	v_mad_u64_u32 v[9:10], null, 0xa2f9836e, v12, v[9:10]
	v_cmp_lt_u32_e64 s5, 31, v18
	v_cndmask_b32_e32 v9, v9, v17, vcc_lo
	v_cndmask_b32_e64 v12, 0, 0xffffffe0, s5
	v_cndmask_b32_e32 v10, v10, v20, vcc_lo
	v_cndmask_b32_e32 v17, v17, v15, vcc_lo
	v_cndmask_b32_e64 v16, v9, v21, s4
	v_add_nc_u32_e32 v12, v12, v18
	v_cndmask_b32_e64 v9, v10, v9, s4
	v_cndmask_b32_e64 v10, v21, v17, s4
	;; [unrolled: 1-line block ×3, first 2 shown]
	v_sub_nc_u32_e32 v18, 32, v12
	v_cndmask_b32_e64 v9, v9, v16, s5
	v_cndmask_b32_e64 v16, v16, v10, s5
	;; [unrolled: 1-line block ×3, first 2 shown]
	v_cmp_eq_u32_e32 vcc_lo, 0, v12
	v_cndmask_b32_e64 v8, v17, v8, s5
	v_alignbit_b32 v20, v9, v16, v18
	v_alignbit_b32 v15, v16, v10, v18
	;; [unrolled: 1-line block ×3, first 2 shown]
	v_cndmask_b32_e32 v9, v20, v9, vcc_lo
	v_cndmask_b32_e32 v12, v15, v16, vcc_lo
	;; [unrolled: 1-line block ×3, first 2 shown]
	v_bfe_u32 v14, v9, 29, 1
	v_alignbit_b32 v15, v9, v12, 30
	v_alignbit_b32 v12, v12, v10, 30
	;; [unrolled: 1-line block ×3, first 2 shown]
	v_sub_nc_u32_e32 v16, 0, v14
	v_xor_b32_e32 v15, v15, v16
	v_xor_b32_e32 v10, v12, v16
	;; [unrolled: 1-line block ×3, first 2 shown]
	v_lshrrev_b32_e32 v16, 29, v9
	v_lshrrev_b32_e32 v9, 30, v9
	v_ffbh_u32_e32 v17, v15
	v_add_nc_u32_e32 v9, v14, v9
	v_min_u32_e32 v17, 32, v17
	v_sub_nc_u32_e32 v12, 31, v17
	v_lshlrev_b32_e32 v18, 23, v17
	v_alignbit_b32 v15, v15, v10, v12
	v_alignbit_b32 v8, v10, v8, v12
	v_lshlrev_b32_e32 v10, 31, v16
	v_alignbit_b32 v12, v15, v8, 9
	v_or_b32_e32 v16, 0.5, v10
	v_lshrrev_b32_e32 v15, 9, v15
	v_or_b32_e32 v10, 0x33000000, v10
	v_ffbh_u32_e32 v20, v12
	v_sub_nc_u32_e32 v16, v16, v18
	v_min_u32_e32 v18, 32, v20
	v_or_b32_e32 v15, v15, v16
	v_not_b32_e32 v16, v18
	v_mul_f32_e32 v20, 0x3fc90fda, v15
	v_add_lshl_u32 v17, v18, v17, 23
	v_alignbit_b32 v8, v12, v8, v16
	v_fma_f32 v12, 0x3fc90fda, v15, -v20
	v_sub_nc_u32_e32 v10, v10, v17
	v_lshrrev_b32_e32 v8, 9, v8
	v_fmamk_f32 v12, v15, 0x33a22168, v12
	v_or_b32_e32 v8, v10, v8
	v_fmac_f32_e32 v12, 0x3fc90fda, v8
	v_add_f32_e32 v8, v20, v12
.LBB31_9:
	s_andn2_saveexec_b32 s4, s14
; %bb.10:
	v_mul_f32_e64 v8, 0x3f22f983, |v1|
	v_rndne_f32_e32 v9, v8
	v_fma_f32 v8, 0xbfc90fda, v9, |v1|
	v_fmamk_f32 v8, v9, 0xb3a22168, v8
	v_fmamk_f32 v8, v9, 0xa7c234c4, v8
	v_cvt_i32_f32_e32 v9, v9
; %bb.11:
	s_or_b32 exec_lo, exec_lo, s4
	s_waitcnt vmcnt(2)
	v_lshlrev_b32_e32 v10, 16, v13
                                        ; implicit-def: $vgpr15
                                        ; implicit-def: $vgpr14
	s_mov_b32 s5, exec_lo
	v_and_b32_e32 v12, 0x7fffffff, v10
	v_cmpx_ngt_f32_e64 0x48000000, |v10|
	s_xor_b32 s14, exec_lo, s5
	s_cbranch_execz .LBB31_13
; %bb.12:
	s_mov_b32 s4, 0x7fffff
	v_mov_b32_e32 v16, 0
	v_and_or_b32 v25, v12, s4, 0x800000
	v_mad_u64_u32 v[14:15], null, 0xfe5163ab, v25, 0
	v_mad_u64_u32 v[17:18], null, 0x3c439041, v25, v[15:16]
	v_mov_b32_e32 v15, v18
	v_lshrrev_b32_e32 v18, 23, v12
	v_mad_u64_u32 v[20:21], null, 0xdb629599, v25, v[15:16]
	v_add_nc_u32_e32 v18, 0xffffff88, v18
	v_cmp_lt_u32_e32 vcc_lo, 63, v18
	v_mov_b32_e32 v15, v21
	v_cndmask_b32_e64 v24, 0, 0xffffffc0, vcc_lo
	v_mad_u64_u32 v[21:22], null, 0xf534ddc0, v25, v[15:16]
	v_cndmask_b32_e32 v14, v20, v14, vcc_lo
	v_add_nc_u32_e32 v18, v24, v18
	v_mov_b32_e32 v15, v22
	v_cmp_lt_u32_e64 s4, 31, v18
	v_cndmask_b32_e32 v17, v21, v17, vcc_lo
	v_mad_u64_u32 v[22:23], null, 0xfc2757d1, v25, v[15:16]
	v_cndmask_b32_e64 v26, 0, 0xffffffe0, s4
	v_cndmask_b32_e64 v14, v17, v14, s4
	v_add_nc_u32_e32 v18, v26, v18
	v_mov_b32_e32 v15, v23
	v_cmp_lt_u32_e64 s5, 31, v18
	v_mad_u64_u32 v[23:24], null, 0x4e441529, v25, v[15:16]
	v_mov_b32_e32 v15, v24
	v_cndmask_b32_e64 v24, 0, 0xffffffe0, s5
	v_mad_u64_u32 v[15:16], null, 0xa2f9836e, v25, v[15:16]
	v_cndmask_b32_e32 v25, v23, v21, vcc_lo
	v_add_nc_u32_e32 v18, v24, v18
	v_cndmask_b32_e32 v15, v15, v22, vcc_lo
	v_cndmask_b32_e32 v16, v16, v23, vcc_lo
	;; [unrolled: 1-line block ×3, first 2 shown]
	v_sub_nc_u32_e32 v23, 32, v18
	v_cmp_eq_u32_e32 vcc_lo, 0, v18
	v_cndmask_b32_e64 v21, v15, v25, s4
	v_cndmask_b32_e64 v15, v16, v15, s4
	;; [unrolled: 1-line block ×8, first 2 shown]
	v_alignbit_b32 v24, v15, v21, v23
	v_alignbit_b32 v20, v21, v16, v23
	;; [unrolled: 1-line block ×3, first 2 shown]
	v_cndmask_b32_e32 v15, v24, v15, vcc_lo
	v_cndmask_b32_e32 v17, v20, v21, vcc_lo
	;; [unrolled: 1-line block ×3, first 2 shown]
	v_bfe_u32 v18, v15, 29, 1
	v_alignbit_b32 v20, v15, v17, 30
	v_alignbit_b32 v17, v17, v16, 30
	;; [unrolled: 1-line block ×3, first 2 shown]
	v_sub_nc_u32_e32 v21, 0, v18
	v_xor_b32_e32 v20, v20, v21
	v_xor_b32_e32 v16, v17, v21
	;; [unrolled: 1-line block ×3, first 2 shown]
	v_lshrrev_b32_e32 v21, 29, v15
	v_lshrrev_b32_e32 v15, 30, v15
	v_ffbh_u32_e32 v22, v20
	v_add_nc_u32_e32 v15, v18, v15
	v_min_u32_e32 v22, 32, v22
	v_sub_nc_u32_e32 v17, 31, v22
	v_lshlrev_b32_e32 v23, 23, v22
	v_alignbit_b32 v20, v20, v16, v17
	v_alignbit_b32 v14, v16, v14, v17
	v_lshlrev_b32_e32 v16, 31, v21
	v_alignbit_b32 v17, v20, v14, 9
	v_or_b32_e32 v21, 0.5, v16
	v_lshrrev_b32_e32 v20, 9, v20
	v_or_b32_e32 v16, 0x33000000, v16
	v_ffbh_u32_e32 v24, v17
	v_sub_nc_u32_e32 v21, v21, v23
	v_min_u32_e32 v23, 32, v24
	v_or_b32_e32 v20, v20, v21
	v_not_b32_e32 v21, v23
	v_mul_f32_e32 v24, 0x3fc90fda, v20
	v_add_lshl_u32 v22, v23, v22, 23
	v_alignbit_b32 v14, v17, v14, v21
	v_fma_f32 v17, 0x3fc90fda, v20, -v24
	v_sub_nc_u32_e32 v16, v16, v22
	v_lshrrev_b32_e32 v14, 9, v14
	v_fmamk_f32 v17, v20, 0x33a22168, v17
	v_or_b32_e32 v14, v16, v14
	v_fmac_f32_e32 v17, 0x3fc90fda, v14
	v_add_f32_e32 v14, v24, v17
.LBB31_13:
	s_andn2_saveexec_b32 s4, s14
; %bb.14:
	v_mul_f32_e64 v14, 0x3f22f983, |v10|
	v_rndne_f32_e32 v15, v14
	v_fma_f32 v14, 0xbfc90fda, v15, |v10|
	v_fmamk_f32 v14, v15, 0xb3a22168, v14
	v_fmamk_f32 v14, v15, 0xa7c234c4, v14
	v_cvt_i32_f32_e32 v15, v15
; %bb.15:
	s_or_b32 exec_lo, exec_lo, s4
	v_and_b32_e32 v13, 0xffff0000, v13
                                        ; implicit-def: $vgpr18
                                        ; implicit-def: $vgpr17
	s_mov_b32 s5, exec_lo
	v_and_b32_e32 v16, 0x7fffffff, v13
	v_cmpx_ngt_f32_e64 0x48000000, |v13|
	s_xor_b32 s14, exec_lo, s5
	s_cbranch_execz .LBB31_17
; %bb.16:
	s_mov_b32 s4, 0x7fffff
	v_mov_b32_e32 v21, 0
	v_and_or_b32 v28, v16, s4, 0x800000
	v_mad_u64_u32 v[17:18], null, 0xfe5163ab, v28, 0
	v_mov_b32_e32 v20, v18
	v_lshrrev_b32_e32 v18, 23, v16
	v_mad_u64_u32 v[22:23], null, 0x3c439041, v28, v[20:21]
	v_add_nc_u32_e32 v18, 0xffffff88, v18
	v_cmp_lt_u32_e32 vcc_lo, 63, v18
	v_mov_b32_e32 v20, v23
	v_cndmask_b32_e64 v27, 0, 0xffffffc0, vcc_lo
	v_mad_u64_u32 v[23:24], null, 0xdb629599, v28, v[20:21]
	v_add_nc_u32_e32 v18, v27, v18
	v_mov_b32_e32 v20, v24
	v_cmp_lt_u32_e64 s4, 31, v18
	v_cndmask_b32_e32 v17, v23, v17, vcc_lo
	v_mad_u64_u32 v[24:25], null, 0xf534ddc0, v28, v[20:21]
	v_cndmask_b32_e64 v29, 0, 0xffffffe0, s4
	v_add_nc_u32_e32 v18, v29, v18
	v_mov_b32_e32 v20, v25
	v_cndmask_b32_e32 v22, v24, v22, vcc_lo
	v_cmp_lt_u32_e64 s5, 31, v18
	v_mad_u64_u32 v[25:26], null, 0xfc2757d1, v28, v[20:21]
	v_cndmask_b32_e64 v17, v22, v17, s4
	v_mov_b32_e32 v20, v26
	v_mad_u64_u32 v[26:27], null, 0x4e441529, v28, v[20:21]
	v_mov_b32_e32 v20, v27
	v_cndmask_b32_e64 v27, 0, 0xffffffe0, s5
	v_mad_u64_u32 v[20:21], null, 0xa2f9836e, v28, v[20:21]
	v_cndmask_b32_e32 v28, v26, v24, vcc_lo
	v_add_nc_u32_e32 v18, v27, v18
	v_cndmask_b32_e32 v20, v20, v25, vcc_lo
	v_cndmask_b32_e32 v21, v21, v26, vcc_lo
	;; [unrolled: 1-line block ×3, first 2 shown]
	v_sub_nc_u32_e32 v26, 32, v18
	v_cmp_eq_u32_e32 vcc_lo, 0, v18
	v_cndmask_b32_e64 v24, v20, v28, s4
	v_cndmask_b32_e64 v20, v21, v20, s4
	;; [unrolled: 1-line block ×8, first 2 shown]
	v_alignbit_b32 v27, v20, v24, v26
	v_alignbit_b32 v23, v24, v21, v26
	;; [unrolled: 1-line block ×3, first 2 shown]
	v_cndmask_b32_e32 v18, v27, v20, vcc_lo
	v_cndmask_b32_e32 v20, v23, v24, vcc_lo
	;; [unrolled: 1-line block ×3, first 2 shown]
	v_bfe_u32 v22, v18, 29, 1
	v_alignbit_b32 v23, v18, v20, 30
	v_alignbit_b32 v20, v20, v21, 30
	;; [unrolled: 1-line block ×3, first 2 shown]
	v_sub_nc_u32_e32 v24, 0, v22
	v_xor_b32_e32 v23, v23, v24
	v_xor_b32_e32 v20, v20, v24
	v_xor_b32_e32 v17, v17, v24
	v_lshrrev_b32_e32 v24, 29, v18
	v_lshrrev_b32_e32 v18, 30, v18
	v_ffbh_u32_e32 v25, v23
	v_add_nc_u32_e32 v18, v22, v18
	v_min_u32_e32 v25, 32, v25
	v_sub_nc_u32_e32 v21, 31, v25
	v_lshlrev_b32_e32 v26, 23, v25
	v_alignbit_b32 v23, v23, v20, v21
	v_alignbit_b32 v17, v20, v17, v21
	v_lshlrev_b32_e32 v20, 31, v24
	v_alignbit_b32 v21, v23, v17, 9
	v_or_b32_e32 v24, 0.5, v20
	v_lshrrev_b32_e32 v23, 9, v23
	v_or_b32_e32 v20, 0x33000000, v20
	v_ffbh_u32_e32 v27, v21
	v_sub_nc_u32_e32 v24, v24, v26
	v_min_u32_e32 v26, 32, v27
	v_or_b32_e32 v23, v23, v24
	v_not_b32_e32 v24, v26
	v_mul_f32_e32 v27, 0x3fc90fda, v23
	v_add_lshl_u32 v25, v26, v25, 23
	v_alignbit_b32 v17, v21, v17, v24
	v_fma_f32 v21, 0x3fc90fda, v23, -v27
	v_sub_nc_u32_e32 v20, v20, v25
	v_lshrrev_b32_e32 v17, 9, v17
	v_fmamk_f32 v21, v23, 0x33a22168, v21
	v_or_b32_e32 v17, v20, v17
	v_fmac_f32_e32 v21, 0x3fc90fda, v17
	v_add_f32_e32 v17, v27, v21
.LBB31_17:
	s_andn2_saveexec_b32 s4, s14
; %bb.18:
	v_mul_f32_e64 v17, 0x3f22f983, |v13|
	v_rndne_f32_e32 v18, v17
	v_fma_f32 v17, 0xbfc90fda, v18, |v13|
	v_fmamk_f32 v17, v18, 0xb3a22168, v17
	v_fmamk_f32 v17, v18, 0xa7c234c4, v17
	v_cvt_i32_f32_e32 v18, v18
; %bb.19:
	s_or_b32 exec_lo, exec_lo, s4
	s_waitcnt vmcnt(1)
	v_lshlrev_b32_e32 v20, 16, v19
                                        ; implicit-def: $vgpr24
                                        ; implicit-def: $vgpr22
	s_mov_b32 s5, exec_lo
	v_and_b32_e32 v21, 0x7fffffff, v20
	v_cmpx_ngt_f32_e64 0x48000000, |v20|
	s_xor_b32 s14, exec_lo, s5
	s_cbranch_execz .LBB31_21
; %bb.20:
	s_mov_b32 s4, 0x7fffff
	v_mov_b32_e32 v24, 0
	v_and_or_b32 v31, v21, s4, 0x800000
	v_lshrrev_b32_e32 v29, 23, v21
	v_mad_u64_u32 v[22:23], null, 0xfe5163ab, v31, 0
	v_add_nc_u32_e32 v30, 0xffffff88, v29
	v_cmp_lt_u32_e32 vcc_lo, 63, v30
	v_mad_u64_u32 v[25:26], null, 0x3c439041, v31, v[23:24]
	v_cndmask_b32_e64 v32, 0, 0xffffffc0, vcc_lo
	v_mov_b32_e32 v23, v26
	v_add_nc_u32_e32 v32, v32, v30
	v_mad_u64_u32 v[26:27], null, 0xdb629599, v31, v[23:24]
	v_cmp_lt_u32_e64 s4, 31, v32
	v_cndmask_b32_e64 v33, 0, 0xffffffe0, s4
	v_mov_b32_e32 v23, v27
	v_cndmask_b32_e32 v22, v26, v22, vcc_lo
	v_mad_u64_u32 v[27:28], null, 0xf534ddc0, v31, v[23:24]
	v_mov_b32_e32 v23, v28
	v_cndmask_b32_e32 v25, v27, v25, vcc_lo
	v_mad_u64_u32 v[28:29], null, 0xfc2757d1, v31, v[23:24]
	v_cndmask_b32_e64 v22, v25, v22, s4
	v_mov_b32_e32 v23, v29
	v_mad_u64_u32 v[29:30], null, 0x4e441529, v31, v[23:24]
	v_mov_b32_e32 v23, v30
	v_add_nc_u32_e32 v30, v33, v32
	v_cndmask_b32_e32 v32, v29, v27, vcc_lo
	v_mad_u64_u32 v[23:24], null, 0xa2f9836e, v31, v[23:24]
	v_cmp_lt_u32_e64 s5, 31, v30
	v_cndmask_b32_e64 v31, 0, 0xffffffe0, s5
	v_cndmask_b32_e32 v23, v23, v28, vcc_lo
	v_cndmask_b32_e32 v24, v24, v29, vcc_lo
	;; [unrolled: 1-line block ×3, first 2 shown]
	v_add_nc_u32_e32 v29, v31, v30
	v_cndmask_b32_e64 v27, v23, v32, s4
	v_cndmask_b32_e64 v23, v24, v23, s4
	;; [unrolled: 1-line block ×4, first 2 shown]
	v_sub_nc_u32_e32 v30, 32, v29
	v_cmp_eq_u32_e32 vcc_lo, 0, v29
	v_cndmask_b32_e64 v23, v23, v27, s5
	v_cndmask_b32_e64 v27, v27, v24, s5
	;; [unrolled: 1-line block ×4, first 2 shown]
	v_alignbit_b32 v31, v23, v27, v30
	v_alignbit_b32 v26, v27, v24, v30
	;; [unrolled: 1-line block ×3, first 2 shown]
	v_cndmask_b32_e32 v23, v31, v23, vcc_lo
	v_cndmask_b32_e32 v25, v26, v27, vcc_lo
	;; [unrolled: 1-line block ×3, first 2 shown]
	v_bfe_u32 v26, v23, 29, 1
	v_alignbit_b32 v27, v23, v25, 30
	v_alignbit_b32 v25, v25, v24, 30
	v_alignbit_b32 v22, v24, v22, 30
	v_sub_nc_u32_e32 v28, 0, v26
	v_xor_b32_e32 v27, v27, v28
	v_xor_b32_e32 v24, v25, v28
	;; [unrolled: 1-line block ×3, first 2 shown]
	v_lshrrev_b32_e32 v28, 29, v23
	v_lshrrev_b32_e32 v23, 30, v23
	v_ffbh_u32_e32 v29, v27
	v_min_u32_e32 v29, 32, v29
	v_sub_nc_u32_e32 v25, 31, v29
	v_lshlrev_b32_e32 v30, 23, v29
	v_alignbit_b32 v27, v27, v24, v25
	v_alignbit_b32 v22, v24, v22, v25
	v_lshlrev_b32_e32 v24, 31, v28
	v_alignbit_b32 v25, v27, v22, 9
	v_or_b32_e32 v28, 0.5, v24
	v_lshrrev_b32_e32 v27, 9, v27
	v_or_b32_e32 v24, 0x33000000, v24
	v_ffbh_u32_e32 v31, v25
	v_sub_nc_u32_e32 v28, v28, v30
	v_min_u32_e32 v30, 32, v31
	v_or_b32_e32 v27, v27, v28
	v_not_b32_e32 v28, v30
	v_mul_f32_e32 v31, 0x3fc90fda, v27
	v_add_lshl_u32 v29, v30, v29, 23
	v_alignbit_b32 v22, v25, v22, v28
	v_fma_f32 v25, 0x3fc90fda, v27, -v31
	v_sub_nc_u32_e32 v24, v24, v29
	v_lshrrev_b32_e32 v22, 9, v22
	v_fmamk_f32 v25, v27, 0x33a22168, v25
	v_or_b32_e32 v22, v24, v22
	v_add_nc_u32_e32 v24, v26, v23
	v_fmac_f32_e32 v25, 0x3fc90fda, v22
	v_add_f32_e32 v22, v31, v25
.LBB31_21:
	s_andn2_saveexec_b32 s4, s14
; %bb.22:
	v_mul_f32_e64 v22, 0x3f22f983, |v20|
	v_rndne_f32_e32 v23, v22
	v_fma_f32 v22, 0xbfc90fda, v23, |v20|
	v_cvt_i32_f32_e32 v24, v23
	v_fmamk_f32 v22, v23, 0xb3a22168, v22
	v_fmamk_f32 v22, v23, 0xa7c234c4, v22
; %bb.23:
	s_or_b32 exec_lo, exec_lo, s4
	v_and_b32_e32 v19, 0xffff0000, v19
                                        ; implicit-def: $vgpr26
                                        ; implicit-def: $vgpr25
	s_mov_b32 s5, exec_lo
	v_and_b32_e32 v23, 0x7fffffff, v19
	v_cmpx_ngt_f32_e64 0x48000000, |v19|
	s_xor_b32 s14, exec_lo, s5
	s_cbranch_execz .LBB31_25
; %bb.24:
	s_mov_b32 s4, 0x7fffff
	v_mov_b32_e32 v27, 0
	v_and_or_b32 v34, v23, s4, 0x800000
	v_lshrrev_b32_e32 v32, 23, v23
	v_mad_u64_u32 v[25:26], null, 0xfe5163ab, v34, 0
	v_add_nc_u32_e32 v33, 0xffffff88, v32
	v_cmp_lt_u32_e32 vcc_lo, 63, v33
	v_mad_u64_u32 v[28:29], null, 0x3c439041, v34, v[26:27]
	v_cndmask_b32_e64 v35, 0, 0xffffffc0, vcc_lo
	v_mov_b32_e32 v26, v29
	v_add_nc_u32_e32 v35, v35, v33
	v_mad_u64_u32 v[29:30], null, 0xdb629599, v34, v[26:27]
	v_cmp_lt_u32_e64 s4, 31, v35
	v_cndmask_b32_e64 v36, 0, 0xffffffe0, s4
	v_mov_b32_e32 v26, v30
	v_cndmask_b32_e32 v25, v29, v25, vcc_lo
	v_mad_u64_u32 v[30:31], null, 0xf534ddc0, v34, v[26:27]
	v_mov_b32_e32 v26, v31
	v_cndmask_b32_e32 v28, v30, v28, vcc_lo
	v_mad_u64_u32 v[31:32], null, 0xfc2757d1, v34, v[26:27]
	v_cndmask_b32_e64 v25, v28, v25, s4
	v_mov_b32_e32 v26, v32
	v_mad_u64_u32 v[32:33], null, 0x4e441529, v34, v[26:27]
	v_mov_b32_e32 v26, v33
	v_add_nc_u32_e32 v33, v36, v35
	v_cndmask_b32_e32 v35, v32, v30, vcc_lo
	v_mad_u64_u32 v[26:27], null, 0xa2f9836e, v34, v[26:27]
	v_cmp_lt_u32_e64 s5, 31, v33
	v_cndmask_b32_e64 v34, 0, 0xffffffe0, s5
	v_cndmask_b32_e32 v26, v26, v31, vcc_lo
	v_cndmask_b32_e32 v27, v27, v32, vcc_lo
	;; [unrolled: 1-line block ×3, first 2 shown]
	v_add_nc_u32_e32 v32, v34, v33
	v_cndmask_b32_e64 v30, v26, v35, s4
	v_cndmask_b32_e64 v26, v27, v26, s4
	;; [unrolled: 1-line block ×4, first 2 shown]
	v_sub_nc_u32_e32 v33, 32, v32
	v_cmp_eq_u32_e32 vcc_lo, 0, v32
	v_cndmask_b32_e64 v26, v26, v30, s5
	v_cndmask_b32_e64 v30, v30, v27, s5
	;; [unrolled: 1-line block ×4, first 2 shown]
	v_alignbit_b32 v34, v26, v30, v33
	v_alignbit_b32 v29, v30, v27, v33
	;; [unrolled: 1-line block ×3, first 2 shown]
	v_cndmask_b32_e32 v26, v34, v26, vcc_lo
	v_cndmask_b32_e32 v28, v29, v30, vcc_lo
	;; [unrolled: 1-line block ×3, first 2 shown]
	v_bfe_u32 v29, v26, 29, 1
	v_alignbit_b32 v30, v26, v28, 30
	v_alignbit_b32 v28, v28, v27, 30
	;; [unrolled: 1-line block ×3, first 2 shown]
	v_sub_nc_u32_e32 v31, 0, v29
	v_xor_b32_e32 v30, v30, v31
	v_xor_b32_e32 v27, v28, v31
	v_xor_b32_e32 v25, v25, v31
	v_lshrrev_b32_e32 v31, 29, v26
	v_lshrrev_b32_e32 v26, 30, v26
	v_ffbh_u32_e32 v32, v30
	v_add_nc_u32_e32 v26, v29, v26
	v_min_u32_e32 v32, 32, v32
	v_sub_nc_u32_e32 v28, 31, v32
	v_lshlrev_b32_e32 v33, 23, v32
	v_alignbit_b32 v30, v30, v27, v28
	v_alignbit_b32 v25, v27, v25, v28
	v_lshlrev_b32_e32 v27, 31, v31
	v_alignbit_b32 v28, v30, v25, 9
	v_or_b32_e32 v31, 0.5, v27
	v_lshrrev_b32_e32 v30, 9, v30
	v_or_b32_e32 v27, 0x33000000, v27
	v_ffbh_u32_e32 v34, v28
	v_sub_nc_u32_e32 v31, v31, v33
	v_min_u32_e32 v33, 32, v34
	v_or_b32_e32 v30, v30, v31
	v_not_b32_e32 v31, v33
	v_mul_f32_e32 v34, 0x3fc90fda, v30
	v_add_lshl_u32 v32, v33, v32, 23
	v_alignbit_b32 v25, v28, v25, v31
	v_fma_f32 v28, 0x3fc90fda, v30, -v34
	v_sub_nc_u32_e32 v27, v27, v32
	v_lshrrev_b32_e32 v25, 9, v25
	v_fmamk_f32 v28, v30, 0x33a22168, v28
	v_or_b32_e32 v25, v27, v25
	v_fmac_f32_e32 v28, 0x3fc90fda, v25
	v_add_f32_e32 v25, v34, v28
.LBB31_25:
	s_andn2_saveexec_b32 s4, s14
; %bb.26:
	v_mul_f32_e64 v25, 0x3f22f983, |v19|
	v_rndne_f32_e32 v26, v25
	v_fma_f32 v25, 0xbfc90fda, v26, |v19|
	v_fmamk_f32 v25, v26, 0xb3a22168, v25
	v_fmamk_f32 v25, v26, 0xa7c234c4, v25
	v_cvt_i32_f32_e32 v26, v26
; %bb.27:
	s_or_b32 exec_lo, exec_lo, s4
	s_waitcnt vmcnt(0)
	v_lshlrev_b32_e32 v28, 16, v11
                                        ; implicit-def: $vgpr33
                                        ; implicit-def: $vgpr32
	s_mov_b32 s5, exec_lo
	v_and_b32_e32 v29, 0x7fffffff, v28
	v_cmpx_ngt_f32_e64 0x48000000, |v28|
	s_xor_b32 s14, exec_lo, s5
	s_cbranch_execz .LBB31_29
; %bb.28:
	s_mov_b32 s4, 0x7fffff
	v_mov_b32_e32 v32, 0
	v_and_or_b32 v27, v29, s4, 0x800000
	v_lshrrev_b32_e32 v37, 23, v29
	v_mad_u64_u32 v[30:31], null, 0xfe5163ab, v27, 0
	v_add_nc_u32_e32 v38, 0xffffff88, v37
	v_cmp_lt_u32_e32 vcc_lo, 63, v38
	v_mad_u64_u32 v[33:34], null, 0x3c439041, v27, v[31:32]
	v_cndmask_b32_e64 v39, 0, 0xffffffc0, vcc_lo
	v_mov_b32_e32 v31, v34
	v_add_nc_u32_e32 v39, v39, v38
	v_mad_u64_u32 v[34:35], null, 0xdb629599, v27, v[31:32]
	v_cmp_lt_u32_e64 s4, 31, v39
	v_cndmask_b32_e64 v40, 0, 0xffffffe0, s4
	v_mov_b32_e32 v31, v35
	v_cndmask_b32_e32 v30, v34, v30, vcc_lo
	v_mad_u64_u32 v[35:36], null, 0xf534ddc0, v27, v[31:32]
	v_mov_b32_e32 v31, v36
	v_cndmask_b32_e32 v33, v35, v33, vcc_lo
	v_mad_u64_u32 v[36:37], null, 0xfc2757d1, v27, v[31:32]
	v_cndmask_b32_e64 v30, v33, v30, s4
	v_mov_b32_e32 v31, v37
	v_mad_u64_u32 v[37:38], null, 0x4e441529, v27, v[31:32]
	v_mov_b32_e32 v31, v38
	v_add_nc_u32_e32 v38, v40, v39
	v_cndmask_b32_e32 v39, v37, v35, vcc_lo
	v_mad_u64_u32 v[31:32], null, 0xa2f9836e, v27, v[31:32]
	v_cmp_lt_u32_e64 s5, 31, v38
	v_cndmask_b32_e64 v27, 0, 0xffffffe0, s5
	v_cndmask_b32_e32 v31, v31, v36, vcc_lo
	v_cndmask_b32_e32 v32, v32, v37, vcc_lo
	;; [unrolled: 1-line block ×3, first 2 shown]
	v_add_nc_u32_e32 v27, v27, v38
	v_cndmask_b32_e64 v35, v31, v39, s4
	v_cndmask_b32_e64 v31, v32, v31, s4
	;; [unrolled: 1-line block ×4, first 2 shown]
	v_sub_nc_u32_e32 v37, 32, v27
	v_cmp_eq_u32_e32 vcc_lo, 0, v27
	v_cndmask_b32_e64 v31, v31, v35, s5
	v_cndmask_b32_e64 v35, v35, v32, s5
	v_cndmask_b32_e64 v32, v32, v36, s5
	v_cndmask_b32_e64 v30, v36, v30, s5
	v_alignbit_b32 v38, v31, v35, v37
	v_alignbit_b32 v34, v35, v32, v37
	;; [unrolled: 1-line block ×3, first 2 shown]
	v_cndmask_b32_e32 v27, v38, v31, vcc_lo
	v_cndmask_b32_e32 v31, v34, v35, vcc_lo
	v_cndmask_b32_e32 v32, v36, v32, vcc_lo
	v_bfe_u32 v33, v27, 29, 1
	v_alignbit_b32 v34, v27, v31, 30
	v_alignbit_b32 v31, v31, v32, 30
	v_alignbit_b32 v30, v32, v30, 30
	v_sub_nc_u32_e32 v35, 0, v33
	v_xor_b32_e32 v34, v34, v35
	v_xor_b32_e32 v31, v31, v35
	;; [unrolled: 1-line block ×3, first 2 shown]
	v_lshrrev_b32_e32 v35, 29, v27
	v_lshrrev_b32_e32 v27, 30, v27
	v_ffbh_u32_e32 v36, v34
	v_add_nc_u32_e32 v33, v33, v27
	v_min_u32_e32 v36, 32, v36
	v_sub_nc_u32_e32 v32, 31, v36
	v_lshlrev_b32_e32 v37, 23, v36
	v_alignbit_b32 v34, v34, v31, v32
	v_alignbit_b32 v30, v31, v30, v32
	v_lshlrev_b32_e32 v31, 31, v35
	v_alignbit_b32 v32, v34, v30, 9
	v_or_b32_e32 v35, 0.5, v31
	v_lshrrev_b32_e32 v34, 9, v34
	v_or_b32_e32 v31, 0x33000000, v31
	v_ffbh_u32_e32 v38, v32
	v_sub_nc_u32_e32 v35, v35, v37
	v_min_u32_e32 v37, 32, v38
	v_or_b32_e32 v34, v34, v35
	v_not_b32_e32 v35, v37
	v_mul_f32_e32 v38, 0x3fc90fda, v34
	v_add_lshl_u32 v36, v37, v36, 23
	v_alignbit_b32 v30, v32, v30, v35
	v_fma_f32 v32, 0x3fc90fda, v34, -v38
	v_sub_nc_u32_e32 v31, v31, v36
	v_lshrrev_b32_e32 v30, 9, v30
	v_fmamk_f32 v32, v34, 0x33a22168, v32
	v_or_b32_e32 v30, v31, v30
	v_fmac_f32_e32 v32, 0x3fc90fda, v30
	v_add_f32_e32 v32, v38, v32
.LBB31_29:
	s_andn2_saveexec_b32 s4, s14
; %bb.30:
	v_mul_f32_e64 v27, 0x3f22f983, |v28|
	v_rndne_f32_e32 v27, v27
	v_fma_f32 v30, 0xbfc90fda, v27, |v28|
	v_cvt_i32_f32_e32 v33, v27
	v_fmamk_f32 v30, v27, 0xb3a22168, v30
	v_fmamk_f32 v32, v27, 0xa7c234c4, v30
; %bb.31:
	s_or_b32 exec_lo, exec_lo, s4
	v_and_b32_e32 v11, 0xffff0000, v11
                                        ; implicit-def: $vgpr31
                                        ; implicit-def: $vgpr30
	s_mov_b32 s5, exec_lo
	v_and_b32_e32 v27, 0x7fffffff, v11
	v_cmpx_ngt_f32_e64 0x48000000, |v11|
	s_xor_b32 s14, exec_lo, s5
	s_cbranch_execz .LBB31_33
; %bb.32:
	s_mov_b32 s4, 0x7fffff
	v_mov_b32_e32 v35, 0
	v_and_or_b32 v42, v27, s4, 0x800000
	v_mad_u64_u32 v[30:31], null, 0xfe5163ab, v42, 0
	v_mov_b32_e32 v34, v31
	v_lshrrev_b32_e32 v31, 23, v27
	v_mad_u64_u32 v[36:37], null, 0x3c439041, v42, v[34:35]
	v_add_nc_u32_e32 v31, 0xffffff88, v31
	v_cmp_lt_u32_e32 vcc_lo, 63, v31
	v_mov_b32_e32 v34, v37
	v_cndmask_b32_e64 v41, 0, 0xffffffc0, vcc_lo
	v_mad_u64_u32 v[37:38], null, 0xdb629599, v42, v[34:35]
	v_add_nc_u32_e32 v31, v41, v31
	v_mov_b32_e32 v34, v38
	v_cmp_lt_u32_e64 s4, 31, v31
	v_cndmask_b32_e32 v30, v37, v30, vcc_lo
	v_mad_u64_u32 v[38:39], null, 0xf534ddc0, v42, v[34:35]
	v_cndmask_b32_e64 v43, 0, 0xffffffe0, s4
	v_add_nc_u32_e32 v31, v43, v31
	v_mov_b32_e32 v34, v39
	v_cndmask_b32_e32 v36, v38, v36, vcc_lo
	v_cmp_lt_u32_e64 s5, 31, v31
	v_mad_u64_u32 v[39:40], null, 0xfc2757d1, v42, v[34:35]
	v_cndmask_b32_e64 v30, v36, v30, s4
	v_mov_b32_e32 v34, v40
	v_mad_u64_u32 v[40:41], null, 0x4e441529, v42, v[34:35]
	v_mov_b32_e32 v34, v41
	v_cndmask_b32_e64 v41, 0, 0xffffffe0, s5
	v_mad_u64_u32 v[34:35], null, 0xa2f9836e, v42, v[34:35]
	v_cndmask_b32_e32 v42, v40, v38, vcc_lo
	v_add_nc_u32_e32 v31, v41, v31
	v_cndmask_b32_e32 v34, v34, v39, vcc_lo
	v_cndmask_b32_e32 v35, v35, v40, vcc_lo
	;; [unrolled: 1-line block ×3, first 2 shown]
	v_sub_nc_u32_e32 v40, 32, v31
	v_cmp_eq_u32_e32 vcc_lo, 0, v31
	v_cndmask_b32_e64 v38, v34, v42, s4
	v_cndmask_b32_e64 v34, v35, v34, s4
	;; [unrolled: 1-line block ×8, first 2 shown]
	v_alignbit_b32 v41, v34, v38, v40
	v_alignbit_b32 v37, v38, v35, v40
	;; [unrolled: 1-line block ×3, first 2 shown]
	v_cndmask_b32_e32 v31, v41, v34, vcc_lo
	v_cndmask_b32_e32 v34, v37, v38, vcc_lo
	;; [unrolled: 1-line block ×3, first 2 shown]
	v_bfe_u32 v36, v31, 29, 1
	v_alignbit_b32 v37, v31, v34, 30
	v_alignbit_b32 v34, v34, v35, 30
	;; [unrolled: 1-line block ×3, first 2 shown]
	v_sub_nc_u32_e32 v38, 0, v36
	v_xor_b32_e32 v37, v37, v38
	v_xor_b32_e32 v34, v34, v38
	;; [unrolled: 1-line block ×3, first 2 shown]
	v_lshrrev_b32_e32 v38, 29, v31
	v_lshrrev_b32_e32 v31, 30, v31
	v_ffbh_u32_e32 v39, v37
	v_add_nc_u32_e32 v31, v36, v31
	v_min_u32_e32 v39, 32, v39
	v_sub_nc_u32_e32 v35, 31, v39
	v_lshlrev_b32_e32 v40, 23, v39
	v_alignbit_b32 v37, v37, v34, v35
	v_alignbit_b32 v30, v34, v30, v35
	v_lshlrev_b32_e32 v34, 31, v38
	v_alignbit_b32 v35, v37, v30, 9
	v_or_b32_e32 v38, 0.5, v34
	v_lshrrev_b32_e32 v37, 9, v37
	v_or_b32_e32 v34, 0x33000000, v34
	v_ffbh_u32_e32 v41, v35
	v_sub_nc_u32_e32 v38, v38, v40
	v_min_u32_e32 v40, 32, v41
	v_or_b32_e32 v37, v37, v38
	v_not_b32_e32 v38, v40
	v_mul_f32_e32 v41, 0x3fc90fda, v37
	v_add_lshl_u32 v39, v40, v39, 23
	v_alignbit_b32 v30, v35, v30, v38
	v_fma_f32 v35, 0x3fc90fda, v37, -v41
	v_sub_nc_u32_e32 v34, v34, v39
	v_lshrrev_b32_e32 v30, 9, v30
	v_fmamk_f32 v35, v37, 0x33a22168, v35
	v_or_b32_e32 v30, v34, v30
	v_fmac_f32_e32 v35, 0x3fc90fda, v30
	v_add_f32_e32 v30, v41, v35
.LBB31_33:
	s_andn2_saveexec_b32 s4, s14
; %bb.34:
	v_mul_f32_e64 v30, 0x3f22f983, |v11|
	v_rndne_f32_e32 v31, v30
	v_fma_f32 v30, 0xbfc90fda, v31, |v11|
	v_fmamk_f32 v30, v31, 0xb3a22168, v30
	v_fmamk_f32 v30, v31, 0xa7c234c4, v30
	v_cvt_i32_f32_e32 v31, v31
; %bb.35:
	s_or_b32 exec_lo, exec_lo, s4
	v_mul_f32_e32 v34, v32, v32
	s_mov_b32 s5, 0xb94c1982
	s_mov_b32 s4, 0x37d75334
	v_lshlrev_b32_e32 v35, 30, v33
	v_and_b32_e32 v33, 1, v33
	v_fmaak_f32 v36, s5, v34, 0x3c0881c4
	v_fmaak_f32 v37, s4, v34, 0xbab64f3b
	v_mul_f32_e32 v39, v22, v22
	v_and_b32_e32 v35, 0x80000000, v35
	v_cmp_eq_u32_e32 vcc_lo, 0, v33
	v_fmaak_f32 v36, v34, v36, 0xbe2aaa9d
	v_fmaak_f32 v37, v34, v37, 0x3d2aabf7
	;; [unrolled: 1-line block ×4, first 2 shown]
	v_xor_b32_e32 v29, v29, v35
	v_mul_f32_e32 v36, v34, v36
	v_fmaak_f32 v37, v34, v37, 0xbf000004
	v_lshlrev_b32_e32 v38, 30, v24
	v_and_b32_e32 v24, 1, v24
	v_mul_f32_e32 v40, v25, v25
	v_fmac_f32_e32 v32, v32, v36
	v_fma_f32 v34, v34, v37, 1.0
	v_fmaak_f32 v36, v39, v41, 0xbe2aaa9d
	v_fmaak_f32 v37, v39, v42, 0x3d2aabf7
	v_and_b32_e32 v38, 0x80000000, v38
	v_fmaak_f32 v35, s5, v40, 0x3c0881c4
	v_cndmask_b32_e32 v32, v34, v32, vcc_lo
	v_mul_f32_e32 v33, v39, v36
	v_fmaak_f32 v34, v39, v37, 0xbf000004
	v_cmp_class_f32_e64 vcc_lo, v28, 0x1f8
	v_fmaak_f32 v36, s4, v40, 0xbab64f3b
	v_xor3_b32 v29, v29, v32, v28
	v_fmac_f32_e32 v22, v22, v33
	v_fma_f32 v32, v39, v34, 1.0
	v_xor_b32_e32 v21, v21, v38
	s_add_u32 s12, s8, s12
	v_cndmask_b32_e32 v28, 0x7fc00000, v29, vcc_lo
	v_cmp_eq_u32_e32 vcc_lo, 0, v24
	v_fmaak_f32 v24, v40, v35, 0xbe2aaa9d
	v_fmaak_f32 v29, v40, v36, 0x3d2aabf7
	s_addc_u32 s13, s9, s13
	v_cndmask_b32_e32 v22, v32, v22, vcc_lo
	v_cmp_class_f32_e64 vcc_lo, v20, 0x1f8
	v_mul_f32_e32 v24, v40, v24
	v_fmaak_f32 v29, v40, v29, 0xbf000004
	v_bfe_u32 v32, v28, 16, 1
	v_xor3_b32 v21, v21, v22, v20
	v_lshlrev_b32_e32 v22, 30, v26
	v_fmac_f32_e32 v25, v25, v24
	v_fma_f32 v24, v40, v29, 1.0
	v_add3_u32 v29, v28, v32, 0x7fff
	v_cndmask_b32_e32 v20, 0x7fc00000, v21, vcc_lo
	v_and_b32_e32 v21, 1, v26
	v_and_b32_e32 v22, 0x80000000, v22
	v_bfe_u32 v26, v20, 16, 1
	v_cmp_eq_u32_e32 vcc_lo, 0, v21
	v_xor_b32_e32 v22, v23, v22
	v_add3_u32 v23, v20, v26, 0x7fff
	v_cndmask_b32_e32 v21, v24, v25, vcc_lo
	v_mul_f32_e32 v24, v14, v14
	v_cmp_class_f32_e64 vcc_lo, v19, 0x1f8
	v_lshrrev_b32_e32 v25, 16, v29
	v_lshlrev_b32_e32 v29, 30, v15
	v_xor3_b32 v21, v22, v21, v19
	v_lshrrev_b32_e32 v22, 16, v23
	v_fmaak_f32 v23, s5, v24, 0x3c0881c4
	v_fmaak_f32 v26, s4, v24, 0xbab64f3b
	v_and_b32_e32 v15, 1, v15
	v_cndmask_b32_e32 v19, 0x7fc00000, v21, vcc_lo
	v_cmp_o_f32_e32 vcc_lo, v20, v20
	v_fmaak_f32 v21, v24, v23, 0xbe2aaa9d
	v_mul_f32_e32 v23, v17, v17
	v_and_b32_e32 v29, 0x80000000, v29
	v_cndmask_b32_e32 v20, 0x7fc0, v22, vcc_lo
	v_fmaak_f32 v22, v24, v26, 0x3d2aabf7
	v_mul_f32_e32 v21, v24, v21
	v_fmaak_f32 v32, s5, v23, 0x3c0881c4
	v_fmaak_f32 v33, s4, v23, 0xbab64f3b
	v_cmp_eq_u32_e32 vcc_lo, 0, v15
	v_fmaak_f32 v22, v24, v22, 0xbf000004
	v_fmac_f32_e32 v14, v14, v21
	v_xor_b32_e32 v12, v12, v29
	v_bfe_u32 v26, v19, 16, 1
	v_fma_f32 v21, v24, v22, 1.0
	v_fmaak_f32 v22, v23, v32, 0xbe2aaa9d
	v_fmaak_f32 v24, v23, v33, 0x3d2aabf7
	v_cndmask_b32_e32 v14, v21, v14, vcc_lo
	v_mul_f32_e32 v15, v23, v22
	v_fmaak_f32 v21, v23, v24, 0xbf000004
	v_lshlrev_b32_e32 v22, 30, v18
	v_and_b32_e32 v18, 1, v18
	v_xor3_b32 v12, v12, v14, v10
	v_fmac_f32_e32 v17, v17, v15
	v_fma_f32 v15, v23, v21, 1.0
	v_and_b32_e32 v21, 0x80000000, v22
	v_cmp_eq_u32_e32 vcc_lo, 0, v18
	v_add3_u32 v22, v19, v26, 0x7fff
	v_cndmask_b32_e32 v14, v15, v17, vcc_lo
	v_xor_b32_e32 v15, v16, v21
	v_mul_f32_e32 v16, v6, v6
	v_cmp_class_f32_e64 vcc_lo, v10, 0x1f8
	v_mul_f32_e32 v21, v8, v8
	v_xor3_b32 v14, v15, v14, v13
	v_fmaak_f32 v15, s5, v16, 0x3c0881c4
	v_cndmask_b32_e32 v10, 0x7fc00000, v12, vcc_lo
	v_fmaak_f32 v17, s4, v16, 0xbab64f3b
	v_cmp_class_f32_e64 vcc_lo, v13, 0x1f8
	v_and_b32_e32 v12, 0xffff0000, v22
	v_bfe_u32 v18, v10, 16, 1
	v_cndmask_b32_e32 v13, 0x7fc00000, v14, vcc_lo
	v_fmaak_f32 v14, v16, v15, 0xbe2aaa9d
	v_fmaak_f32 v15, v16, v17, 0x3d2aabf7
	v_cmp_o_f32_e32 vcc_lo, v19, v19
	v_lshlrev_b32_e32 v19, 30, v7
	v_and_b32_e32 v7, 1, v7
	v_mul_f32_e32 v14, v16, v14
	v_fmaak_f32 v15, v16, v15, 0xbf000004
	v_cndmask_b32_e32 v12, 0x7fc00000, v12, vcc_lo
	v_add3_u32 v17, v10, v18, 0x7fff
	v_cmp_eq_u32_e32 vcc_lo, 0, v7
	v_fmac_f32_e32 v6, v6, v14
	v_fma_f32 v14, v16, v15, 1.0
	v_and_b32_e32 v15, 0x80000000, v19
	v_fmaak_f32 v16, s5, v21, 0x3c0881c4
	v_fmaak_f32 v19, s4, v21, 0xbab64f3b
	v_bfe_u32 v18, v13, 16, 1
	v_cndmask_b32_e32 v6, v14, v6, vcc_lo
	v_xor_b32_e32 v5, v5, v15
	v_fmaak_f32 v14, v21, v16, 0xbe2aaa9d
	v_fmaak_f32 v15, v21, v19, 0x3d2aabf7
	v_lshrrev_b32_e32 v7, 16, v17
	v_lshlrev_b32_e32 v17, 30, v9
	v_xor3_b32 v5, v5, v6, v4
	v_mul_f32_e32 v6, v30, v30
	v_mul_f32_e32 v14, v21, v14
	v_fmaak_f32 v15, v21, v15, 0xbf000004
	v_and_b32_e32 v9, 1, v9
	v_add3_u32 v16, v13, v18, 0x7fff
	v_fmaak_f32 v18, s5, v6, 0x3c0881c4
	v_fmac_f32_e32 v8, v8, v14
	v_fma_f32 v14, v21, v15, 1.0
	v_fmaak_f32 v15, s4, v6, 0xbab64f3b
	v_and_b32_e32 v17, 0x80000000, v17
	v_cmp_eq_u32_e32 vcc_lo, 0, v9
	v_fmaak_f32 v18, v6, v18, 0xbe2aaa9d
	v_fmaak_f32 v9, v6, v15, 0x3d2aabf7
	v_xor_b32_e32 v2, v2, v17
	v_cndmask_b32_e32 v8, v14, v8, vcc_lo
	v_cmp_class_f32_e64 vcc_lo, v4, 0x1f8
	v_mul_f32_e32 v14, v6, v18
	v_xor3_b32 v2, v2, v8, v1
	v_cndmask_b32_e32 v4, 0x7fc00000, v5, vcc_lo
	v_fmaak_f32 v5, v6, v9, 0xbf000004
	v_lshlrev_b32_e32 v9, 30, v31
	v_and_b32_e32 v8, 1, v31
	v_cmp_class_f32_e64 vcc_lo, v1, 0x1f8
	v_fmac_f32_e32 v30, v30, v14
	v_fma_f32 v5, v6, v5, 1.0
	v_and_b32_e32 v6, 0x80000000, v9
	v_cndmask_b32_e32 v1, 0x7fc00000, v2, vcc_lo
	v_cmp_eq_u32_e32 vcc_lo, 0, v8
	v_bfe_u32 v8, v1, 16, 1
	v_cndmask_b32_e32 v2, v5, v30, vcc_lo
	v_xor_b32_e32 v5, v27, v6
	v_cmp_o_f32_e32 vcc_lo, v10, v10
	v_bfe_u32 v6, v4, 16, 1
	v_add3_u32 v8, v1, v8, 0x7fff
	v_xor3_b32 v2, v5, v2, v11
	v_cndmask_b32_e32 v7, 0x7fc0, v7, vcc_lo
	v_cmp_class_f32_e64 vcc_lo, v11, 0x1f8
	v_add3_u32 v5, v4, v6, 0x7fff
	v_and_b32_e32 v6, 0xffff0000, v16
	v_and_b32_e32 v8, 0xffff0000, v8
	v_cndmask_b32_e32 v2, 0x7fc00000, v2, vcc_lo
	v_cmp_o_f32_e32 vcc_lo, v13, v13
	v_lshrrev_b32_e32 v5, 16, v5
	v_bfe_u32 v9, v2, 16, 1
	v_cndmask_b32_e32 v6, 0x7fc00000, v6, vcc_lo
	v_cmp_o_f32_e32 vcc_lo, v4, v4
	v_or_b32_e32 v6, v6, v7
	v_cndmask_b32_e32 v4, 0x7fc0, v5, vcc_lo
	v_cmp_o_f32_e32 vcc_lo, v1, v1
	v_add3_u32 v5, v2, v9, 0x7fff
	v_or_b32_e32 v9, v12, v20
	v_cndmask_b32_e32 v1, 0x7fc00000, v8, vcc_lo
	v_cmp_o_f32_e32 vcc_lo, v28, v28
	v_or_b32_e32 v4, v1, v4
	v_cndmask_b32_e32 v8, 0x7fc0, v25, vcc_lo
	v_and_b32_e32 v1, 0xffff0000, v5
	v_cmp_o_f32_e32 vcc_lo, v2, v2
	v_add_co_u32 v5, s4, s12, v3
	v_add_co_ci_u32_e64 v7, null, s13, 0, s4
	v_cndmask_b32_e32 v10, 0x7fc00000, v1, vcc_lo
	v_add_co_u32 v1, vcc_lo, 0x800, v5
	v_add_co_ci_u32_e64 v2, null, 0, v7, vcc_lo
	v_or_b32_e32 v5, v10, v8
	global_store_dword v3, v4, s[12:13]
	global_store_dword v3, v6, s[12:13] offset:1024
	global_store_dword v[1:2], v9, off
	global_store_dword v[1:2], v5, off offset:1024
	s_branch .LBB31_2
.LBB31_36:
	v_mov_b32_e32 v31, v0
	v_mov_b32_e32 v0, s8
	;; [unrolled: 1-line block ×6, first 2 shown]
	s_getpc_b64 s[4:5]
	s_add_u32 s4, s4, _ZN2at6native25elementwise_kernel_helperILb0EZZZNS0_15sin_kernel_cudaERNS_18TensorIteratorBaseEENKUlvE0_clEvENKUlvE2_clEvEUlN3c108BFloat16EE_NS0_6memory8policies11unroll_baseILi256ESt5arrayIPcLm2EE23TrivialOffsetCalculatorILi1EjESG_NS9_15LoadWithoutCastENS9_16StoreWithoutCastELi8ELi1EEEEEvT0_T1_@rel32@lo+4
	s_addc_u32 s5, s5, _ZN2at6native25elementwise_kernel_helperILb0EZZZNS0_15sin_kernel_cudaERNS_18TensorIteratorBaseEENKUlvE0_clEvENKUlvE2_clEvEUlN3c108BFloat16EE_NS0_6memory8policies11unroll_baseILi256ESt5arrayIPcLm2EE23TrivialOffsetCalculatorILi1EjESG_NS9_15LoadWithoutCastENS9_16StoreWithoutCastELi8ELi1EEEEEvT0_T1_@rel32@hi+12
	s_mov_b32 s12, s6
	s_swappc_b64 s[30:31], s[4:5]
	s_endpgm
	.section	.rodata,"a",@progbits
	.p2align	6, 0x0
	.amdhsa_kernel _ZN2at6native29vectorized_elementwise_kernelILi2EZZZNS0_15sin_kernel_cudaERNS_18TensorIteratorBaseEENKUlvE0_clEvENKUlvE2_clEvEUlN3c108BFloat16EE_St5arrayIPcLm2EEEEviT0_T1_
		.amdhsa_group_segment_fixed_size 0
		.amdhsa_private_segment_fixed_size 0
		.amdhsa_kernarg_size 24
		.amdhsa_user_sgpr_count 6
		.amdhsa_user_sgpr_private_segment_buffer 1
		.amdhsa_user_sgpr_dispatch_ptr 0
		.amdhsa_user_sgpr_queue_ptr 0
		.amdhsa_user_sgpr_kernarg_segment_ptr 1
		.amdhsa_user_sgpr_dispatch_id 0
		.amdhsa_user_sgpr_flat_scratch_init 0
		.amdhsa_user_sgpr_private_segment_size 0
		.amdhsa_wavefront_size32 1
		.amdhsa_uses_dynamic_stack 0
		.amdhsa_system_sgpr_private_segment_wavefront_offset 0
		.amdhsa_system_sgpr_workgroup_id_x 1
		.amdhsa_system_sgpr_workgroup_id_y 0
		.amdhsa_system_sgpr_workgroup_id_z 0
		.amdhsa_system_sgpr_workgroup_info 0
		.amdhsa_system_vgpr_workitem_id 0
		.amdhsa_next_free_vgpr 44
		.amdhsa_next_free_sgpr 33
		.amdhsa_reserve_vcc 1
		.amdhsa_reserve_flat_scratch 0
		.amdhsa_float_round_mode_32 0
		.amdhsa_float_round_mode_16_64 0
		.amdhsa_float_denorm_mode_32 3
		.amdhsa_float_denorm_mode_16_64 3
		.amdhsa_dx10_clamp 1
		.amdhsa_ieee_mode 1
		.amdhsa_fp16_overflow 0
		.amdhsa_workgroup_processor_mode 1
		.amdhsa_memory_ordered 1
		.amdhsa_forward_progress 1
		.amdhsa_shared_vgpr_count 0
		.amdhsa_exception_fp_ieee_invalid_op 0
		.amdhsa_exception_fp_denorm_src 0
		.amdhsa_exception_fp_ieee_div_zero 0
		.amdhsa_exception_fp_ieee_overflow 0
		.amdhsa_exception_fp_ieee_underflow 0
		.amdhsa_exception_fp_ieee_inexact 0
		.amdhsa_exception_int_div_zero 0
	.end_amdhsa_kernel
	.section	.text._ZN2at6native29vectorized_elementwise_kernelILi2EZZZNS0_15sin_kernel_cudaERNS_18TensorIteratorBaseEENKUlvE0_clEvENKUlvE2_clEvEUlN3c108BFloat16EE_St5arrayIPcLm2EEEEviT0_T1_,"axG",@progbits,_ZN2at6native29vectorized_elementwise_kernelILi2EZZZNS0_15sin_kernel_cudaERNS_18TensorIteratorBaseEENKUlvE0_clEvENKUlvE2_clEvEUlN3c108BFloat16EE_St5arrayIPcLm2EEEEviT0_T1_,comdat
.Lfunc_end31:
	.size	_ZN2at6native29vectorized_elementwise_kernelILi2EZZZNS0_15sin_kernel_cudaERNS_18TensorIteratorBaseEENKUlvE0_clEvENKUlvE2_clEvEUlN3c108BFloat16EE_St5arrayIPcLm2EEEEviT0_T1_, .Lfunc_end31-_ZN2at6native29vectorized_elementwise_kernelILi2EZZZNS0_15sin_kernel_cudaERNS_18TensorIteratorBaseEENKUlvE0_clEvENKUlvE2_clEvEUlN3c108BFloat16EE_St5arrayIPcLm2EEEEviT0_T1_
                                        ; -- End function
	.set _ZN2at6native29vectorized_elementwise_kernelILi2EZZZNS0_15sin_kernel_cudaERNS_18TensorIteratorBaseEENKUlvE0_clEvENKUlvE2_clEvEUlN3c108BFloat16EE_St5arrayIPcLm2EEEEviT0_T1_.num_vgpr, max(44, .L_ZN2at6native25elementwise_kernel_helperILb0EZZZNS0_15sin_kernel_cudaERNS_18TensorIteratorBaseEENKUlvE0_clEvENKUlvE2_clEvEUlN3c108BFloat16EE_NS0_6memory8policies11unroll_baseILi256ESt5arrayIPcLm2EE23TrivialOffsetCalculatorILi1EjESG_NS9_15LoadWithoutCastENS9_16StoreWithoutCastELi8ELi1EEEEEvT0_T1_.num_vgpr)
	.set _ZN2at6native29vectorized_elementwise_kernelILi2EZZZNS0_15sin_kernel_cudaERNS_18TensorIteratorBaseEENKUlvE0_clEvENKUlvE2_clEvEUlN3c108BFloat16EE_St5arrayIPcLm2EEEEviT0_T1_.num_agpr, max(0, .L_ZN2at6native25elementwise_kernel_helperILb0EZZZNS0_15sin_kernel_cudaERNS_18TensorIteratorBaseEENKUlvE0_clEvENKUlvE2_clEvEUlN3c108BFloat16EE_NS0_6memory8policies11unroll_baseILi256ESt5arrayIPcLm2EE23TrivialOffsetCalculatorILi1EjESG_NS9_15LoadWithoutCastENS9_16StoreWithoutCastELi8ELi1EEEEEvT0_T1_.num_agpr)
	.set _ZN2at6native29vectorized_elementwise_kernelILi2EZZZNS0_15sin_kernel_cudaERNS_18TensorIteratorBaseEENKUlvE0_clEvENKUlvE2_clEvEUlN3c108BFloat16EE_St5arrayIPcLm2EEEEviT0_T1_.numbered_sgpr, max(33, .L_ZN2at6native25elementwise_kernel_helperILb0EZZZNS0_15sin_kernel_cudaERNS_18TensorIteratorBaseEENKUlvE0_clEvENKUlvE2_clEvEUlN3c108BFloat16EE_NS0_6memory8policies11unroll_baseILi256ESt5arrayIPcLm2EE23TrivialOffsetCalculatorILi1EjESG_NS9_15LoadWithoutCastENS9_16StoreWithoutCastELi8ELi1EEEEEvT0_T1_.numbered_sgpr)
	.set _ZN2at6native29vectorized_elementwise_kernelILi2EZZZNS0_15sin_kernel_cudaERNS_18TensorIteratorBaseEENKUlvE0_clEvENKUlvE2_clEvEUlN3c108BFloat16EE_St5arrayIPcLm2EEEEviT0_T1_.num_named_barrier, max(0, .L_ZN2at6native25elementwise_kernel_helperILb0EZZZNS0_15sin_kernel_cudaERNS_18TensorIteratorBaseEENKUlvE0_clEvENKUlvE2_clEvEUlN3c108BFloat16EE_NS0_6memory8policies11unroll_baseILi256ESt5arrayIPcLm2EE23TrivialOffsetCalculatorILi1EjESG_NS9_15LoadWithoutCastENS9_16StoreWithoutCastELi8ELi1EEEEEvT0_T1_.num_named_barrier)
	.set _ZN2at6native29vectorized_elementwise_kernelILi2EZZZNS0_15sin_kernel_cudaERNS_18TensorIteratorBaseEENKUlvE0_clEvENKUlvE2_clEvEUlN3c108BFloat16EE_St5arrayIPcLm2EEEEviT0_T1_.private_seg_size, 0+max(.L_ZN2at6native25elementwise_kernel_helperILb0EZZZNS0_15sin_kernel_cudaERNS_18TensorIteratorBaseEENKUlvE0_clEvENKUlvE2_clEvEUlN3c108BFloat16EE_NS0_6memory8policies11unroll_baseILi256ESt5arrayIPcLm2EE23TrivialOffsetCalculatorILi1EjESG_NS9_15LoadWithoutCastENS9_16StoreWithoutCastELi8ELi1EEEEEvT0_T1_.private_seg_size)
	.set _ZN2at6native29vectorized_elementwise_kernelILi2EZZZNS0_15sin_kernel_cudaERNS_18TensorIteratorBaseEENKUlvE0_clEvENKUlvE2_clEvEUlN3c108BFloat16EE_St5arrayIPcLm2EEEEviT0_T1_.uses_vcc, or(1, .L_ZN2at6native25elementwise_kernel_helperILb0EZZZNS0_15sin_kernel_cudaERNS_18TensorIteratorBaseEENKUlvE0_clEvENKUlvE2_clEvEUlN3c108BFloat16EE_NS0_6memory8policies11unroll_baseILi256ESt5arrayIPcLm2EE23TrivialOffsetCalculatorILi1EjESG_NS9_15LoadWithoutCastENS9_16StoreWithoutCastELi8ELi1EEEEEvT0_T1_.uses_vcc)
	.set _ZN2at6native29vectorized_elementwise_kernelILi2EZZZNS0_15sin_kernel_cudaERNS_18TensorIteratorBaseEENKUlvE0_clEvENKUlvE2_clEvEUlN3c108BFloat16EE_St5arrayIPcLm2EEEEviT0_T1_.uses_flat_scratch, or(0, .L_ZN2at6native25elementwise_kernel_helperILb0EZZZNS0_15sin_kernel_cudaERNS_18TensorIteratorBaseEENKUlvE0_clEvENKUlvE2_clEvEUlN3c108BFloat16EE_NS0_6memory8policies11unroll_baseILi256ESt5arrayIPcLm2EE23TrivialOffsetCalculatorILi1EjESG_NS9_15LoadWithoutCastENS9_16StoreWithoutCastELi8ELi1EEEEEvT0_T1_.uses_flat_scratch)
	.set _ZN2at6native29vectorized_elementwise_kernelILi2EZZZNS0_15sin_kernel_cudaERNS_18TensorIteratorBaseEENKUlvE0_clEvENKUlvE2_clEvEUlN3c108BFloat16EE_St5arrayIPcLm2EEEEviT0_T1_.has_dyn_sized_stack, or(0, .L_ZN2at6native25elementwise_kernel_helperILb0EZZZNS0_15sin_kernel_cudaERNS_18TensorIteratorBaseEENKUlvE0_clEvENKUlvE2_clEvEUlN3c108BFloat16EE_NS0_6memory8policies11unroll_baseILi256ESt5arrayIPcLm2EE23TrivialOffsetCalculatorILi1EjESG_NS9_15LoadWithoutCastENS9_16StoreWithoutCastELi8ELi1EEEEEvT0_T1_.has_dyn_sized_stack)
	.set _ZN2at6native29vectorized_elementwise_kernelILi2EZZZNS0_15sin_kernel_cudaERNS_18TensorIteratorBaseEENKUlvE0_clEvENKUlvE2_clEvEUlN3c108BFloat16EE_St5arrayIPcLm2EEEEviT0_T1_.has_recursion, or(0, .L_ZN2at6native25elementwise_kernel_helperILb0EZZZNS0_15sin_kernel_cudaERNS_18TensorIteratorBaseEENKUlvE0_clEvENKUlvE2_clEvEUlN3c108BFloat16EE_NS0_6memory8policies11unroll_baseILi256ESt5arrayIPcLm2EE23TrivialOffsetCalculatorILi1EjESG_NS9_15LoadWithoutCastENS9_16StoreWithoutCastELi8ELi1EEEEEvT0_T1_.has_recursion)
	.set _ZN2at6native29vectorized_elementwise_kernelILi2EZZZNS0_15sin_kernel_cudaERNS_18TensorIteratorBaseEENKUlvE0_clEvENKUlvE2_clEvEUlN3c108BFloat16EE_St5arrayIPcLm2EEEEviT0_T1_.has_indirect_call, or(0, .L_ZN2at6native25elementwise_kernel_helperILb0EZZZNS0_15sin_kernel_cudaERNS_18TensorIteratorBaseEENKUlvE0_clEvENKUlvE2_clEvEUlN3c108BFloat16EE_NS0_6memory8policies11unroll_baseILi256ESt5arrayIPcLm2EE23TrivialOffsetCalculatorILi1EjESG_NS9_15LoadWithoutCastENS9_16StoreWithoutCastELi8ELi1EEEEEvT0_T1_.has_indirect_call)
	.section	.AMDGPU.csdata,"",@progbits
; Kernel info:
; codeLenInByte = 6788
; TotalNumSgprs: 35
; NumVgprs: 44
; ScratchSize: 0
; MemoryBound: 0
; FloatMode: 240
; IeeeMode: 1
; LDSByteSize: 0 bytes/workgroup (compile time only)
; SGPRBlocks: 0
; VGPRBlocks: 5
; NumSGPRsForWavesPerEU: 35
; NumVGPRsForWavesPerEU: 44
; Occupancy: 16
; WaveLimiterHint : 1
; COMPUTE_PGM_RSRC2:SCRATCH_EN: 0
; COMPUTE_PGM_RSRC2:USER_SGPR: 6
; COMPUTE_PGM_RSRC2:TRAP_HANDLER: 0
; COMPUTE_PGM_RSRC2:TGID_X_EN: 1
; COMPUTE_PGM_RSRC2:TGID_Y_EN: 0
; COMPUTE_PGM_RSRC2:TGID_Z_EN: 0
; COMPUTE_PGM_RSRC2:TIDIG_COMP_CNT: 0
	.section	.text._ZN2at6native27unrolled_elementwise_kernelIZZZNS0_15sin_kernel_cudaERNS_18TensorIteratorBaseEENKUlvE0_clEvENKUlvE2_clEvEUlN3c108BFloat16EE_St5arrayIPcLm2EELi4E23TrivialOffsetCalculatorILi1EjESD_NS0_6memory15LoadWithoutCastENSE_16StoreWithoutCastEEEviT_T0_T2_T3_T4_T5_,"axG",@progbits,_ZN2at6native27unrolled_elementwise_kernelIZZZNS0_15sin_kernel_cudaERNS_18TensorIteratorBaseEENKUlvE0_clEvENKUlvE2_clEvEUlN3c108BFloat16EE_St5arrayIPcLm2EELi4E23TrivialOffsetCalculatorILi1EjESD_NS0_6memory15LoadWithoutCastENSE_16StoreWithoutCastEEEviT_T0_T2_T3_T4_T5_,comdat
	.globl	_ZN2at6native27unrolled_elementwise_kernelIZZZNS0_15sin_kernel_cudaERNS_18TensorIteratorBaseEENKUlvE0_clEvENKUlvE2_clEvEUlN3c108BFloat16EE_St5arrayIPcLm2EELi4E23TrivialOffsetCalculatorILi1EjESD_NS0_6memory15LoadWithoutCastENSE_16StoreWithoutCastEEEviT_T0_T2_T3_T4_T5_ ; -- Begin function _ZN2at6native27unrolled_elementwise_kernelIZZZNS0_15sin_kernel_cudaERNS_18TensorIteratorBaseEENKUlvE0_clEvENKUlvE2_clEvEUlN3c108BFloat16EE_St5arrayIPcLm2EELi4E23TrivialOffsetCalculatorILi1EjESD_NS0_6memory15LoadWithoutCastENSE_16StoreWithoutCastEEEviT_T0_T2_T3_T4_T5_
	.p2align	8
	.type	_ZN2at6native27unrolled_elementwise_kernelIZZZNS0_15sin_kernel_cudaERNS_18TensorIteratorBaseEENKUlvE0_clEvENKUlvE2_clEvEUlN3c108BFloat16EE_St5arrayIPcLm2EELi4E23TrivialOffsetCalculatorILi1EjESD_NS0_6memory15LoadWithoutCastENSE_16StoreWithoutCastEEEviT_T0_T2_T3_T4_T5_,@function
_ZN2at6native27unrolled_elementwise_kernelIZZZNS0_15sin_kernel_cudaERNS_18TensorIteratorBaseEENKUlvE0_clEvENKUlvE2_clEvEUlN3c108BFloat16EE_St5arrayIPcLm2EELi4E23TrivialOffsetCalculatorILi1EjESD_NS0_6memory15LoadWithoutCastENSE_16StoreWithoutCastEEEviT_T0_T2_T3_T4_T5_: ; @_ZN2at6native27unrolled_elementwise_kernelIZZZNS0_15sin_kernel_cudaERNS_18TensorIteratorBaseEENKUlvE0_clEvENKUlvE2_clEvEUlN3c108BFloat16EE_St5arrayIPcLm2EELi4E23TrivialOffsetCalculatorILi1EjESD_NS0_6memory15LoadWithoutCastENSE_16StoreWithoutCastEEEviT_T0_T2_T3_T4_T5_
; %bb.0:
	s_clause 0x1
	s_load_dword s0, s[4:5], 0x0
	s_load_dwordx4 s[8:11], s[4:5], 0x8
	s_lshl_b32 s3, s6, 10
	v_mov_b32_e32 v6, 0
	v_mov_b32_e32 v7, 0
	v_or_b32_e32 v1, s3, v0
	v_or_b32_e32 v3, 0x100, v0
	v_mov_b32_e32 v4, v0
	s_waitcnt lgkmcnt(0)
	s_sub_i32 s4, s0, s3
	v_cmp_gt_i32_e64 s0, s4, v0
	s_and_saveexec_b32 s1, s0
	s_cbranch_execz .LBB32_2
; %bb.1:
	v_mov_b32_e32 v2, 0
	v_lshlrev_b64 v[4:5], 1, v[1:2]
	v_add_co_u32 v4, vcc_lo, s10, v4
	v_add_co_ci_u32_e64 v5, null, s11, v5, vcc_lo
	global_load_ushort v2, v[4:5], off
	v_or_b32_e32 v4, 0x100, v0
	s_waitcnt vmcnt(0)
	v_lshlrev_b32_e32 v7, 16, v2
.LBB32_2:
	s_or_b32 exec_lo, exec_lo, s1
	s_mov_b32 s1, exec_lo
	v_cmpx_gt_i32_e64 s4, v4
	s_cbranch_execz .LBB32_4
; %bb.3:
	v_add_nc_u32_e32 v5, s3, v4
	v_mov_b32_e32 v6, 0
	v_add_nc_u32_e32 v4, 0x100, v4
	v_lshlrev_b64 v[5:6], 1, v[5:6]
	v_add_co_u32 v5, vcc_lo, s10, v5
	v_add_co_ci_u32_e64 v6, null, s11, v6, vcc_lo
	global_load_ushort v2, v[5:6], off
	s_waitcnt vmcnt(0)
	v_lshlrev_b32_e32 v6, 16, v2
.LBB32_4:
	s_or_b32 exec_lo, exec_lo, s1
	v_mov_b32_e32 v2, 0
	v_mov_b32_e32 v5, 0
	s_mov_b32 s1, exec_lo
	v_cmpx_gt_i32_e64 s4, v4
	s_cbranch_execz .LBB32_8
; %bb.5:
	v_add_nc_u32_e32 v8, s3, v4
	v_mov_b32_e32 v9, 0
	v_add_nc_u32_e32 v4, 0x100, v4
	v_lshlrev_b64 v[8:9], 1, v[8:9]
	v_add_co_u32 v8, vcc_lo, s10, v8
	v_add_co_ci_u32_e64 v9, null, s11, v9, vcc_lo
	global_load_ushort v5, v[8:9], off
	s_waitcnt vmcnt(0)
	v_lshlrev_b32_e32 v5, 16, v5
	s_or_b32 exec_lo, exec_lo, s1
	s_mov_b32 s1, exec_lo
	v_cmpx_gt_i32_e64 s4, v4
	s_cbranch_execnz .LBB32_9
.LBB32_6:
	s_or_b32 exec_lo, exec_lo, s1
                                        ; implicit-def: $vgpr4
	s_and_saveexec_b32 s5, s0
	s_cbranch_execnz .LBB32_10
.LBB32_7:
	s_or_b32 exec_lo, exec_lo, s5
	s_mov_b32 s5, exec_lo
                                        ; implicit-def: $vgpr7
	v_cmpx_gt_i32_e64 s4, v3
	s_cbranch_execz .LBB32_20
	s_branch .LBB32_15
.LBB32_8:
	s_or_b32 exec_lo, exec_lo, s1
	s_mov_b32 s1, exec_lo
	v_cmpx_gt_i32_e64 s4, v4
	s_cbranch_execz .LBB32_6
.LBB32_9:
	v_add_nc_u32_e32 v8, s3, v4
	v_mov_b32_e32 v9, 0
	v_lshlrev_b64 v[8:9], 1, v[8:9]
	v_add_co_u32 v8, vcc_lo, s10, v8
	v_add_co_ci_u32_e64 v9, null, s11, v9, vcc_lo
	global_load_ushort v2, v[8:9], off
	s_waitcnt vmcnt(0)
	v_lshlrev_b32_e32 v2, 16, v2
	s_or_b32 exec_lo, exec_lo, s1
                                        ; implicit-def: $vgpr4
	s_and_saveexec_b32 s5, s0
	s_cbranch_execz .LBB32_7
.LBB32_10:
	v_and_b32_e32 v4, 0x7fffffff, v7
                                        ; implicit-def: $vgpr9
                                        ; implicit-def: $vgpr8
	s_mov_b32 s2, exec_lo
	v_cmpx_ngt_f32_e64 0x48000000, |v7|
	s_xor_b32 s6, exec_lo, s2
	s_cbranch_execz .LBB32_12
; %bb.11:
	s_mov_b32 s1, 0x7fffff
	v_mov_b32_e32 v10, 0
	v_and_or_b32 v17, v4, s1, 0x800000
	v_lshrrev_b32_e32 v15, 23, v4
	v_mad_u64_u32 v[8:9], null, 0xfe5163ab, v17, 0
	v_add_nc_u32_e32 v16, 0xffffff88, v15
	v_cmp_lt_u32_e32 vcc_lo, 63, v16
	v_mad_u64_u32 v[11:12], null, 0x3c439041, v17, v[9:10]
	v_cndmask_b32_e64 v18, 0, 0xffffffc0, vcc_lo
	v_mov_b32_e32 v9, v12
	v_add_nc_u32_e32 v18, v18, v16
	v_mad_u64_u32 v[12:13], null, 0xdb629599, v17, v[9:10]
	v_cmp_lt_u32_e64 s1, 31, v18
	v_cndmask_b32_e64 v19, 0, 0xffffffe0, s1
	v_mov_b32_e32 v9, v13
	v_cndmask_b32_e32 v8, v12, v8, vcc_lo
	v_mad_u64_u32 v[13:14], null, 0xf534ddc0, v17, v[9:10]
	v_mov_b32_e32 v9, v14
	v_cndmask_b32_e32 v11, v13, v11, vcc_lo
	v_mad_u64_u32 v[14:15], null, 0xfc2757d1, v17, v[9:10]
	v_cndmask_b32_e64 v8, v11, v8, s1
	v_mov_b32_e32 v9, v15
	v_mad_u64_u32 v[15:16], null, 0x4e441529, v17, v[9:10]
	v_mov_b32_e32 v9, v16
	v_add_nc_u32_e32 v16, v19, v18
	v_cndmask_b32_e32 v18, v15, v13, vcc_lo
	v_mad_u64_u32 v[9:10], null, 0xa2f9836e, v17, v[9:10]
	v_cmp_lt_u32_e64 s2, 31, v16
	v_cndmask_b32_e64 v17, 0, 0xffffffe0, s2
	v_cndmask_b32_e32 v9, v9, v14, vcc_lo
	v_cndmask_b32_e32 v10, v10, v15, vcc_lo
	;; [unrolled: 1-line block ×3, first 2 shown]
	v_add_nc_u32_e32 v15, v17, v16
	v_cndmask_b32_e64 v13, v9, v18, s1
	v_cndmask_b32_e64 v9, v10, v9, s1
	;; [unrolled: 1-line block ×4, first 2 shown]
	v_sub_nc_u32_e32 v16, 32, v15
	v_cmp_eq_u32_e32 vcc_lo, 0, v15
	v_cndmask_b32_e64 v9, v9, v13, s2
	v_cndmask_b32_e64 v13, v13, v10, s2
	;; [unrolled: 1-line block ×4, first 2 shown]
	v_alignbit_b32 v17, v9, v13, v16
	v_alignbit_b32 v12, v13, v10, v16
	;; [unrolled: 1-line block ×3, first 2 shown]
	v_cndmask_b32_e32 v9, v17, v9, vcc_lo
	v_cndmask_b32_e32 v11, v12, v13, vcc_lo
	;; [unrolled: 1-line block ×3, first 2 shown]
	v_bfe_u32 v12, v9, 29, 1
	v_alignbit_b32 v13, v9, v11, 30
	v_alignbit_b32 v11, v11, v10, 30
	;; [unrolled: 1-line block ×3, first 2 shown]
	v_sub_nc_u32_e32 v14, 0, v12
	v_xor_b32_e32 v13, v13, v14
	v_xor_b32_e32 v10, v11, v14
	;; [unrolled: 1-line block ×3, first 2 shown]
	v_lshrrev_b32_e32 v14, 29, v9
	v_lshrrev_b32_e32 v9, 30, v9
	v_ffbh_u32_e32 v15, v13
	v_add_nc_u32_e32 v9, v12, v9
	v_min_u32_e32 v15, 32, v15
	v_sub_nc_u32_e32 v11, 31, v15
	v_lshlrev_b32_e32 v16, 23, v15
	v_alignbit_b32 v13, v13, v10, v11
	v_alignbit_b32 v8, v10, v8, v11
	v_lshlrev_b32_e32 v10, 31, v14
	v_alignbit_b32 v11, v13, v8, 9
	v_or_b32_e32 v14, 0.5, v10
	v_lshrrev_b32_e32 v13, 9, v13
	v_or_b32_e32 v10, 0x33000000, v10
	v_ffbh_u32_e32 v17, v11
	v_sub_nc_u32_e32 v14, v14, v16
	v_min_u32_e32 v16, 32, v17
	v_or_b32_e32 v13, v13, v14
	v_not_b32_e32 v14, v16
	v_mul_f32_e32 v17, 0x3fc90fda, v13
	v_add_lshl_u32 v15, v16, v15, 23
	v_alignbit_b32 v8, v11, v8, v14
	v_fma_f32 v11, 0x3fc90fda, v13, -v17
	v_sub_nc_u32_e32 v10, v10, v15
	v_lshrrev_b32_e32 v8, 9, v8
	v_fmamk_f32 v11, v13, 0x33a22168, v11
	v_or_b32_e32 v8, v10, v8
	v_fmac_f32_e32 v11, 0x3fc90fda, v8
	v_add_f32_e32 v8, v17, v11
.LBB32_12:
	s_andn2_saveexec_b32 s1, s6
; %bb.13:
	v_mul_f32_e64 v8, 0x3f22f983, |v7|
	v_rndne_f32_e32 v9, v8
	v_fma_f32 v8, 0xbfc90fda, v9, |v7|
	v_fmamk_f32 v8, v9, 0xb3a22168, v8
	v_fmamk_f32 v8, v9, 0xa7c234c4, v8
	v_cvt_i32_f32_e32 v9, v9
; %bb.14:
	s_or_b32 exec_lo, exec_lo, s1
	v_mul_f32_e32 v10, v8, v8
	s_mov_b32 s1, 0xb94c1982
	s_mov_b32 s2, 0x37d75334
	v_lshlrev_b32_e32 v13, 30, v9
	v_and_b32_e32 v9, 1, v9
	v_fmaak_f32 v11, s1, v10, 0x3c0881c4
	v_fmaak_f32 v12, s2, v10, 0xbab64f3b
	v_and_b32_e32 v13, 0x80000000, v13
	v_cmp_eq_u32_e32 vcc_lo, 0, v9
	v_fmaak_f32 v11, v10, v11, 0xbe2aaa9d
	v_fmaak_f32 v12, v10, v12, 0x3d2aabf7
	v_xor_b32_e32 v4, v4, v13
	v_mul_f32_e32 v11, v10, v11
	v_fmaak_f32 v12, v10, v12, 0xbf000004
	v_fmac_f32_e32 v8, v8, v11
	v_fma_f32 v10, v10, v12, 1.0
	v_cndmask_b32_e32 v8, v10, v8, vcc_lo
	v_cmp_class_f32_e64 vcc_lo, v7, 0x1f8
	v_xor3_b32 v4, v4, v8, v7
	v_cndmask_b32_e32 v4, 0x7fc00000, v4, vcc_lo
	v_bfe_u32 v7, v4, 16, 1
	v_cmp_o_f32_e32 vcc_lo, v4, v4
	v_add3_u32 v4, v4, v7, 0x7fff
	v_mov_b32_e32 v7, 0x7fc0
	v_cndmask_b32_sdwa v4, v7, v4, vcc_lo dst_sel:DWORD dst_unused:UNUSED_PAD src0_sel:DWORD src1_sel:WORD_1
	s_or_b32 exec_lo, exec_lo, s5
	s_mov_b32 s5, exec_lo
                                        ; implicit-def: $vgpr7
	v_cmpx_gt_i32_e64 s4, v3
	s_cbranch_execz .LBB32_20
.LBB32_15:
	v_and_b32_e32 v7, 0x7fffffff, v6
                                        ; implicit-def: $vgpr9
                                        ; implicit-def: $vgpr8
	s_mov_b32 s2, exec_lo
	v_cmpx_ngt_f32_e64 0x48000000, |v6|
	s_xor_b32 s6, exec_lo, s2
	s_cbranch_execz .LBB32_17
; %bb.16:
	s_mov_b32 s1, 0x7fffff
	v_mov_b32_e32 v10, 0
	v_and_or_b32 v17, v7, s1, 0x800000
	v_lshrrev_b32_e32 v15, 23, v7
	v_mad_u64_u32 v[8:9], null, 0xfe5163ab, v17, 0
	v_add_nc_u32_e32 v16, 0xffffff88, v15
	v_cmp_lt_u32_e32 vcc_lo, 63, v16
	v_mad_u64_u32 v[11:12], null, 0x3c439041, v17, v[9:10]
	v_cndmask_b32_e64 v18, 0, 0xffffffc0, vcc_lo
	v_mov_b32_e32 v9, v12
	v_add_nc_u32_e32 v18, v18, v16
	v_mad_u64_u32 v[12:13], null, 0xdb629599, v17, v[9:10]
	v_cmp_lt_u32_e64 s1, 31, v18
	v_cndmask_b32_e64 v19, 0, 0xffffffe0, s1
	v_mov_b32_e32 v9, v13
	v_cndmask_b32_e32 v8, v12, v8, vcc_lo
	v_mad_u64_u32 v[13:14], null, 0xf534ddc0, v17, v[9:10]
	v_mov_b32_e32 v9, v14
	v_cndmask_b32_e32 v11, v13, v11, vcc_lo
	v_mad_u64_u32 v[14:15], null, 0xfc2757d1, v17, v[9:10]
	v_cndmask_b32_e64 v8, v11, v8, s1
	v_mov_b32_e32 v9, v15
	v_mad_u64_u32 v[15:16], null, 0x4e441529, v17, v[9:10]
	v_mov_b32_e32 v9, v16
	v_add_nc_u32_e32 v16, v19, v18
	v_cndmask_b32_e32 v18, v15, v13, vcc_lo
	v_mad_u64_u32 v[9:10], null, 0xa2f9836e, v17, v[9:10]
	v_cmp_lt_u32_e64 s2, 31, v16
	v_cndmask_b32_e64 v17, 0, 0xffffffe0, s2
	v_cndmask_b32_e32 v9, v9, v14, vcc_lo
	v_cndmask_b32_e32 v10, v10, v15, vcc_lo
	;; [unrolled: 1-line block ×3, first 2 shown]
	v_add_nc_u32_e32 v15, v17, v16
	v_cndmask_b32_e64 v13, v9, v18, s1
	v_cndmask_b32_e64 v9, v10, v9, s1
	;; [unrolled: 1-line block ×4, first 2 shown]
	v_sub_nc_u32_e32 v16, 32, v15
	v_cmp_eq_u32_e32 vcc_lo, 0, v15
	v_cndmask_b32_e64 v9, v9, v13, s2
	v_cndmask_b32_e64 v13, v13, v10, s2
	;; [unrolled: 1-line block ×4, first 2 shown]
	v_alignbit_b32 v17, v9, v13, v16
	v_alignbit_b32 v12, v13, v10, v16
	;; [unrolled: 1-line block ×3, first 2 shown]
	v_cndmask_b32_e32 v9, v17, v9, vcc_lo
	v_cndmask_b32_e32 v11, v12, v13, vcc_lo
	;; [unrolled: 1-line block ×3, first 2 shown]
	v_bfe_u32 v12, v9, 29, 1
	v_alignbit_b32 v13, v9, v11, 30
	v_alignbit_b32 v11, v11, v10, 30
	;; [unrolled: 1-line block ×3, first 2 shown]
	v_sub_nc_u32_e32 v14, 0, v12
	v_xor_b32_e32 v13, v13, v14
	v_xor_b32_e32 v10, v11, v14
	;; [unrolled: 1-line block ×3, first 2 shown]
	v_lshrrev_b32_e32 v14, 29, v9
	v_lshrrev_b32_e32 v9, 30, v9
	v_ffbh_u32_e32 v15, v13
	v_add_nc_u32_e32 v9, v12, v9
	v_min_u32_e32 v15, 32, v15
	v_sub_nc_u32_e32 v11, 31, v15
	v_lshlrev_b32_e32 v16, 23, v15
	v_alignbit_b32 v13, v13, v10, v11
	v_alignbit_b32 v8, v10, v8, v11
	v_lshlrev_b32_e32 v10, 31, v14
	v_alignbit_b32 v11, v13, v8, 9
	v_or_b32_e32 v14, 0.5, v10
	v_lshrrev_b32_e32 v13, 9, v13
	v_or_b32_e32 v10, 0x33000000, v10
	v_ffbh_u32_e32 v17, v11
	v_sub_nc_u32_e32 v14, v14, v16
	v_min_u32_e32 v16, 32, v17
	v_or_b32_e32 v13, v13, v14
	v_not_b32_e32 v14, v16
	v_mul_f32_e32 v17, 0x3fc90fda, v13
	v_add_lshl_u32 v15, v16, v15, 23
	v_alignbit_b32 v8, v11, v8, v14
	v_fma_f32 v11, 0x3fc90fda, v13, -v17
	v_sub_nc_u32_e32 v10, v10, v15
	v_lshrrev_b32_e32 v8, 9, v8
	v_fmamk_f32 v11, v13, 0x33a22168, v11
	v_or_b32_e32 v8, v10, v8
	v_fmac_f32_e32 v11, 0x3fc90fda, v8
	v_add_f32_e32 v8, v17, v11
.LBB32_17:
	s_andn2_saveexec_b32 s1, s6
; %bb.18:
	v_mul_f32_e64 v8, 0x3f22f983, |v6|
	v_rndne_f32_e32 v9, v8
	v_fma_f32 v8, 0xbfc90fda, v9, |v6|
	v_fmamk_f32 v8, v9, 0xb3a22168, v8
	v_fmamk_f32 v8, v9, 0xa7c234c4, v8
	v_cvt_i32_f32_e32 v9, v9
; %bb.19:
	s_or_b32 exec_lo, exec_lo, s1
	v_mul_f32_e32 v10, v8, v8
	s_mov_b32 s1, 0xb94c1982
	s_mov_b32 s2, 0x37d75334
	v_lshlrev_b32_e32 v13, 30, v9
	v_and_b32_e32 v9, 1, v9
	v_fmaak_f32 v11, s1, v10, 0x3c0881c4
	v_fmaak_f32 v12, s2, v10, 0xbab64f3b
	v_and_b32_e32 v13, 0x80000000, v13
	v_cmp_eq_u32_e32 vcc_lo, 0, v9
	v_fmaak_f32 v11, v10, v11, 0xbe2aaa9d
	v_fmaak_f32 v12, v10, v12, 0x3d2aabf7
	v_xor_b32_e32 v7, v7, v13
	v_mul_f32_e32 v11, v10, v11
	v_fmaak_f32 v12, v10, v12, 0xbf000004
	v_fmac_f32_e32 v8, v8, v11
	v_fma_f32 v10, v10, v12, 1.0
	v_cndmask_b32_e32 v8, v10, v8, vcc_lo
	v_cmp_class_f32_e64 vcc_lo, v6, 0x1f8
	v_xor3_b32 v7, v7, v8, v6
	v_cndmask_b32_e32 v6, 0x7fc00000, v7, vcc_lo
	v_bfe_u32 v7, v6, 16, 1
	v_cmp_o_f32_e32 vcc_lo, v6, v6
	v_add3_u32 v6, v6, v7, 0x7fff
	v_mov_b32_e32 v7, 0x7fc0
	v_cndmask_b32_sdwa v7, v7, v6, vcc_lo dst_sel:DWORD dst_unused:UNUSED_PAD src0_sel:DWORD src1_sel:WORD_1
.LBB32_20:
	s_or_b32 exec_lo, exec_lo, s5
	v_or_b32_e32 v6, 0x200, v0
	v_cmp_gt_i32_e32 vcc_lo, s4, v6
                                        ; implicit-def: $vgpr6
	s_and_saveexec_b32 s5, vcc_lo
	s_cbranch_execz .LBB32_26
; %bb.21:
	v_and_b32_e32 v6, 0x7fffffff, v5
                                        ; implicit-def: $vgpr9
                                        ; implicit-def: $vgpr8
	s_mov_b32 s2, exec_lo
	v_cmpx_ngt_f32_e64 0x48000000, |v5|
	s_xor_b32 s6, exec_lo, s2
	s_cbranch_execz .LBB32_23
; %bb.22:
	s_mov_b32 s1, 0x7fffff
	v_mov_b32_e32 v10, 0
	v_and_or_b32 v17, v6, s1, 0x800000
	v_lshrrev_b32_e32 v15, 23, v6
	v_mad_u64_u32 v[8:9], null, 0xfe5163ab, v17, 0
	v_add_nc_u32_e32 v16, 0xffffff88, v15
	v_cmp_lt_u32_e32 vcc_lo, 63, v16
	v_mad_u64_u32 v[11:12], null, 0x3c439041, v17, v[9:10]
	v_cndmask_b32_e64 v18, 0, 0xffffffc0, vcc_lo
	v_mov_b32_e32 v9, v12
	v_add_nc_u32_e32 v18, v18, v16
	v_mad_u64_u32 v[12:13], null, 0xdb629599, v17, v[9:10]
	v_cmp_lt_u32_e64 s1, 31, v18
	v_cndmask_b32_e64 v19, 0, 0xffffffe0, s1
	v_mov_b32_e32 v9, v13
	v_cndmask_b32_e32 v8, v12, v8, vcc_lo
	v_mad_u64_u32 v[13:14], null, 0xf534ddc0, v17, v[9:10]
	v_mov_b32_e32 v9, v14
	v_cndmask_b32_e32 v11, v13, v11, vcc_lo
	v_mad_u64_u32 v[14:15], null, 0xfc2757d1, v17, v[9:10]
	v_cndmask_b32_e64 v8, v11, v8, s1
	v_mov_b32_e32 v9, v15
	v_mad_u64_u32 v[15:16], null, 0x4e441529, v17, v[9:10]
	v_mov_b32_e32 v9, v16
	v_add_nc_u32_e32 v16, v19, v18
	v_cndmask_b32_e32 v18, v15, v13, vcc_lo
	v_mad_u64_u32 v[9:10], null, 0xa2f9836e, v17, v[9:10]
	v_cmp_lt_u32_e64 s2, 31, v16
	v_cndmask_b32_e64 v17, 0, 0xffffffe0, s2
	v_cndmask_b32_e32 v9, v9, v14, vcc_lo
	v_cndmask_b32_e32 v10, v10, v15, vcc_lo
	;; [unrolled: 1-line block ×3, first 2 shown]
	v_add_nc_u32_e32 v15, v17, v16
	v_cndmask_b32_e64 v13, v9, v18, s1
	v_cndmask_b32_e64 v9, v10, v9, s1
	;; [unrolled: 1-line block ×4, first 2 shown]
	v_sub_nc_u32_e32 v16, 32, v15
	v_cmp_eq_u32_e32 vcc_lo, 0, v15
	v_cndmask_b32_e64 v9, v9, v13, s2
	v_cndmask_b32_e64 v13, v13, v10, s2
	;; [unrolled: 1-line block ×4, first 2 shown]
	v_alignbit_b32 v17, v9, v13, v16
	v_alignbit_b32 v12, v13, v10, v16
	;; [unrolled: 1-line block ×3, first 2 shown]
	v_cndmask_b32_e32 v9, v17, v9, vcc_lo
	v_cndmask_b32_e32 v11, v12, v13, vcc_lo
	;; [unrolled: 1-line block ×3, first 2 shown]
	v_bfe_u32 v12, v9, 29, 1
	v_alignbit_b32 v13, v9, v11, 30
	v_alignbit_b32 v11, v11, v10, 30
	;; [unrolled: 1-line block ×3, first 2 shown]
	v_sub_nc_u32_e32 v14, 0, v12
	v_xor_b32_e32 v13, v13, v14
	v_xor_b32_e32 v10, v11, v14
	;; [unrolled: 1-line block ×3, first 2 shown]
	v_lshrrev_b32_e32 v14, 29, v9
	v_lshrrev_b32_e32 v9, 30, v9
	v_ffbh_u32_e32 v15, v13
	v_add_nc_u32_e32 v9, v12, v9
	v_min_u32_e32 v15, 32, v15
	v_sub_nc_u32_e32 v11, 31, v15
	v_lshlrev_b32_e32 v16, 23, v15
	v_alignbit_b32 v13, v13, v10, v11
	v_alignbit_b32 v8, v10, v8, v11
	v_lshlrev_b32_e32 v10, 31, v14
	v_alignbit_b32 v11, v13, v8, 9
	v_or_b32_e32 v14, 0.5, v10
	v_lshrrev_b32_e32 v13, 9, v13
	v_or_b32_e32 v10, 0x33000000, v10
	v_ffbh_u32_e32 v17, v11
	v_sub_nc_u32_e32 v14, v14, v16
	v_min_u32_e32 v16, 32, v17
	v_or_b32_e32 v13, v13, v14
	v_not_b32_e32 v14, v16
	v_mul_f32_e32 v17, 0x3fc90fda, v13
	v_add_lshl_u32 v15, v16, v15, 23
	v_alignbit_b32 v8, v11, v8, v14
	v_fma_f32 v11, 0x3fc90fda, v13, -v17
	v_sub_nc_u32_e32 v10, v10, v15
	v_lshrrev_b32_e32 v8, 9, v8
	v_fmamk_f32 v11, v13, 0x33a22168, v11
	v_or_b32_e32 v8, v10, v8
	v_fmac_f32_e32 v11, 0x3fc90fda, v8
	v_add_f32_e32 v8, v17, v11
.LBB32_23:
	s_andn2_saveexec_b32 s1, s6
; %bb.24:
	v_mul_f32_e64 v8, 0x3f22f983, |v5|
	v_rndne_f32_e32 v9, v8
	v_fma_f32 v8, 0xbfc90fda, v9, |v5|
	v_fmamk_f32 v8, v9, 0xb3a22168, v8
	v_fmamk_f32 v8, v9, 0xa7c234c4, v8
	v_cvt_i32_f32_e32 v9, v9
; %bb.25:
	s_or_b32 exec_lo, exec_lo, s1
	v_mul_f32_e32 v10, v8, v8
	s_mov_b32 s1, 0xb94c1982
	s_mov_b32 s2, 0x37d75334
	v_lshlrev_b32_e32 v13, 30, v9
	v_and_b32_e32 v9, 1, v9
	v_fmaak_f32 v11, s1, v10, 0x3c0881c4
	v_fmaak_f32 v12, s2, v10, 0xbab64f3b
	v_and_b32_e32 v13, 0x80000000, v13
	v_cmp_eq_u32_e32 vcc_lo, 0, v9
	v_fmaak_f32 v11, v10, v11, 0xbe2aaa9d
	v_fmaak_f32 v12, v10, v12, 0x3d2aabf7
	v_xor_b32_e32 v6, v6, v13
	v_mul_f32_e32 v11, v10, v11
	v_fmaak_f32 v12, v10, v12, 0xbf000004
	v_fmac_f32_e32 v8, v8, v11
	v_fma_f32 v10, v10, v12, 1.0
	v_cndmask_b32_e32 v8, v10, v8, vcc_lo
	v_cmp_class_f32_e64 vcc_lo, v5, 0x1f8
	v_xor3_b32 v6, v6, v8, v5
	v_cndmask_b32_e32 v5, 0x7fc00000, v6, vcc_lo
	v_bfe_u32 v6, v5, 16, 1
	v_cmp_o_f32_e32 vcc_lo, v5, v5
	v_add3_u32 v5, v5, v6, 0x7fff
	v_mov_b32_e32 v6, 0x7fc0
	v_cndmask_b32_sdwa v6, v6, v5, vcc_lo dst_sel:DWORD dst_unused:UNUSED_PAD src0_sel:DWORD src1_sel:WORD_1
.LBB32_26:
	s_or_b32 exec_lo, exec_lo, s5
	v_or_b32_e32 v5, 0x300, v0
	v_cmp_gt_i32_e32 vcc_lo, s4, v5
                                        ; implicit-def: $vgpr5
	s_and_saveexec_b32 s5, vcc_lo
	s_cbranch_execz .LBB32_36
; %bb.27:
	v_and_b32_e32 v5, 0x7fffffff, v2
                                        ; implicit-def: $vgpr9
                                        ; implicit-def: $vgpr8
	s_mov_b32 s2, exec_lo
	v_cmpx_ngt_f32_e64 0x48000000, |v2|
	s_xor_b32 s6, exec_lo, s2
	s_cbranch_execz .LBB32_29
; %bb.28:
	s_mov_b32 s1, 0x7fffff
	v_mov_b32_e32 v10, 0
	v_and_or_b32 v17, v5, s1, 0x800000
	v_lshrrev_b32_e32 v15, 23, v5
	v_mad_u64_u32 v[8:9], null, 0xfe5163ab, v17, 0
	v_add_nc_u32_e32 v16, 0xffffff88, v15
	v_cmp_lt_u32_e32 vcc_lo, 63, v16
	v_mad_u64_u32 v[11:12], null, 0x3c439041, v17, v[9:10]
	v_cndmask_b32_e64 v18, 0, 0xffffffc0, vcc_lo
	v_mov_b32_e32 v9, v12
	v_add_nc_u32_e32 v18, v18, v16
	v_mad_u64_u32 v[12:13], null, 0xdb629599, v17, v[9:10]
	v_cmp_lt_u32_e64 s1, 31, v18
	v_cndmask_b32_e64 v19, 0, 0xffffffe0, s1
	v_mov_b32_e32 v9, v13
	v_cndmask_b32_e32 v8, v12, v8, vcc_lo
	v_mad_u64_u32 v[13:14], null, 0xf534ddc0, v17, v[9:10]
	v_mov_b32_e32 v9, v14
	v_cndmask_b32_e32 v11, v13, v11, vcc_lo
	v_mad_u64_u32 v[14:15], null, 0xfc2757d1, v17, v[9:10]
	v_cndmask_b32_e64 v8, v11, v8, s1
	v_mov_b32_e32 v9, v15
	v_mad_u64_u32 v[15:16], null, 0x4e441529, v17, v[9:10]
	v_mov_b32_e32 v9, v16
	v_add_nc_u32_e32 v16, v19, v18
	v_cndmask_b32_e32 v18, v15, v13, vcc_lo
	v_mad_u64_u32 v[9:10], null, 0xa2f9836e, v17, v[9:10]
	v_cmp_lt_u32_e64 s2, 31, v16
	v_cndmask_b32_e64 v17, 0, 0xffffffe0, s2
	v_cndmask_b32_e32 v9, v9, v14, vcc_lo
	v_cndmask_b32_e32 v10, v10, v15, vcc_lo
	;; [unrolled: 1-line block ×3, first 2 shown]
	v_add_nc_u32_e32 v15, v17, v16
	v_cndmask_b32_e64 v13, v9, v18, s1
	v_cndmask_b32_e64 v9, v10, v9, s1
	;; [unrolled: 1-line block ×4, first 2 shown]
	v_sub_nc_u32_e32 v16, 32, v15
	v_cmp_eq_u32_e32 vcc_lo, 0, v15
	v_cndmask_b32_e64 v9, v9, v13, s2
	v_cndmask_b32_e64 v13, v13, v10, s2
	;; [unrolled: 1-line block ×4, first 2 shown]
	v_alignbit_b32 v17, v9, v13, v16
	v_alignbit_b32 v12, v13, v10, v16
	;; [unrolled: 1-line block ×3, first 2 shown]
	v_cndmask_b32_e32 v9, v17, v9, vcc_lo
	v_cndmask_b32_e32 v11, v12, v13, vcc_lo
	;; [unrolled: 1-line block ×3, first 2 shown]
	v_bfe_u32 v12, v9, 29, 1
	v_alignbit_b32 v13, v9, v11, 30
	v_alignbit_b32 v11, v11, v10, 30
	v_alignbit_b32 v8, v10, v8, 30
	v_sub_nc_u32_e32 v14, 0, v12
	v_xor_b32_e32 v13, v13, v14
	v_xor_b32_e32 v10, v11, v14
	;; [unrolled: 1-line block ×3, first 2 shown]
	v_lshrrev_b32_e32 v14, 29, v9
	v_lshrrev_b32_e32 v9, 30, v9
	v_ffbh_u32_e32 v15, v13
	v_add_nc_u32_e32 v9, v12, v9
	v_min_u32_e32 v15, 32, v15
	v_sub_nc_u32_e32 v11, 31, v15
	v_lshlrev_b32_e32 v16, 23, v15
	v_alignbit_b32 v13, v13, v10, v11
	v_alignbit_b32 v8, v10, v8, v11
	v_lshlrev_b32_e32 v10, 31, v14
	v_alignbit_b32 v11, v13, v8, 9
	v_or_b32_e32 v14, 0.5, v10
	v_lshrrev_b32_e32 v13, 9, v13
	v_or_b32_e32 v10, 0x33000000, v10
	v_ffbh_u32_e32 v17, v11
	v_sub_nc_u32_e32 v14, v14, v16
	v_min_u32_e32 v16, 32, v17
	v_or_b32_e32 v13, v13, v14
	v_not_b32_e32 v14, v16
	v_mul_f32_e32 v17, 0x3fc90fda, v13
	v_add_lshl_u32 v15, v16, v15, 23
	v_alignbit_b32 v8, v11, v8, v14
	v_fma_f32 v11, 0x3fc90fda, v13, -v17
	v_sub_nc_u32_e32 v10, v10, v15
	v_lshrrev_b32_e32 v8, 9, v8
	v_fmamk_f32 v11, v13, 0x33a22168, v11
	v_or_b32_e32 v8, v10, v8
	v_fmac_f32_e32 v11, 0x3fc90fda, v8
	v_add_f32_e32 v8, v17, v11
.LBB32_29:
	s_andn2_saveexec_b32 s1, s6
; %bb.30:
	v_mul_f32_e64 v8, 0x3f22f983, |v2|
	v_rndne_f32_e32 v9, v8
	v_fma_f32 v8, 0xbfc90fda, v9, |v2|
	v_fmamk_f32 v8, v9, 0xb3a22168, v8
	v_fmamk_f32 v8, v9, 0xa7c234c4, v8
	v_cvt_i32_f32_e32 v9, v9
; %bb.31:
	s_or_b32 exec_lo, exec_lo, s1
	v_mul_f32_e32 v10, v8, v8
	s_mov_b32 s1, 0xb94c1982
	s_mov_b32 s2, 0x37d75334
	v_lshlrev_b32_e32 v13, 30, v9
	v_and_b32_e32 v9, 1, v9
	v_fmaak_f32 v11, s1, v10, 0x3c0881c4
	v_fmaak_f32 v12, s2, v10, 0xbab64f3b
	v_and_b32_e32 v13, 0x80000000, v13
	v_cmp_eq_u32_e32 vcc_lo, 0, v9
	v_fmaak_f32 v11, v10, v11, 0xbe2aaa9d
	v_fmaak_f32 v12, v10, v12, 0x3d2aabf7
	v_xor_b32_e32 v5, v5, v13
	v_mul_f32_e32 v11, v10, v11
	v_fmaak_f32 v12, v10, v12, 0xbf000004
	v_fmac_f32_e32 v8, v8, v11
	v_fma_f32 v10, v10, v12, 1.0
	v_cndmask_b32_e32 v8, v10, v8, vcc_lo
	v_cmp_class_f32_e64 vcc_lo, v2, 0x1f8
	v_xor3_b32 v5, v5, v8, v2
	v_cndmask_b32_e32 v2, 0x7fc00000, v5, vcc_lo
	v_bfe_u32 v5, v2, 16, 1
	v_cmp_o_f32_e32 vcc_lo, v2, v2
	v_add3_u32 v2, v2, v5, 0x7fff
	v_mov_b32_e32 v5, 0x7fc0
	v_cndmask_b32_sdwa v5, v5, v2, vcc_lo dst_sel:DWORD dst_unused:UNUSED_PAD src0_sel:DWORD src1_sel:WORD_1
	s_or_b32 exec_lo, exec_lo, s5
	s_and_saveexec_b32 s1, s0
	s_xor_b32 s0, exec_lo, s1
	s_cbranch_execnz .LBB32_37
.LBB32_32:
	s_or_b32 exec_lo, exec_lo, s0
	s_mov_b32 s0, exec_lo
	v_cmpx_gt_i32_e64 s4, v0
	s_cbranch_execz .LBB32_38
.LBB32_33:
	v_add_nc_u32_e32 v1, s3, v0
	v_mov_b32_e32 v2, 0
	v_add_nc_u32_e32 v0, 0x100, v0
	v_lshlrev_b64 v[1:2], 1, v[1:2]
	v_add_co_u32 v1, vcc_lo, s8, v1
	v_add_co_ci_u32_e64 v2, null, s9, v2, vcc_lo
	global_store_short v[1:2], v7, off
	s_or_b32 exec_lo, exec_lo, s0
	s_mov_b32 s0, exec_lo
	v_cmpx_gt_i32_e64 s4, v0
	s_cbranch_execnz .LBB32_39
.LBB32_34:
	s_or_b32 exec_lo, exec_lo, s0
	s_mov_b32 s0, exec_lo
	v_cmpx_gt_i32_e64 s4, v0
	s_cbranch_execz .LBB32_40
.LBB32_35:
	v_add_nc_u32_e32 v0, s3, v0
	v_mov_b32_e32 v1, 0
	v_lshlrev_b64 v[0:1], 1, v[0:1]
	v_add_co_u32 v0, vcc_lo, s8, v0
	v_add_co_ci_u32_e64 v1, null, s9, v1, vcc_lo
	global_store_short v[0:1], v5, off
	s_endpgm
.LBB32_36:
	s_or_b32 exec_lo, exec_lo, s5
	s_and_saveexec_b32 s1, s0
	s_xor_b32 s0, exec_lo, s1
	s_cbranch_execz .LBB32_32
.LBB32_37:
	v_mov_b32_e32 v2, 0
	v_lshlrev_b64 v[0:1], 1, v[1:2]
	v_add_co_u32 v8, vcc_lo, s8, v0
	v_add_co_ci_u32_e64 v9, null, s9, v1, vcc_lo
	v_mov_b32_e32 v0, v3
	global_store_short v[8:9], v4, off
	s_or_b32 exec_lo, exec_lo, s0
	s_mov_b32 s0, exec_lo
	v_cmpx_gt_i32_e64 s4, v0
	s_cbranch_execnz .LBB32_33
.LBB32_38:
	s_or_b32 exec_lo, exec_lo, s0
	s_mov_b32 s0, exec_lo
	v_cmpx_gt_i32_e64 s4, v0
	s_cbranch_execz .LBB32_34
.LBB32_39:
	v_add_nc_u32_e32 v1, s3, v0
	v_mov_b32_e32 v2, 0
	v_add_nc_u32_e32 v0, 0x100, v0
	v_lshlrev_b64 v[1:2], 1, v[1:2]
	v_add_co_u32 v1, vcc_lo, s8, v1
	v_add_co_ci_u32_e64 v2, null, s9, v2, vcc_lo
	global_store_short v[1:2], v6, off
	s_or_b32 exec_lo, exec_lo, s0
	s_mov_b32 s0, exec_lo
	v_cmpx_gt_i32_e64 s4, v0
	s_cbranch_execnz .LBB32_35
.LBB32_40:
	s_endpgm
	.section	.rodata,"a",@progbits
	.p2align	6, 0x0
	.amdhsa_kernel _ZN2at6native27unrolled_elementwise_kernelIZZZNS0_15sin_kernel_cudaERNS_18TensorIteratorBaseEENKUlvE0_clEvENKUlvE2_clEvEUlN3c108BFloat16EE_St5arrayIPcLm2EELi4E23TrivialOffsetCalculatorILi1EjESD_NS0_6memory15LoadWithoutCastENSE_16StoreWithoutCastEEEviT_T0_T2_T3_T4_T5_
		.amdhsa_group_segment_fixed_size 0
		.amdhsa_private_segment_fixed_size 0
		.amdhsa_kernarg_size 28
		.amdhsa_user_sgpr_count 6
		.amdhsa_user_sgpr_private_segment_buffer 1
		.amdhsa_user_sgpr_dispatch_ptr 0
		.amdhsa_user_sgpr_queue_ptr 0
		.amdhsa_user_sgpr_kernarg_segment_ptr 1
		.amdhsa_user_sgpr_dispatch_id 0
		.amdhsa_user_sgpr_flat_scratch_init 0
		.amdhsa_user_sgpr_private_segment_size 0
		.amdhsa_wavefront_size32 1
		.amdhsa_uses_dynamic_stack 0
		.amdhsa_system_sgpr_private_segment_wavefront_offset 0
		.amdhsa_system_sgpr_workgroup_id_x 1
		.amdhsa_system_sgpr_workgroup_id_y 0
		.amdhsa_system_sgpr_workgroup_id_z 0
		.amdhsa_system_sgpr_workgroup_info 0
		.amdhsa_system_vgpr_workitem_id 0
		.amdhsa_next_free_vgpr 20
		.amdhsa_next_free_sgpr 12
		.amdhsa_reserve_vcc 1
		.amdhsa_reserve_flat_scratch 0
		.amdhsa_float_round_mode_32 0
		.amdhsa_float_round_mode_16_64 0
		.amdhsa_float_denorm_mode_32 3
		.amdhsa_float_denorm_mode_16_64 3
		.amdhsa_dx10_clamp 1
		.amdhsa_ieee_mode 1
		.amdhsa_fp16_overflow 0
		.amdhsa_workgroup_processor_mode 1
		.amdhsa_memory_ordered 1
		.amdhsa_forward_progress 1
		.amdhsa_shared_vgpr_count 0
		.amdhsa_exception_fp_ieee_invalid_op 0
		.amdhsa_exception_fp_denorm_src 0
		.amdhsa_exception_fp_ieee_div_zero 0
		.amdhsa_exception_fp_ieee_overflow 0
		.amdhsa_exception_fp_ieee_underflow 0
		.amdhsa_exception_fp_ieee_inexact 0
		.amdhsa_exception_int_div_zero 0
	.end_amdhsa_kernel
	.section	.text._ZN2at6native27unrolled_elementwise_kernelIZZZNS0_15sin_kernel_cudaERNS_18TensorIteratorBaseEENKUlvE0_clEvENKUlvE2_clEvEUlN3c108BFloat16EE_St5arrayIPcLm2EELi4E23TrivialOffsetCalculatorILi1EjESD_NS0_6memory15LoadWithoutCastENSE_16StoreWithoutCastEEEviT_T0_T2_T3_T4_T5_,"axG",@progbits,_ZN2at6native27unrolled_elementwise_kernelIZZZNS0_15sin_kernel_cudaERNS_18TensorIteratorBaseEENKUlvE0_clEvENKUlvE2_clEvEUlN3c108BFloat16EE_St5arrayIPcLm2EELi4E23TrivialOffsetCalculatorILi1EjESD_NS0_6memory15LoadWithoutCastENSE_16StoreWithoutCastEEEviT_T0_T2_T3_T4_T5_,comdat
.Lfunc_end32:
	.size	_ZN2at6native27unrolled_elementwise_kernelIZZZNS0_15sin_kernel_cudaERNS_18TensorIteratorBaseEENKUlvE0_clEvENKUlvE2_clEvEUlN3c108BFloat16EE_St5arrayIPcLm2EELi4E23TrivialOffsetCalculatorILi1EjESD_NS0_6memory15LoadWithoutCastENSE_16StoreWithoutCastEEEviT_T0_T2_T3_T4_T5_, .Lfunc_end32-_ZN2at6native27unrolled_elementwise_kernelIZZZNS0_15sin_kernel_cudaERNS_18TensorIteratorBaseEENKUlvE0_clEvENKUlvE2_clEvEUlN3c108BFloat16EE_St5arrayIPcLm2EELi4E23TrivialOffsetCalculatorILi1EjESD_NS0_6memory15LoadWithoutCastENSE_16StoreWithoutCastEEEviT_T0_T2_T3_T4_T5_
                                        ; -- End function
	.set _ZN2at6native27unrolled_elementwise_kernelIZZZNS0_15sin_kernel_cudaERNS_18TensorIteratorBaseEENKUlvE0_clEvENKUlvE2_clEvEUlN3c108BFloat16EE_St5arrayIPcLm2EELi4E23TrivialOffsetCalculatorILi1EjESD_NS0_6memory15LoadWithoutCastENSE_16StoreWithoutCastEEEviT_T0_T2_T3_T4_T5_.num_vgpr, 20
	.set _ZN2at6native27unrolled_elementwise_kernelIZZZNS0_15sin_kernel_cudaERNS_18TensorIteratorBaseEENKUlvE0_clEvENKUlvE2_clEvEUlN3c108BFloat16EE_St5arrayIPcLm2EELi4E23TrivialOffsetCalculatorILi1EjESD_NS0_6memory15LoadWithoutCastENSE_16StoreWithoutCastEEEviT_T0_T2_T3_T4_T5_.num_agpr, 0
	.set _ZN2at6native27unrolled_elementwise_kernelIZZZNS0_15sin_kernel_cudaERNS_18TensorIteratorBaseEENKUlvE0_clEvENKUlvE2_clEvEUlN3c108BFloat16EE_St5arrayIPcLm2EELi4E23TrivialOffsetCalculatorILi1EjESD_NS0_6memory15LoadWithoutCastENSE_16StoreWithoutCastEEEviT_T0_T2_T3_T4_T5_.numbered_sgpr, 12
	.set _ZN2at6native27unrolled_elementwise_kernelIZZZNS0_15sin_kernel_cudaERNS_18TensorIteratorBaseEENKUlvE0_clEvENKUlvE2_clEvEUlN3c108BFloat16EE_St5arrayIPcLm2EELi4E23TrivialOffsetCalculatorILi1EjESD_NS0_6memory15LoadWithoutCastENSE_16StoreWithoutCastEEEviT_T0_T2_T3_T4_T5_.num_named_barrier, 0
	.set _ZN2at6native27unrolled_elementwise_kernelIZZZNS0_15sin_kernel_cudaERNS_18TensorIteratorBaseEENKUlvE0_clEvENKUlvE2_clEvEUlN3c108BFloat16EE_St5arrayIPcLm2EELi4E23TrivialOffsetCalculatorILi1EjESD_NS0_6memory15LoadWithoutCastENSE_16StoreWithoutCastEEEviT_T0_T2_T3_T4_T5_.private_seg_size, 0
	.set _ZN2at6native27unrolled_elementwise_kernelIZZZNS0_15sin_kernel_cudaERNS_18TensorIteratorBaseEENKUlvE0_clEvENKUlvE2_clEvEUlN3c108BFloat16EE_St5arrayIPcLm2EELi4E23TrivialOffsetCalculatorILi1EjESD_NS0_6memory15LoadWithoutCastENSE_16StoreWithoutCastEEEviT_T0_T2_T3_T4_T5_.uses_vcc, 1
	.set _ZN2at6native27unrolled_elementwise_kernelIZZZNS0_15sin_kernel_cudaERNS_18TensorIteratorBaseEENKUlvE0_clEvENKUlvE2_clEvEUlN3c108BFloat16EE_St5arrayIPcLm2EELi4E23TrivialOffsetCalculatorILi1EjESD_NS0_6memory15LoadWithoutCastENSE_16StoreWithoutCastEEEviT_T0_T2_T3_T4_T5_.uses_flat_scratch, 0
	.set _ZN2at6native27unrolled_elementwise_kernelIZZZNS0_15sin_kernel_cudaERNS_18TensorIteratorBaseEENKUlvE0_clEvENKUlvE2_clEvEUlN3c108BFloat16EE_St5arrayIPcLm2EELi4E23TrivialOffsetCalculatorILi1EjESD_NS0_6memory15LoadWithoutCastENSE_16StoreWithoutCastEEEviT_T0_T2_T3_T4_T5_.has_dyn_sized_stack, 0
	.set _ZN2at6native27unrolled_elementwise_kernelIZZZNS0_15sin_kernel_cudaERNS_18TensorIteratorBaseEENKUlvE0_clEvENKUlvE2_clEvEUlN3c108BFloat16EE_St5arrayIPcLm2EELi4E23TrivialOffsetCalculatorILi1EjESD_NS0_6memory15LoadWithoutCastENSE_16StoreWithoutCastEEEviT_T0_T2_T3_T4_T5_.has_recursion, 0
	.set _ZN2at6native27unrolled_elementwise_kernelIZZZNS0_15sin_kernel_cudaERNS_18TensorIteratorBaseEENKUlvE0_clEvENKUlvE2_clEvEUlN3c108BFloat16EE_St5arrayIPcLm2EELi4E23TrivialOffsetCalculatorILi1EjESD_NS0_6memory15LoadWithoutCastENSE_16StoreWithoutCastEEEviT_T0_T2_T3_T4_T5_.has_indirect_call, 0
	.section	.AMDGPU.csdata,"",@progbits
; Kernel info:
; codeLenInByte = 4088
; TotalNumSgprs: 14
; NumVgprs: 20
; ScratchSize: 0
; MemoryBound: 0
; FloatMode: 240
; IeeeMode: 1
; LDSByteSize: 0 bytes/workgroup (compile time only)
; SGPRBlocks: 0
; VGPRBlocks: 2
; NumSGPRsForWavesPerEU: 14
; NumVGPRsForWavesPerEU: 20
; Occupancy: 16
; WaveLimiterHint : 0
; COMPUTE_PGM_RSRC2:SCRATCH_EN: 0
; COMPUTE_PGM_RSRC2:USER_SGPR: 6
; COMPUTE_PGM_RSRC2:TRAP_HANDLER: 0
; COMPUTE_PGM_RSRC2:TGID_X_EN: 1
; COMPUTE_PGM_RSRC2:TGID_Y_EN: 0
; COMPUTE_PGM_RSRC2:TGID_Z_EN: 0
; COMPUTE_PGM_RSRC2:TIDIG_COMP_CNT: 0
	.section	.text._ZN2at6native32elementwise_kernel_manual_unrollILi128ELi8EZNS0_22gpu_kernel_impl_nocastIZZZNS0_15sin_kernel_cudaERNS_18TensorIteratorBaseEENKUlvE0_clEvENKUlvE2_clEvEUlN3c108BFloat16EE_EEvS4_RKT_EUlibE_EEviT1_,"axG",@progbits,_ZN2at6native32elementwise_kernel_manual_unrollILi128ELi8EZNS0_22gpu_kernel_impl_nocastIZZZNS0_15sin_kernel_cudaERNS_18TensorIteratorBaseEENKUlvE0_clEvENKUlvE2_clEvEUlN3c108BFloat16EE_EEvS4_RKT_EUlibE_EEviT1_,comdat
	.globl	_ZN2at6native32elementwise_kernel_manual_unrollILi128ELi8EZNS0_22gpu_kernel_impl_nocastIZZZNS0_15sin_kernel_cudaERNS_18TensorIteratorBaseEENKUlvE0_clEvENKUlvE2_clEvEUlN3c108BFloat16EE_EEvS4_RKT_EUlibE_EEviT1_ ; -- Begin function _ZN2at6native32elementwise_kernel_manual_unrollILi128ELi8EZNS0_22gpu_kernel_impl_nocastIZZZNS0_15sin_kernel_cudaERNS_18TensorIteratorBaseEENKUlvE0_clEvENKUlvE2_clEvEUlN3c108BFloat16EE_EEvS4_RKT_EUlibE_EEviT1_
	.p2align	8
	.type	_ZN2at6native32elementwise_kernel_manual_unrollILi128ELi8EZNS0_22gpu_kernel_impl_nocastIZZZNS0_15sin_kernel_cudaERNS_18TensorIteratorBaseEENKUlvE0_clEvENKUlvE2_clEvEUlN3c108BFloat16EE_EEvS4_RKT_EUlibE_EEviT1_,@function
_ZN2at6native32elementwise_kernel_manual_unrollILi128ELi8EZNS0_22gpu_kernel_impl_nocastIZZZNS0_15sin_kernel_cudaERNS_18TensorIteratorBaseEENKUlvE0_clEvENKUlvE2_clEvEUlN3c108BFloat16EE_EEvS4_RKT_EUlibE_EEviT1_: ; @_ZN2at6native32elementwise_kernel_manual_unrollILi128ELi8EZNS0_22gpu_kernel_impl_nocastIZZZNS0_15sin_kernel_cudaERNS_18TensorIteratorBaseEENKUlvE0_clEvENKUlvE2_clEvEUlN3c108BFloat16EE_EEvS4_RKT_EUlibE_EEviT1_
; %bb.0:
	s_clause 0x1
	s_load_dword s22, s[4:5], 0x8
	s_load_dword s27, s[4:5], 0x0
	v_lshl_or_b32 v7, s6, 10, v0
	s_add_u32 s2, s4, 8
	s_addc_u32 s3, s5, 0
	s_mov_b32 s0, exec_lo
	v_or_b32_e32 v19, 0x380, v7
	s_waitcnt lgkmcnt(0)
	s_add_i32 s23, s22, -1
	s_cmp_gt_u32 s23, 1
	s_cselect_b32 s24, -1, 0
	v_cmpx_le_i32_e64 s27, v19
	s_xor_b32 s25, exec_lo, s0
	s_cbranch_execz .LBB33_7
; %bb.1:
	s_clause 0x3
	s_load_dwordx4 s[12:15], s[2:3], 0x4
	s_load_dwordx2 s[16:17], s[2:3], 0x14
	s_load_dwordx4 s[8:11], s[2:3], 0xc4
	s_load_dwordx4 s[4:7], s[2:3], 0x148
	s_cmp_lg_u32 s22, 0
	s_mov_b32 s30, exec_lo
	s_cselect_b32 s29, -1, 0
	s_add_u32 s18, s2, 0xc4
	s_addc_u32 s19, s3, 0
	s_min_u32 s28, s23, 15
	s_cmp_gt_u32 s22, 1
	s_cselect_b32 s26, -1, 0
	v_cmpx_gt_i32_e64 s27, v7
	s_cbranch_execz .LBB33_14
; %bb.2:
	s_andn2_b32 vcc_lo, exec_lo, s24
	s_cbranch_vccnz .LBB33_21
; %bb.3:
	s_andn2_b32 vcc_lo, exec_lo, s29
	s_cbranch_vccnz .LBB33_161
; %bb.4:
	s_add_i32 s33, s28, 1
	s_cmp_eq_u32 s23, 2
	s_cbranch_scc1 .LBB33_163
; %bb.5:
	v_mov_b32_e32 v2, 0
	v_mov_b32_e32 v0, 0
	;; [unrolled: 1-line block ×3, first 2 shown]
	s_and_b32 s31, s33, 28
	s_mov_b32 s34, 0
	s_mov_b64 s[0:1], s[2:3]
	s_mov_b64 s[20:21], s[18:19]
.LBB33_6:                               ; =>This Inner Loop Header: Depth=1
	s_clause 0x1
	s_load_dwordx8 s[36:43], s[0:1], 0x4
	s_load_dwordx4 s[52:55], s[0:1], 0x24
	s_load_dwordx8 s[44:51], s[20:21], 0x0
	s_add_u32 s0, s0, 48
	s_addc_u32 s1, s1, 0
	s_add_i32 s34, s34, 4
	s_add_u32 s20, s20, 32
	s_addc_u32 s21, s21, 0
	s_cmp_lg_u32 s31, s34
	s_waitcnt lgkmcnt(0)
	v_mul_hi_u32 v3, s37, v1
	v_add_nc_u32_e32 v3, v1, v3
	v_lshrrev_b32_e32 v3, s38, v3
	v_mul_hi_u32 v4, s40, v3
	v_mul_lo_u32 v6, v3, s36
	v_add_nc_u32_e32 v4, v3, v4
	v_sub_nc_u32_e32 v1, v1, v6
	v_lshrrev_b32_e32 v4, s41, v4
	v_mul_lo_u32 v6, v1, s44
	v_mul_lo_u32 v9, v1, s45
	v_mul_hi_u32 v5, s43, v4
	v_add_nc_u32_e32 v5, v4, v5
	v_lshrrev_b32_e32 v5, s52, v5
	v_mul_hi_u32 v8, s54, v5
	v_mul_lo_u32 v10, v5, s42
	v_add_nc_u32_e32 v1, v5, v8
	v_mul_lo_u32 v8, v4, s39
	v_sub_nc_u32_e32 v4, v4, v10
	v_lshrrev_b32_e32 v1, s55, v1
	v_mul_lo_u32 v10, v4, s48
	v_mul_lo_u32 v4, v4, s49
	v_sub_nc_u32_e32 v3, v3, v8
	v_mul_lo_u32 v11, v1, s53
	v_mul_lo_u32 v8, v3, s46
	;; [unrolled: 1-line block ×3, first 2 shown]
	v_sub_nc_u32_e32 v5, v5, v11
	v_add3_u32 v0, v6, v0, v8
	v_mul_lo_u32 v11, v5, s50
	v_mul_lo_u32 v5, v5, s51
	v_add3_u32 v2, v9, v2, v3
	v_add3_u32 v0, v10, v0, v11
	;; [unrolled: 1-line block ×3, first 2 shown]
	s_cbranch_scc1 .LBB33_6
	s_branch .LBB33_164
.LBB33_7:
	s_andn2_saveexec_b32 s0, s25
	s_cbranch_execz .LBB33_277
.LBB33_8:
	v_cndmask_b32_e64 v12, 0, 1, s24
	s_andn2_b32 vcc_lo, exec_lo, s24
	s_cbranch_vccnz .LBB33_20
; %bb.9:
	s_cmp_lg_u32 s22, 0
	s_waitcnt lgkmcnt(0)
	s_mov_b32 s6, 0
	s_cbranch_scc0 .LBB33_23
; %bb.10:
	s_min_u32 s8, s23, 15
	s_add_i32 s8, s8, 1
	s_cmp_eq_u32 s23, 2
	s_cbranch_scc1 .LBB33_24
; %bb.11:
	v_mov_b32_e32 v8, 0
	v_mov_b32_e32 v0, 0
	;; [unrolled: 1-line block ×3, first 2 shown]
	s_and_b32 s7, s8, 28
	s_add_u32 s0, s2, 0xc4
	s_addc_u32 s1, s3, 0
	s_mov_b32 s9, 0
	s_mov_b64 s[4:5], s[2:3]
.LBB33_12:                              ; =>This Inner Loop Header: Depth=1
	s_clause 0x1
	s_load_dwordx8 s[12:19], s[4:5], 0x4
	s_load_dwordx4 s[36:39], s[4:5], 0x24
	s_load_dwordx8 s[24:31], s[0:1], 0x0
	s_add_u32 s4, s4, 48
	s_addc_u32 s5, s5, 0
	s_add_i32 s9, s9, 4
	s_add_u32 s0, s0, 32
	s_addc_u32 s1, s1, 0
	s_cmp_lg_u32 s7, s9
	s_waitcnt lgkmcnt(0)
	v_mul_hi_u32 v2, s13, v1
	v_add_nc_u32_e32 v2, v1, v2
	v_lshrrev_b32_e32 v2, s14, v2
	v_mul_hi_u32 v3, s16, v2
	v_mul_lo_u32 v5, v2, s12
	v_add_nc_u32_e32 v3, v2, v3
	v_sub_nc_u32_e32 v1, v1, v5
	v_lshrrev_b32_e32 v3, s17, v3
	v_mul_lo_u32 v5, v1, s24
	v_mul_lo_u32 v9, v1, s25
	v_mul_hi_u32 v4, s19, v3
	v_add_nc_u32_e32 v4, v3, v4
	v_lshrrev_b32_e32 v4, s36, v4
	v_mul_hi_u32 v6, s38, v4
	v_mul_lo_u32 v10, v4, s18
	v_add_nc_u32_e32 v1, v4, v6
	v_mul_lo_u32 v6, v3, s15
	v_sub_nc_u32_e32 v3, v3, v10
	v_lshrrev_b32_e32 v1, s39, v1
	v_mul_lo_u32 v10, v3, s28
	v_mul_lo_u32 v3, v3, s29
	v_sub_nc_u32_e32 v2, v2, v6
	v_mul_lo_u32 v11, v1, s37
	v_mul_lo_u32 v6, v2, s26
	;; [unrolled: 1-line block ×3, first 2 shown]
	v_sub_nc_u32_e32 v4, v4, v11
	v_add3_u32 v0, v5, v0, v6
	v_mul_lo_u32 v11, v4, s30
	v_mul_lo_u32 v4, v4, s31
	v_add3_u32 v2, v9, v8, v2
	v_add3_u32 v0, v10, v0, v11
	;; [unrolled: 1-line block ×3, first 2 shown]
	s_cbranch_scc1 .LBB33_12
; %bb.13:
	s_and_b32 s8, s8, 3
	s_cmp_eq_u32 s8, 0
	s_cbranch_scc0 .LBB33_25
	s_branch .LBB33_27
.LBB33_14:
	s_or_b32 exec_lo, exec_lo, s30
	s_mov_b32 s30, exec_lo
	v_cmpx_gt_i32_e64 s27, v7
	s_cbranch_execz .LBB33_175
.LBB33_15:
	s_andn2_b32 vcc_lo, exec_lo, s24
	s_cbranch_vccnz .LBB33_22
; %bb.16:
	s_andn2_b32 vcc_lo, exec_lo, s29
	s_cbranch_vccnz .LBB33_162
; %bb.17:
	s_add_i32 s33, s28, 1
	s_cmp_eq_u32 s23, 2
	s_cbranch_scc1 .LBB33_183
; %bb.18:
	v_mov_b32_e32 v2, 0
	v_mov_b32_e32 v0, 0
	;; [unrolled: 1-line block ×3, first 2 shown]
	s_and_b32 s31, s33, 28
	s_mov_b32 s34, 0
	s_mov_b64 s[0:1], s[2:3]
	s_mov_b64 s[20:21], s[18:19]
.LBB33_19:                              ; =>This Inner Loop Header: Depth=1
	s_clause 0x1
	s_load_dwordx8 s[36:43], s[0:1], 0x4
	s_load_dwordx4 s[52:55], s[0:1], 0x24
	s_load_dwordx8 s[44:51], s[20:21], 0x0
	s_add_u32 s0, s0, 48
	s_addc_u32 s1, s1, 0
	s_add_i32 s34, s34, 4
	s_add_u32 s20, s20, 32
	s_addc_u32 s21, s21, 0
	s_cmp_eq_u32 s31, s34
	s_waitcnt lgkmcnt(0)
	v_mul_hi_u32 v3, s37, v1
	v_add_nc_u32_e32 v3, v1, v3
	v_lshrrev_b32_e32 v3, s38, v3
	v_mul_hi_u32 v4, s40, v3
	v_mul_lo_u32 v6, v3, s36
	v_add_nc_u32_e32 v4, v3, v4
	v_sub_nc_u32_e32 v1, v1, v6
	v_lshrrev_b32_e32 v4, s41, v4
	v_mul_lo_u32 v6, v1, s44
	v_mul_lo_u32 v9, v1, s45
	v_mul_hi_u32 v5, s43, v4
	v_add_nc_u32_e32 v5, v4, v5
	v_lshrrev_b32_e32 v5, s52, v5
	v_mul_hi_u32 v8, s54, v5
	v_mul_lo_u32 v10, v5, s42
	v_add_nc_u32_e32 v1, v5, v8
	v_mul_lo_u32 v8, v4, s39
	v_sub_nc_u32_e32 v4, v4, v10
	v_lshrrev_b32_e32 v1, s55, v1
	v_mul_lo_u32 v10, v4, s48
	v_mul_lo_u32 v4, v4, s49
	v_sub_nc_u32_e32 v3, v3, v8
	v_mul_lo_u32 v11, v1, s53
	v_mul_lo_u32 v8, v3, s46
	;; [unrolled: 1-line block ×3, first 2 shown]
	v_sub_nc_u32_e32 v5, v5, v11
	v_add3_u32 v0, v6, v0, v8
	v_mul_lo_u32 v11, v5, s50
	v_mul_lo_u32 v5, v5, s51
	v_add3_u32 v2, v9, v2, v3
	v_add3_u32 v0, v10, v0, v11
	v_add3_u32 v2, v4, v2, v5
	s_cbranch_scc0 .LBB33_19
	s_branch .LBB33_184
.LBB33_20:
	s_waitcnt lgkmcnt(0)
	s_mov_b32 s6, -1
                                        ; implicit-def: $vgpr0
                                        ; implicit-def: $vgpr8
	s_branch .LBB33_27
.LBB33_21:
                                        ; implicit-def: $vgpr0
                                        ; implicit-def: $vgpr2
	s_branch .LBB33_168
.LBB33_22:
                                        ; implicit-def: $vgpr0
                                        ; implicit-def: $vgpr2
	s_branch .LBB33_188
.LBB33_23:
	v_mov_b32_e32 v0, 0
	v_mov_b32_e32 v8, 0
	s_branch .LBB33_27
.LBB33_24:
	v_mov_b32_e32 v0, 0
	v_mov_b32_e32 v8, 0
	;; [unrolled: 1-line block ×3, first 2 shown]
	s_mov_b32 s7, 0
	s_and_b32 s8, s8, 3
	s_cmp_eq_u32 s8, 0
	s_cbranch_scc1 .LBB33_27
.LBB33_25:
	s_lshl_b32 s0, s7, 3
	s_mul_i32 s4, s7, 12
	s_add_u32 s0, s2, s0
	s_addc_u32 s1, s3, 0
	s_add_u32 s0, s0, 0xc4
	s_addc_u32 s1, s1, 0
	;; [unrolled: 2-line block ×3, first 2 shown]
	.p2align	6
.LBB33_26:                              ; =>This Inner Loop Header: Depth=1
	s_clause 0x1
	s_load_dwordx2 s[10:11], s[4:5], 0x4
	s_load_dword s7, s[4:5], 0xc
	s_load_dwordx2 s[12:13], s[0:1], 0x0
	s_add_u32 s4, s4, 12
	s_addc_u32 s5, s5, 0
	s_add_u32 s0, s0, 8
	s_addc_u32 s1, s1, 0
	s_add_i32 s8, s8, -1
	s_cmp_lg_u32 s8, 0
	s_waitcnt lgkmcnt(0)
	v_mul_hi_u32 v2, s11, v1
	v_add_nc_u32_e32 v2, v1, v2
	v_lshrrev_b32_e32 v2, s7, v2
	v_mul_lo_u32 v3, v2, s10
	v_sub_nc_u32_e32 v3, v1, v3
	v_mad_u64_u32 v[0:1], null, v3, s12, v[0:1]
	v_mad_u64_u32 v[8:9], null, v3, s13, v[8:9]
	v_mov_b32_e32 v1, v2
	s_cbranch_scc1 .LBB33_26
.LBB33_27:
	s_andn2_b32 vcc_lo, exec_lo, s6
	s_cbranch_vccnz .LBB33_30
; %bb.28:
	s_clause 0x1
	s_load_dwordx4 s[4:7], s[2:3], 0x4
	s_load_dwordx2 s[0:1], s[2:3], 0xc4
	s_cmp_lt_u32 s22, 2
	s_waitcnt lgkmcnt(0)
	v_mul_hi_u32 v0, s5, v7
	v_add_nc_u32_e32 v0, v7, v0
	v_lshrrev_b32_e32 v1, s6, v0
	v_mul_lo_u32 v0, v1, s4
	v_sub_nc_u32_e32 v2, v7, v0
	v_mul_lo_u32 v0, v2, s0
	v_mul_lo_u32 v8, v2, s1
	s_cbranch_scc1 .LBB33_30
; %bb.29:
	s_clause 0x1
	s_load_dwordx4 s[4:7], s[2:3], 0x10
	s_load_dwordx2 s[0:1], s[2:3], 0xcc
	s_waitcnt lgkmcnt(0)
	v_mul_hi_u32 v2, s5, v1
	v_add_nc_u32_e32 v2, v1, v2
	v_lshrrev_b32_e32 v2, s6, v2
	v_mul_lo_u32 v2, v2, s4
	v_sub_nc_u32_e32 v2, v1, v2
	v_mad_u64_u32 v[0:1], null, v2, s0, v[0:1]
	v_mad_u64_u32 v[8:9], null, v2, s1, v[8:9]
.LBB33_30:
	v_cmp_ne_u32_e32 vcc_lo, 1, v12
	v_add_nc_u32_e32 v3, 0x80, v7
	s_cbranch_vccnz .LBB33_36
; %bb.31:
	s_cmp_lg_u32 s22, 0
	s_mov_b32 s6, 0
	s_cbranch_scc0 .LBB33_37
; %bb.32:
	s_min_u32 s8, s23, 15
	s_add_i32 s8, s8, 1
	s_cmp_eq_u32 s23, 2
	s_cbranch_scc1 .LBB33_38
; %bb.33:
	v_mov_b32_e32 v9, 0
	v_mov_b32_e32 v1, 0
	;; [unrolled: 1-line block ×3, first 2 shown]
	s_and_b32 s7, s8, 28
	s_add_u32 s0, s2, 0xc4
	s_addc_u32 s1, s3, 0
	s_mov_b32 s9, 0
	s_mov_b64 s[4:5], s[2:3]
.LBB33_34:                              ; =>This Inner Loop Header: Depth=1
	s_clause 0x1
	s_load_dwordx8 s[12:19], s[4:5], 0x4
	s_load_dwordx4 s[36:39], s[4:5], 0x24
	s_load_dwordx8 s[24:31], s[0:1], 0x0
	s_add_u32 s4, s4, 48
	s_addc_u32 s5, s5, 0
	s_add_i32 s9, s9, 4
	s_add_u32 s0, s0, 32
	s_addc_u32 s1, s1, 0
	s_cmp_lg_u32 s7, s9
	s_waitcnt lgkmcnt(0)
	v_mul_hi_u32 v4, s13, v2
	v_add_nc_u32_e32 v4, v2, v4
	v_lshrrev_b32_e32 v4, s14, v4
	v_mul_hi_u32 v5, s16, v4
	v_mul_lo_u32 v10, v4, s12
	v_add_nc_u32_e32 v5, v4, v5
	v_sub_nc_u32_e32 v2, v2, v10
	v_lshrrev_b32_e32 v5, s17, v5
	v_mul_lo_u32 v10, v2, s24
	v_mul_lo_u32 v13, v2, s25
	v_mul_hi_u32 v6, s19, v5
	v_add_nc_u32_e32 v6, v5, v6
	v_lshrrev_b32_e32 v6, s36, v6
	v_mul_hi_u32 v11, s38, v6
	v_mul_lo_u32 v14, v6, s18
	v_add_nc_u32_e32 v2, v6, v11
	v_mul_lo_u32 v11, v5, s15
	v_sub_nc_u32_e32 v5, v5, v14
	v_lshrrev_b32_e32 v2, s39, v2
	v_mul_lo_u32 v14, v5, s28
	v_mul_lo_u32 v5, v5, s29
	v_sub_nc_u32_e32 v4, v4, v11
	v_mul_lo_u32 v15, v2, s37
	v_mul_lo_u32 v11, v4, s26
	;; [unrolled: 1-line block ×3, first 2 shown]
	v_sub_nc_u32_e32 v6, v6, v15
	v_add3_u32 v1, v10, v1, v11
	v_mul_lo_u32 v15, v6, s30
	v_mul_lo_u32 v6, v6, s31
	v_add3_u32 v4, v13, v9, v4
	v_add3_u32 v1, v14, v1, v15
	v_add3_u32 v9, v5, v4, v6
	s_cbranch_scc1 .LBB33_34
; %bb.35:
	s_and_b32 s8, s8, 3
	s_cmp_eq_u32 s8, 0
	s_cbranch_scc0 .LBB33_39
	s_branch .LBB33_41
.LBB33_36:
	s_mov_b32 s6, -1
                                        ; implicit-def: $vgpr1
                                        ; implicit-def: $vgpr9
	s_branch .LBB33_41
.LBB33_37:
	v_mov_b32_e32 v1, 0
	v_mov_b32_e32 v9, 0
	s_branch .LBB33_41
.LBB33_38:
	v_mov_b32_e32 v1, 0
	v_mov_b32_e32 v9, 0
	;; [unrolled: 1-line block ×3, first 2 shown]
	s_mov_b32 s7, 0
	s_and_b32 s8, s8, 3
	s_cmp_eq_u32 s8, 0
	s_cbranch_scc1 .LBB33_41
.LBB33_39:
	s_lshl_b32 s0, s7, 3
	s_mul_i32 s4, s7, 12
	s_add_u32 s0, s2, s0
	s_addc_u32 s1, s3, 0
	s_add_u32 s0, s0, 0xc4
	s_addc_u32 s1, s1, 0
	s_add_u32 s4, s2, s4
	s_addc_u32 s5, s3, 0
	.p2align	6
.LBB33_40:                              ; =>This Inner Loop Header: Depth=1
	s_clause 0x1
	s_load_dwordx2 s[10:11], s[4:5], 0x4
	s_load_dword s7, s[4:5], 0xc
	s_load_dwordx2 s[12:13], s[0:1], 0x0
	s_add_u32 s4, s4, 12
	s_addc_u32 s5, s5, 0
	s_add_u32 s0, s0, 8
	s_addc_u32 s1, s1, 0
	s_add_i32 s8, s8, -1
	s_cmp_lg_u32 s8, 0
	s_waitcnt lgkmcnt(0)
	v_mul_hi_u32 v4, s11, v2
	v_add_nc_u32_e32 v4, v2, v4
	v_lshrrev_b32_e32 v4, s7, v4
	v_mul_lo_u32 v5, v4, s10
	v_sub_nc_u32_e32 v5, v2, v5
	v_mad_u64_u32 v[1:2], null, v5, s12, v[1:2]
	v_mad_u64_u32 v[9:10], null, v5, s13, v[9:10]
	v_mov_b32_e32 v2, v4
	s_cbranch_scc1 .LBB33_40
.LBB33_41:
	s_andn2_b32 vcc_lo, exec_lo, s6
	s_cbranch_vccnz .LBB33_44
; %bb.42:
	s_clause 0x1
	s_load_dwordx4 s[4:7], s[2:3], 0x4
	s_load_dwordx2 s[0:1], s[2:3], 0xc4
	s_cmp_lt_u32 s22, 2
	s_waitcnt lgkmcnt(0)
	v_mul_hi_u32 v1, s5, v3
	v_add_nc_u32_e32 v1, v3, v1
	v_lshrrev_b32_e32 v2, s6, v1
	v_mul_lo_u32 v1, v2, s4
	v_sub_nc_u32_e32 v3, v3, v1
	v_mul_lo_u32 v1, v3, s0
	v_mul_lo_u32 v9, v3, s1
	s_cbranch_scc1 .LBB33_44
; %bb.43:
	s_clause 0x1
	s_load_dwordx4 s[4:7], s[2:3], 0x10
	s_load_dwordx2 s[0:1], s[2:3], 0xcc
	s_waitcnt lgkmcnt(0)
	v_mul_hi_u32 v3, s5, v2
	v_add_nc_u32_e32 v3, v2, v3
	v_lshrrev_b32_e32 v3, s6, v3
	v_mul_lo_u32 v3, v3, s4
	v_sub_nc_u32_e32 v3, v2, v3
	v_mad_u64_u32 v[1:2], null, v3, s0, v[1:2]
	v_mad_u64_u32 v[9:10], null, v3, s1, v[9:10]
.LBB33_44:
	v_cmp_ne_u32_e32 vcc_lo, 1, v12
	v_add_nc_u32_e32 v4, 0x100, v7
	s_cbranch_vccnz .LBB33_50
; %bb.45:
	s_cmp_lg_u32 s22, 0
	s_mov_b32 s6, 0
	s_cbranch_scc0 .LBB33_51
; %bb.46:
	s_min_u32 s8, s23, 15
	s_add_i32 s8, s8, 1
	s_cmp_eq_u32 s23, 2
	s_cbranch_scc1 .LBB33_52
; %bb.47:
	v_mov_b32_e32 v10, 0
	v_mov_b32_e32 v2, 0
	;; [unrolled: 1-line block ×3, first 2 shown]
	s_and_b32 s7, s8, 28
	s_add_u32 s0, s2, 0xc4
	s_addc_u32 s1, s3, 0
	s_mov_b32 s9, 0
	s_mov_b64 s[4:5], s[2:3]
.LBB33_48:                              ; =>This Inner Loop Header: Depth=1
	s_clause 0x1
	s_load_dwordx8 s[12:19], s[4:5], 0x4
	s_load_dwordx4 s[36:39], s[4:5], 0x24
	s_load_dwordx8 s[24:31], s[0:1], 0x0
	s_add_u32 s4, s4, 48
	s_addc_u32 s5, s5, 0
	s_add_i32 s9, s9, 4
	s_add_u32 s0, s0, 32
	s_addc_u32 s1, s1, 0
	s_cmp_lg_u32 s7, s9
	s_waitcnt lgkmcnt(0)
	v_mul_hi_u32 v5, s13, v3
	v_add_nc_u32_e32 v5, v3, v5
	v_lshrrev_b32_e32 v5, s14, v5
	v_mul_hi_u32 v6, s16, v5
	v_mul_lo_u32 v13, v5, s12
	v_add_nc_u32_e32 v6, v5, v6
	v_sub_nc_u32_e32 v3, v3, v13
	v_lshrrev_b32_e32 v6, s17, v6
	v_mul_lo_u32 v13, v3, s24
	v_mul_lo_u32 v15, v3, s25
	v_mul_hi_u32 v11, s19, v6
	v_add_nc_u32_e32 v11, v6, v11
	v_lshrrev_b32_e32 v11, s36, v11
	v_mul_hi_u32 v14, s38, v11
	v_mul_lo_u32 v16, v11, s18
	v_add_nc_u32_e32 v3, v11, v14
	v_mul_lo_u32 v14, v6, s15
	v_sub_nc_u32_e32 v6, v6, v16
	v_lshrrev_b32_e32 v3, s39, v3
	v_mul_lo_u32 v16, v6, s28
	v_mul_lo_u32 v6, v6, s29
	v_sub_nc_u32_e32 v5, v5, v14
	v_mul_lo_u32 v17, v3, s37
	v_mul_lo_u32 v14, v5, s26
	;; [unrolled: 1-line block ×3, first 2 shown]
	v_sub_nc_u32_e32 v11, v11, v17
	v_add3_u32 v2, v13, v2, v14
	v_mul_lo_u32 v17, v11, s30
	v_mul_lo_u32 v11, v11, s31
	v_add3_u32 v5, v15, v10, v5
	v_add3_u32 v2, v16, v2, v17
	;; [unrolled: 1-line block ×3, first 2 shown]
	s_cbranch_scc1 .LBB33_48
; %bb.49:
	s_and_b32 s8, s8, 3
	s_cmp_eq_u32 s8, 0
	s_cbranch_scc0 .LBB33_53
	s_branch .LBB33_55
.LBB33_50:
	s_mov_b32 s6, -1
                                        ; implicit-def: $vgpr2
                                        ; implicit-def: $vgpr10
	s_branch .LBB33_55
.LBB33_51:
	v_mov_b32_e32 v2, 0
	v_mov_b32_e32 v10, 0
	s_branch .LBB33_55
.LBB33_52:
	v_mov_b32_e32 v2, 0
	v_mov_b32_e32 v10, 0
	;; [unrolled: 1-line block ×3, first 2 shown]
	s_mov_b32 s7, 0
	s_and_b32 s8, s8, 3
	s_cmp_eq_u32 s8, 0
	s_cbranch_scc1 .LBB33_55
.LBB33_53:
	s_lshl_b32 s0, s7, 3
	s_mul_i32 s4, s7, 12
	s_add_u32 s0, s2, s0
	s_addc_u32 s1, s3, 0
	s_add_u32 s0, s0, 0xc4
	s_addc_u32 s1, s1, 0
	;; [unrolled: 2-line block ×3, first 2 shown]
	.p2align	6
.LBB33_54:                              ; =>This Inner Loop Header: Depth=1
	s_clause 0x1
	s_load_dwordx2 s[10:11], s[4:5], 0x4
	s_load_dword s7, s[4:5], 0xc
	s_load_dwordx2 s[12:13], s[0:1], 0x0
	s_add_u32 s4, s4, 12
	s_addc_u32 s5, s5, 0
	s_add_u32 s0, s0, 8
	s_addc_u32 s1, s1, 0
	s_add_i32 s8, s8, -1
	s_cmp_lg_u32 s8, 0
	s_waitcnt lgkmcnt(0)
	v_mul_hi_u32 v5, s11, v3
	v_add_nc_u32_e32 v5, v3, v5
	v_lshrrev_b32_e32 v5, s7, v5
	v_mul_lo_u32 v6, v5, s10
	v_sub_nc_u32_e32 v6, v3, v6
	v_mad_u64_u32 v[2:3], null, v6, s12, v[2:3]
	v_mad_u64_u32 v[10:11], null, v6, s13, v[10:11]
	v_mov_b32_e32 v3, v5
	s_cbranch_scc1 .LBB33_54
.LBB33_55:
	s_andn2_b32 vcc_lo, exec_lo, s6
	s_cbranch_vccnz .LBB33_58
; %bb.56:
	s_clause 0x1
	s_load_dwordx4 s[4:7], s[2:3], 0x4
	s_load_dwordx2 s[0:1], s[2:3], 0xc4
	s_cmp_lt_u32 s22, 2
	s_waitcnt lgkmcnt(0)
	v_mul_hi_u32 v2, s5, v4
	v_add_nc_u32_e32 v2, v4, v2
	v_lshrrev_b32_e32 v3, s6, v2
	v_mul_lo_u32 v2, v3, s4
	v_sub_nc_u32_e32 v4, v4, v2
	v_mul_lo_u32 v2, v4, s0
	v_mul_lo_u32 v10, v4, s1
	s_cbranch_scc1 .LBB33_58
; %bb.57:
	s_clause 0x1
	s_load_dwordx4 s[4:7], s[2:3], 0x10
	s_load_dwordx2 s[0:1], s[2:3], 0xcc
	s_waitcnt lgkmcnt(0)
	v_mul_hi_u32 v4, s5, v3
	v_add_nc_u32_e32 v4, v3, v4
	v_lshrrev_b32_e32 v4, s6, v4
	v_mul_lo_u32 v4, v4, s4
	v_sub_nc_u32_e32 v4, v3, v4
	v_mad_u64_u32 v[2:3], null, v4, s0, v[2:3]
	v_mad_u64_u32 v[10:11], null, v4, s1, v[10:11]
.LBB33_58:
	v_cmp_ne_u32_e32 vcc_lo, 1, v12
	v_add_nc_u32_e32 v5, 0x180, v7
	s_cbranch_vccnz .LBB33_64
; %bb.59:
	s_cmp_lg_u32 s22, 0
	s_mov_b32 s6, 0
	s_cbranch_scc0 .LBB33_65
; %bb.60:
	s_min_u32 s8, s23, 15
	s_add_i32 s8, s8, 1
	s_cmp_eq_u32 s23, 2
	s_cbranch_scc1 .LBB33_66
; %bb.61:
	v_mov_b32_e32 v13, 0
	v_mov_b32_e32 v3, 0
	;; [unrolled: 1-line block ×3, first 2 shown]
	s_and_b32 s7, s8, 28
	s_add_u32 s0, s2, 0xc4
	s_addc_u32 s1, s3, 0
	s_mov_b32 s9, 0
	s_mov_b64 s[4:5], s[2:3]
.LBB33_62:                              ; =>This Inner Loop Header: Depth=1
	s_clause 0x1
	s_load_dwordx8 s[12:19], s[4:5], 0x4
	s_load_dwordx4 s[36:39], s[4:5], 0x24
	s_load_dwordx8 s[24:31], s[0:1], 0x0
	s_add_u32 s4, s4, 48
	s_addc_u32 s5, s5, 0
	s_add_i32 s9, s9, 4
	s_add_u32 s0, s0, 32
	s_addc_u32 s1, s1, 0
	s_cmp_lg_u32 s7, s9
	s_waitcnt lgkmcnt(0)
	v_mul_hi_u32 v6, s13, v4
	v_add_nc_u32_e32 v6, v4, v6
	v_lshrrev_b32_e32 v6, s14, v6
	v_mul_hi_u32 v11, s16, v6
	v_mul_lo_u32 v15, v6, s12
	v_add_nc_u32_e32 v11, v6, v11
	v_sub_nc_u32_e32 v4, v4, v15
	v_lshrrev_b32_e32 v11, s17, v11
	v_mul_lo_u32 v15, v4, s24
	v_mul_lo_u32 v17, v4, s25
	v_mul_hi_u32 v14, s19, v11
	v_add_nc_u32_e32 v14, v11, v14
	v_lshrrev_b32_e32 v14, s36, v14
	v_mul_hi_u32 v16, s38, v14
	v_mul_lo_u32 v18, v14, s18
	v_add_nc_u32_e32 v4, v14, v16
	v_mul_lo_u32 v16, v11, s15
	v_sub_nc_u32_e32 v11, v11, v18
	v_lshrrev_b32_e32 v4, s39, v4
	v_mul_lo_u32 v18, v11, s28
	v_mul_lo_u32 v11, v11, s29
	v_sub_nc_u32_e32 v6, v6, v16
	v_mul_lo_u32 v20, v4, s37
	v_mul_lo_u32 v16, v6, s26
	;; [unrolled: 1-line block ×3, first 2 shown]
	v_sub_nc_u32_e32 v14, v14, v20
	v_add3_u32 v3, v15, v3, v16
	v_mul_lo_u32 v20, v14, s30
	v_mul_lo_u32 v14, v14, s31
	v_add3_u32 v6, v17, v13, v6
	v_add3_u32 v3, v18, v3, v20
	;; [unrolled: 1-line block ×3, first 2 shown]
	s_cbranch_scc1 .LBB33_62
; %bb.63:
	s_and_b32 s8, s8, 3
	s_cmp_eq_u32 s8, 0
	s_cbranch_scc0 .LBB33_67
	s_branch .LBB33_69
.LBB33_64:
	s_mov_b32 s6, -1
                                        ; implicit-def: $vgpr3
                                        ; implicit-def: $vgpr13
	s_branch .LBB33_69
.LBB33_65:
	v_mov_b32_e32 v3, 0
	v_mov_b32_e32 v13, 0
	s_branch .LBB33_69
.LBB33_66:
	v_mov_b32_e32 v3, 0
	v_mov_b32_e32 v13, 0
	;; [unrolled: 1-line block ×3, first 2 shown]
	s_mov_b32 s7, 0
	s_and_b32 s8, s8, 3
	s_cmp_eq_u32 s8, 0
	s_cbranch_scc1 .LBB33_69
.LBB33_67:
	s_lshl_b32 s0, s7, 3
	s_mul_i32 s4, s7, 12
	s_add_u32 s0, s2, s0
	s_addc_u32 s1, s3, 0
	s_add_u32 s0, s0, 0xc4
	s_addc_u32 s1, s1, 0
	;; [unrolled: 2-line block ×3, first 2 shown]
	.p2align	6
.LBB33_68:                              ; =>This Inner Loop Header: Depth=1
	s_clause 0x1
	s_load_dwordx2 s[10:11], s[4:5], 0x4
	s_load_dword s7, s[4:5], 0xc
	s_load_dwordx2 s[12:13], s[0:1], 0x0
	s_add_u32 s4, s4, 12
	s_addc_u32 s5, s5, 0
	s_add_u32 s0, s0, 8
	s_addc_u32 s1, s1, 0
	s_add_i32 s8, s8, -1
	s_cmp_lg_u32 s8, 0
	s_waitcnt lgkmcnt(0)
	v_mul_hi_u32 v6, s11, v4
	v_add_nc_u32_e32 v6, v4, v6
	v_lshrrev_b32_e32 v6, s7, v6
	v_mul_lo_u32 v11, v6, s10
	v_sub_nc_u32_e32 v11, v4, v11
	v_mad_u64_u32 v[3:4], null, v11, s12, v[3:4]
	v_mad_u64_u32 v[13:14], null, v11, s13, v[13:14]
	v_mov_b32_e32 v4, v6
	s_cbranch_scc1 .LBB33_68
.LBB33_69:
	s_andn2_b32 vcc_lo, exec_lo, s6
	s_cbranch_vccnz .LBB33_72
; %bb.70:
	s_clause 0x1
	s_load_dwordx4 s[4:7], s[2:3], 0x4
	s_load_dwordx2 s[0:1], s[2:3], 0xc4
	s_cmp_lt_u32 s22, 2
	s_waitcnt lgkmcnt(0)
	v_mul_hi_u32 v3, s5, v5
	v_add_nc_u32_e32 v3, v5, v3
	v_lshrrev_b32_e32 v4, s6, v3
	v_mul_lo_u32 v3, v4, s4
	v_sub_nc_u32_e32 v5, v5, v3
	v_mul_lo_u32 v3, v5, s0
	v_mul_lo_u32 v13, v5, s1
	s_cbranch_scc1 .LBB33_72
; %bb.71:
	s_clause 0x1
	s_load_dwordx4 s[4:7], s[2:3], 0x10
	s_load_dwordx2 s[0:1], s[2:3], 0xcc
	s_waitcnt lgkmcnt(0)
	v_mul_hi_u32 v5, s5, v4
	v_add_nc_u32_e32 v5, v4, v5
	v_lshrrev_b32_e32 v5, s6, v5
	v_mul_lo_u32 v5, v5, s4
	v_sub_nc_u32_e32 v5, v4, v5
	v_mad_u64_u32 v[3:4], null, v5, s0, v[3:4]
	v_mad_u64_u32 v[13:14], null, v5, s1, v[13:14]
.LBB33_72:
	v_cmp_ne_u32_e32 vcc_lo, 1, v12
	v_add_nc_u32_e32 v6, 0x200, v7
	s_cbranch_vccnz .LBB33_78
; %bb.73:
	s_cmp_lg_u32 s22, 0
	s_mov_b32 s6, 0
	s_cbranch_scc0 .LBB33_79
; %bb.74:
	s_min_u32 s8, s23, 15
	s_add_i32 s8, s8, 1
	s_cmp_eq_u32 s23, 2
	s_cbranch_scc1 .LBB33_80
; %bb.75:
	v_mov_b32_e32 v14, 0
	v_mov_b32_e32 v4, 0
	v_mov_b32_e32 v5, v6
	s_and_b32 s7, s8, 28
	s_add_u32 s0, s2, 0xc4
	s_addc_u32 s1, s3, 0
	s_mov_b32 s9, 0
	s_mov_b64 s[4:5], s[2:3]
.LBB33_76:                              ; =>This Inner Loop Header: Depth=1
	s_clause 0x1
	s_load_dwordx8 s[12:19], s[4:5], 0x4
	s_load_dwordx4 s[36:39], s[4:5], 0x24
	s_load_dwordx8 s[24:31], s[0:1], 0x0
	s_add_u32 s4, s4, 48
	s_addc_u32 s5, s5, 0
	s_add_i32 s9, s9, 4
	s_add_u32 s0, s0, 32
	s_addc_u32 s1, s1, 0
	s_cmp_lg_u32 s7, s9
	s_waitcnt lgkmcnt(0)
	v_mul_hi_u32 v11, s13, v5
	v_add_nc_u32_e32 v11, v5, v11
	v_lshrrev_b32_e32 v11, s14, v11
	v_mul_hi_u32 v15, s16, v11
	v_mul_lo_u32 v17, v11, s12
	v_add_nc_u32_e32 v15, v11, v15
	v_sub_nc_u32_e32 v5, v5, v17
	v_lshrrev_b32_e32 v15, s17, v15
	v_mul_lo_u32 v17, v5, s24
	v_mul_lo_u32 v20, v5, s25
	v_mul_hi_u32 v16, s19, v15
	v_add_nc_u32_e32 v16, v15, v16
	v_lshrrev_b32_e32 v16, s36, v16
	v_mul_hi_u32 v18, s38, v16
	v_mul_lo_u32 v21, v16, s18
	v_add_nc_u32_e32 v5, v16, v18
	v_mul_lo_u32 v18, v15, s15
	v_sub_nc_u32_e32 v15, v15, v21
	v_lshrrev_b32_e32 v5, s39, v5
	v_mul_lo_u32 v21, v15, s28
	v_mul_lo_u32 v15, v15, s29
	v_sub_nc_u32_e32 v11, v11, v18
	v_mul_lo_u32 v22, v5, s37
	v_mul_lo_u32 v18, v11, s26
	v_mul_lo_u32 v11, v11, s27
	v_sub_nc_u32_e32 v16, v16, v22
	v_add3_u32 v4, v17, v4, v18
	v_mul_lo_u32 v22, v16, s30
	v_mul_lo_u32 v16, v16, s31
	v_add3_u32 v11, v20, v14, v11
	v_add3_u32 v4, v21, v4, v22
	;; [unrolled: 1-line block ×3, first 2 shown]
	s_cbranch_scc1 .LBB33_76
; %bb.77:
	s_and_b32 s8, s8, 3
	s_cmp_eq_u32 s8, 0
	s_cbranch_scc0 .LBB33_81
	s_branch .LBB33_83
.LBB33_78:
	s_mov_b32 s6, -1
                                        ; implicit-def: $vgpr4
                                        ; implicit-def: $vgpr14
	s_branch .LBB33_83
.LBB33_79:
	v_mov_b32_e32 v4, 0
	v_mov_b32_e32 v14, 0
	s_branch .LBB33_83
.LBB33_80:
	v_mov_b32_e32 v4, 0
	v_mov_b32_e32 v14, 0
	;; [unrolled: 1-line block ×3, first 2 shown]
	s_mov_b32 s7, 0
	s_and_b32 s8, s8, 3
	s_cmp_eq_u32 s8, 0
	s_cbranch_scc1 .LBB33_83
.LBB33_81:
	s_lshl_b32 s0, s7, 3
	s_mul_i32 s4, s7, 12
	s_add_u32 s0, s2, s0
	s_addc_u32 s1, s3, 0
	s_add_u32 s0, s0, 0xc4
	s_addc_u32 s1, s1, 0
	s_add_u32 s4, s2, s4
	s_addc_u32 s5, s3, 0
	.p2align	6
.LBB33_82:                              ; =>This Inner Loop Header: Depth=1
	s_clause 0x1
	s_load_dwordx2 s[10:11], s[4:5], 0x4
	s_load_dword s7, s[4:5], 0xc
	s_load_dwordx2 s[12:13], s[0:1], 0x0
	s_add_u32 s4, s4, 12
	s_addc_u32 s5, s5, 0
	s_add_u32 s0, s0, 8
	s_addc_u32 s1, s1, 0
	s_add_i32 s8, s8, -1
	s_cmp_lg_u32 s8, 0
	s_waitcnt lgkmcnt(0)
	v_mul_hi_u32 v11, s11, v5
	v_add_nc_u32_e32 v11, v5, v11
	v_lshrrev_b32_e32 v11, s7, v11
	v_mul_lo_u32 v15, v11, s10
	v_sub_nc_u32_e32 v15, v5, v15
	v_mad_u64_u32 v[4:5], null, v15, s12, v[4:5]
	v_mad_u64_u32 v[14:15], null, v15, s13, v[14:15]
	v_mov_b32_e32 v5, v11
	s_cbranch_scc1 .LBB33_82
.LBB33_83:
	s_andn2_b32 vcc_lo, exec_lo, s6
	s_cbranch_vccnz .LBB33_86
; %bb.84:
	s_clause 0x1
	s_load_dwordx4 s[4:7], s[2:3], 0x4
	s_load_dwordx2 s[0:1], s[2:3], 0xc4
	s_cmp_lt_u32 s22, 2
	s_waitcnt lgkmcnt(0)
	v_mul_hi_u32 v4, s5, v6
	v_add_nc_u32_e32 v4, v6, v4
	v_lshrrev_b32_e32 v5, s6, v4
	v_mul_lo_u32 v4, v5, s4
	v_sub_nc_u32_e32 v6, v6, v4
	v_mul_lo_u32 v4, v6, s0
	v_mul_lo_u32 v14, v6, s1
	s_cbranch_scc1 .LBB33_86
; %bb.85:
	s_clause 0x1
	s_load_dwordx4 s[4:7], s[2:3], 0x10
	s_load_dwordx2 s[0:1], s[2:3], 0xcc
	s_waitcnt lgkmcnt(0)
	v_mul_hi_u32 v6, s5, v5
	v_add_nc_u32_e32 v6, v5, v6
	v_lshrrev_b32_e32 v6, s6, v6
	v_mul_lo_u32 v6, v6, s4
	v_sub_nc_u32_e32 v6, v5, v6
	v_mad_u64_u32 v[4:5], null, v6, s0, v[4:5]
	v_mad_u64_u32 v[14:15], null, v6, s1, v[14:15]
.LBB33_86:
	v_cmp_ne_u32_e32 vcc_lo, 1, v12
	v_add_nc_u32_e32 v11, 0x280, v7
	s_cbranch_vccnz .LBB33_92
; %bb.87:
	s_cmp_lg_u32 s22, 0
	s_mov_b32 s6, 0
	s_cbranch_scc0 .LBB33_93
; %bb.88:
	s_min_u32 s8, s23, 15
	s_add_i32 s8, s8, 1
	s_cmp_eq_u32 s23, 2
	s_cbranch_scc1 .LBB33_94
; %bb.89:
	v_mov_b32_e32 v15, 0
	v_mov_b32_e32 v5, 0
	;; [unrolled: 1-line block ×3, first 2 shown]
	s_and_b32 s7, s8, 28
	s_add_u32 s0, s2, 0xc4
	s_addc_u32 s1, s3, 0
	s_mov_b32 s9, 0
	s_mov_b64 s[4:5], s[2:3]
.LBB33_90:                              ; =>This Inner Loop Header: Depth=1
	s_clause 0x1
	s_load_dwordx8 s[12:19], s[4:5], 0x4
	s_load_dwordx4 s[36:39], s[4:5], 0x24
	s_load_dwordx8 s[24:31], s[0:1], 0x0
	s_add_u32 s4, s4, 48
	s_addc_u32 s5, s5, 0
	s_add_i32 s9, s9, 4
	s_add_u32 s0, s0, 32
	s_addc_u32 s1, s1, 0
	s_cmp_lg_u32 s7, s9
	s_waitcnt lgkmcnt(0)
	v_mul_hi_u32 v16, s13, v6
	v_add_nc_u32_e32 v16, v6, v16
	v_lshrrev_b32_e32 v16, s14, v16
	v_mul_hi_u32 v17, s16, v16
	v_mul_lo_u32 v20, v16, s12
	v_add_nc_u32_e32 v17, v16, v17
	v_sub_nc_u32_e32 v6, v6, v20
	v_lshrrev_b32_e32 v17, s17, v17
	v_mul_lo_u32 v20, v6, s24
	v_mul_lo_u32 v22, v6, s25
	v_mul_hi_u32 v18, s19, v17
	v_add_nc_u32_e32 v18, v17, v18
	v_lshrrev_b32_e32 v18, s36, v18
	v_mul_hi_u32 v21, s38, v18
	v_mul_lo_u32 v23, v18, s18
	v_add_nc_u32_e32 v6, v18, v21
	v_mul_lo_u32 v21, v17, s15
	v_sub_nc_u32_e32 v17, v17, v23
	v_lshrrev_b32_e32 v6, s39, v6
	v_mul_lo_u32 v23, v17, s28
	v_mul_lo_u32 v17, v17, s29
	v_sub_nc_u32_e32 v16, v16, v21
	v_mul_lo_u32 v24, v6, s37
	v_mul_lo_u32 v21, v16, s26
	;; [unrolled: 1-line block ×3, first 2 shown]
	v_sub_nc_u32_e32 v18, v18, v24
	v_add3_u32 v5, v20, v5, v21
	v_mul_lo_u32 v24, v18, s30
	v_mul_lo_u32 v18, v18, s31
	v_add3_u32 v15, v22, v15, v16
	v_add3_u32 v5, v23, v5, v24
	;; [unrolled: 1-line block ×3, first 2 shown]
	s_cbranch_scc1 .LBB33_90
; %bb.91:
	s_and_b32 s8, s8, 3
	s_cmp_eq_u32 s8, 0
	s_cbranch_scc0 .LBB33_95
	s_branch .LBB33_97
.LBB33_92:
	s_mov_b32 s6, -1
                                        ; implicit-def: $vgpr5
                                        ; implicit-def: $vgpr15
	s_branch .LBB33_97
.LBB33_93:
	v_mov_b32_e32 v5, 0
	v_mov_b32_e32 v15, 0
	s_branch .LBB33_97
.LBB33_94:
	v_mov_b32_e32 v5, 0
	v_mov_b32_e32 v15, 0
	;; [unrolled: 1-line block ×3, first 2 shown]
	s_mov_b32 s7, 0
	s_and_b32 s8, s8, 3
	s_cmp_eq_u32 s8, 0
	s_cbranch_scc1 .LBB33_97
.LBB33_95:
	s_lshl_b32 s0, s7, 3
	s_mul_i32 s4, s7, 12
	s_add_u32 s0, s2, s0
	s_addc_u32 s1, s3, 0
	s_add_u32 s0, s0, 0xc4
	s_addc_u32 s1, s1, 0
	;; [unrolled: 2-line block ×3, first 2 shown]
	.p2align	6
.LBB33_96:                              ; =>This Inner Loop Header: Depth=1
	s_clause 0x1
	s_load_dwordx2 s[10:11], s[4:5], 0x4
	s_load_dword s7, s[4:5], 0xc
	s_load_dwordx2 s[12:13], s[0:1], 0x0
	s_add_u32 s4, s4, 12
	s_addc_u32 s5, s5, 0
	s_add_u32 s0, s0, 8
	s_addc_u32 s1, s1, 0
	s_add_i32 s8, s8, -1
	s_cmp_lg_u32 s8, 0
	s_waitcnt lgkmcnt(0)
	v_mul_hi_u32 v16, s11, v6
	v_add_nc_u32_e32 v16, v6, v16
	v_lshrrev_b32_e32 v17, s7, v16
	v_mul_lo_u32 v16, v17, s10
	v_sub_nc_u32_e32 v16, v6, v16
	v_mad_u64_u32 v[5:6], null, v16, s12, v[5:6]
	v_mad_u64_u32 v[15:16], null, v16, s13, v[15:16]
	v_mov_b32_e32 v6, v17
	s_cbranch_scc1 .LBB33_96
.LBB33_97:
	s_andn2_b32 vcc_lo, exec_lo, s6
	s_cbranch_vccnz .LBB33_100
; %bb.98:
	s_clause 0x1
	s_load_dwordx4 s[4:7], s[2:3], 0x4
	s_load_dwordx2 s[0:1], s[2:3], 0xc4
	s_cmp_lt_u32 s22, 2
	s_waitcnt lgkmcnt(0)
	v_mul_hi_u32 v5, s5, v11
	v_add_nc_u32_e32 v5, v11, v5
	v_lshrrev_b32_e32 v6, s6, v5
	v_mul_lo_u32 v5, v6, s4
	v_sub_nc_u32_e32 v11, v11, v5
	v_mul_lo_u32 v5, v11, s0
	v_mul_lo_u32 v15, v11, s1
	s_cbranch_scc1 .LBB33_100
; %bb.99:
	s_clause 0x1
	s_load_dwordx4 s[4:7], s[2:3], 0x10
	s_load_dwordx2 s[0:1], s[2:3], 0xcc
	s_waitcnt lgkmcnt(0)
	v_mul_hi_u32 v11, s5, v6
	v_add_nc_u32_e32 v11, v6, v11
	v_lshrrev_b32_e32 v11, s6, v11
	v_mul_lo_u32 v11, v11, s4
	v_sub_nc_u32_e32 v11, v6, v11
	v_mad_u64_u32 v[5:6], null, v11, s0, v[5:6]
	v_mad_u64_u32 v[15:16], null, v11, s1, v[15:16]
.LBB33_100:
	v_cmp_ne_u32_e32 vcc_lo, 1, v12
	v_add_nc_u32_e32 v11, 0x300, v7
	s_cbranch_vccnz .LBB33_106
; %bb.101:
	s_cmp_lg_u32 s22, 0
	s_mov_b32 s6, 0
	s_cbranch_scc0 .LBB33_107
; %bb.102:
	s_min_u32 s8, s23, 15
	s_add_i32 s8, s8, 1
	s_cmp_eq_u32 s23, 2
	s_cbranch_scc1 .LBB33_108
; %bb.103:
	v_mov_b32_e32 v16, 0
	v_mov_b32_e32 v6, 0
	;; [unrolled: 1-line block ×3, first 2 shown]
	s_and_b32 s7, s8, 28
	s_add_u32 s0, s2, 0xc4
	s_addc_u32 s1, s3, 0
	s_mov_b32 s9, 0
	s_mov_b64 s[4:5], s[2:3]
.LBB33_104:                             ; =>This Inner Loop Header: Depth=1
	s_clause 0x1
	s_load_dwordx8 s[12:19], s[4:5], 0x4
	s_load_dwordx4 s[36:39], s[4:5], 0x24
	s_load_dwordx8 s[24:31], s[0:1], 0x0
	s_add_u32 s4, s4, 48
	s_addc_u32 s5, s5, 0
	s_add_i32 s9, s9, 4
	s_add_u32 s0, s0, 32
	s_addc_u32 s1, s1, 0
	s_cmp_lg_u32 s7, s9
	s_waitcnt lgkmcnt(0)
	v_mul_hi_u32 v17, s13, v7
	v_add_nc_u32_e32 v17, v7, v17
	v_lshrrev_b32_e32 v17, s14, v17
	v_mul_hi_u32 v18, s16, v17
	v_mul_lo_u32 v21, v17, s12
	v_add_nc_u32_e32 v18, v17, v18
	v_sub_nc_u32_e32 v7, v7, v21
	v_lshrrev_b32_e32 v18, s17, v18
	v_mul_lo_u32 v21, v7, s24
	v_mul_lo_u32 v23, v7, s25
	v_mul_hi_u32 v20, s19, v18
	v_add_nc_u32_e32 v20, v18, v20
	v_lshrrev_b32_e32 v20, s36, v20
	v_mul_hi_u32 v22, s38, v20
	v_mul_lo_u32 v24, v20, s18
	v_add_nc_u32_e32 v7, v20, v22
	v_mul_lo_u32 v22, v18, s15
	v_sub_nc_u32_e32 v18, v18, v24
	v_lshrrev_b32_e32 v7, s39, v7
	v_mul_lo_u32 v24, v18, s28
	v_mul_lo_u32 v18, v18, s29
	v_sub_nc_u32_e32 v17, v17, v22
	v_mul_lo_u32 v25, v7, s37
	v_mul_lo_u32 v22, v17, s26
	;; [unrolled: 1-line block ×3, first 2 shown]
	v_sub_nc_u32_e32 v20, v20, v25
	v_add3_u32 v6, v21, v6, v22
	v_mul_lo_u32 v25, v20, s30
	v_mul_lo_u32 v20, v20, s31
	v_add3_u32 v16, v23, v16, v17
	v_add3_u32 v6, v24, v6, v25
	;; [unrolled: 1-line block ×3, first 2 shown]
	s_cbranch_scc1 .LBB33_104
; %bb.105:
	s_and_b32 s8, s8, 3
	s_cmp_eq_u32 s8, 0
	s_cbranch_scc0 .LBB33_109
	s_branch .LBB33_111
.LBB33_106:
	s_mov_b32 s6, -1
                                        ; implicit-def: $vgpr6
                                        ; implicit-def: $vgpr16
	s_branch .LBB33_111
.LBB33_107:
	v_mov_b32_e32 v6, 0
	v_mov_b32_e32 v16, 0
	s_branch .LBB33_111
.LBB33_108:
	v_mov_b32_e32 v6, 0
	v_mov_b32_e32 v16, 0
	;; [unrolled: 1-line block ×3, first 2 shown]
	s_mov_b32 s7, 0
	s_and_b32 s8, s8, 3
	s_cmp_eq_u32 s8, 0
	s_cbranch_scc1 .LBB33_111
.LBB33_109:
	s_lshl_b32 s0, s7, 3
	s_mul_i32 s4, s7, 12
	s_add_u32 s0, s2, s0
	s_addc_u32 s1, s3, 0
	s_add_u32 s0, s0, 0xc4
	s_addc_u32 s1, s1, 0
	;; [unrolled: 2-line block ×3, first 2 shown]
	.p2align	6
.LBB33_110:                             ; =>This Inner Loop Header: Depth=1
	s_clause 0x1
	s_load_dwordx2 s[10:11], s[4:5], 0x4
	s_load_dword s7, s[4:5], 0xc
	s_load_dwordx2 s[12:13], s[0:1], 0x0
	s_add_u32 s4, s4, 12
	s_addc_u32 s5, s5, 0
	s_add_u32 s0, s0, 8
	s_addc_u32 s1, s1, 0
	s_add_i32 s8, s8, -1
	s_cmp_lg_u32 s8, 0
	s_waitcnt lgkmcnt(0)
	v_mul_hi_u32 v17, s11, v7
	v_add_nc_u32_e32 v17, v7, v17
	v_lshrrev_b32_e32 v18, s7, v17
	v_mul_lo_u32 v17, v18, s10
	v_sub_nc_u32_e32 v17, v7, v17
	v_mad_u64_u32 v[6:7], null, v17, s12, v[6:7]
	v_mad_u64_u32 v[16:17], null, v17, s13, v[16:17]
	v_mov_b32_e32 v7, v18
	s_cbranch_scc1 .LBB33_110
.LBB33_111:
	s_andn2_b32 vcc_lo, exec_lo, s6
	s_cbranch_vccnz .LBB33_114
; %bb.112:
	s_clause 0x1
	s_load_dwordx4 s[4:7], s[2:3], 0x4
	s_load_dwordx2 s[0:1], s[2:3], 0xc4
	s_cmp_lt_u32 s22, 2
	s_waitcnt lgkmcnt(0)
	v_mul_hi_u32 v6, s5, v11
	v_add_nc_u32_e32 v6, v11, v6
	v_lshrrev_b32_e32 v7, s6, v6
	v_mul_lo_u32 v6, v7, s4
	v_sub_nc_u32_e32 v11, v11, v6
	v_mul_lo_u32 v6, v11, s0
	v_mul_lo_u32 v16, v11, s1
	s_cbranch_scc1 .LBB33_114
; %bb.113:
	s_clause 0x1
	s_load_dwordx4 s[4:7], s[2:3], 0x10
	s_load_dwordx2 s[0:1], s[2:3], 0xcc
	s_waitcnt lgkmcnt(0)
	v_mul_hi_u32 v11, s5, v7
	v_add_nc_u32_e32 v11, v7, v11
	v_lshrrev_b32_e32 v11, s6, v11
	v_mul_lo_u32 v11, v11, s4
	v_sub_nc_u32_e32 v11, v7, v11
	v_mad_u64_u32 v[6:7], null, v11, s0, v[6:7]
	v_mad_u64_u32 v[16:17], null, v11, s1, v[16:17]
.LBB33_114:
	v_cmp_ne_u32_e32 vcc_lo, 1, v12
	s_cbranch_vccnz .LBB33_120
; %bb.115:
	s_cmp_lg_u32 s22, 0
	s_mov_b32 s6, 0
	s_cbranch_scc0 .LBB33_121
; %bb.116:
	s_min_u32 s8, s23, 15
	s_add_i32 s8, s8, 1
	s_cmp_eq_u32 s23, 2
	s_cbranch_scc1 .LBB33_122
; %bb.117:
	v_mov_b32_e32 v17, 0
	v_mov_b32_e32 v11, 0
	v_mov_b32_e32 v7, v19
	s_and_b32 s7, s8, 28
	s_add_u32 s0, s2, 0xc4
	s_addc_u32 s1, s3, 0
	s_mov_b32 s9, 0
	s_mov_b64 s[4:5], s[2:3]
.LBB33_118:                             ; =>This Inner Loop Header: Depth=1
	s_clause 0x1
	s_load_dwordx8 s[12:19], s[4:5], 0x4
	s_load_dwordx4 s[36:39], s[4:5], 0x24
	s_load_dwordx8 s[24:31], s[0:1], 0x0
	s_add_u32 s4, s4, 48
	s_addc_u32 s5, s5, 0
	s_add_i32 s9, s9, 4
	s_add_u32 s0, s0, 32
	s_addc_u32 s1, s1, 0
	s_cmp_lg_u32 s7, s9
	s_waitcnt lgkmcnt(0)
	v_mul_hi_u32 v12, s13, v7
	v_add_nc_u32_e32 v12, v7, v12
	v_lshrrev_b32_e32 v12, s14, v12
	v_mul_hi_u32 v18, s16, v12
	v_mul_lo_u32 v21, v12, s12
	v_add_nc_u32_e32 v18, v12, v18
	v_sub_nc_u32_e32 v7, v7, v21
	v_lshrrev_b32_e32 v18, s17, v18
	v_mul_lo_u32 v21, v7, s24
	v_mul_lo_u32 v23, v7, s25
	v_mul_hi_u32 v20, s19, v18
	v_add_nc_u32_e32 v20, v18, v20
	v_lshrrev_b32_e32 v20, s36, v20
	v_mul_hi_u32 v22, s38, v20
	v_mul_lo_u32 v24, v20, s18
	v_add_nc_u32_e32 v7, v20, v22
	v_mul_lo_u32 v22, v18, s15
	v_sub_nc_u32_e32 v18, v18, v24
	v_lshrrev_b32_e32 v7, s39, v7
	v_mul_lo_u32 v24, v18, s28
	v_mul_lo_u32 v18, v18, s29
	v_sub_nc_u32_e32 v12, v12, v22
	v_mul_lo_u32 v25, v7, s37
	v_mul_lo_u32 v22, v12, s26
	;; [unrolled: 1-line block ×3, first 2 shown]
	v_sub_nc_u32_e32 v20, v20, v25
	v_add3_u32 v11, v21, v11, v22
	v_mul_lo_u32 v25, v20, s30
	v_mul_lo_u32 v20, v20, s31
	v_add3_u32 v12, v23, v17, v12
	v_add3_u32 v11, v24, v11, v25
	;; [unrolled: 1-line block ×3, first 2 shown]
	s_cbranch_scc1 .LBB33_118
; %bb.119:
	s_and_b32 s8, s8, 3
	s_cmp_eq_u32 s8, 0
	s_cbranch_scc0 .LBB33_123
	s_branch .LBB33_125
.LBB33_120:
	s_mov_b32 s6, -1
                                        ; implicit-def: $vgpr11
                                        ; implicit-def: $vgpr17
	s_branch .LBB33_125
.LBB33_121:
	v_mov_b32_e32 v11, 0
	v_mov_b32_e32 v17, 0
	s_branch .LBB33_125
.LBB33_122:
	v_mov_b32_e32 v11, 0
	v_mov_b32_e32 v17, 0
	v_mov_b32_e32 v7, v19
	s_mov_b32 s7, 0
	s_and_b32 s8, s8, 3
	s_cmp_eq_u32 s8, 0
	s_cbranch_scc1 .LBB33_125
.LBB33_123:
	s_lshl_b32 s0, s7, 3
	s_mul_i32 s4, s7, 12
	s_add_u32 s0, s2, s0
	s_addc_u32 s1, s3, 0
	s_add_u32 s0, s0, 0xc4
	s_addc_u32 s1, s1, 0
	;; [unrolled: 2-line block ×3, first 2 shown]
	.p2align	6
.LBB33_124:                             ; =>This Inner Loop Header: Depth=1
	s_clause 0x1
	s_load_dwordx2 s[10:11], s[4:5], 0x4
	s_load_dword s7, s[4:5], 0xc
	s_load_dwordx2 s[12:13], s[0:1], 0x0
	s_add_u32 s4, s4, 12
	s_addc_u32 s5, s5, 0
	s_add_u32 s0, s0, 8
	s_addc_u32 s1, s1, 0
	s_add_i32 s8, s8, -1
	s_cmp_lg_u32 s8, 0
	s_waitcnt lgkmcnt(0)
	v_mul_hi_u32 v12, s11, v7
	v_add_nc_u32_e32 v12, v7, v12
	v_lshrrev_b32_e32 v20, s7, v12
	v_mul_lo_u32 v12, v20, s10
	v_sub_nc_u32_e32 v7, v7, v12
	v_mad_u64_u32 v[11:12], null, v7, s12, v[11:12]
	v_mad_u64_u32 v[17:18], null, v7, s13, v[17:18]
	v_mov_b32_e32 v7, v20
	s_cbranch_scc1 .LBB33_124
.LBB33_125:
	s_andn2_b32 vcc_lo, exec_lo, s6
	s_cbranch_vccnz .LBB33_128
; %bb.126:
	s_clause 0x1
	s_load_dwordx4 s[4:7], s[2:3], 0x4
	s_load_dwordx2 s[0:1], s[2:3], 0xc4
	s_cmp_lt_u32 s22, 2
	s_waitcnt lgkmcnt(0)
	v_mul_hi_u32 v7, s5, v19
	v_add_nc_u32_e32 v7, v19, v7
	v_lshrrev_b32_e32 v7, s6, v7
	v_mul_lo_u32 v11, v7, s4
	v_sub_nc_u32_e32 v12, v19, v11
	v_mul_lo_u32 v11, v12, s0
	v_mul_lo_u32 v17, v12, s1
	s_cbranch_scc1 .LBB33_128
; %bb.127:
	s_clause 0x1
	s_load_dwordx4 s[4:7], s[2:3], 0x10
	s_load_dwordx2 s[0:1], s[2:3], 0xcc
	s_waitcnt lgkmcnt(0)
	v_mul_hi_u32 v12, s5, v7
	v_add_nc_u32_e32 v12, v7, v12
	v_lshrrev_b32_e32 v12, s6, v12
	v_mul_lo_u32 v12, v12, s4
	v_sub_nc_u32_e32 v7, v7, v12
	v_mad_u64_u32 v[11:12], null, v7, s0, v[11:12]
	v_mad_u64_u32 v[17:18], null, v7, s1, v[17:18]
.LBB33_128:
	s_load_dwordx4 s[4:7], s[2:3], 0x148
                                        ; implicit-def: $vgpr18
                                        ; implicit-def: $vgpr12
	s_mov_b32 s1, exec_lo
	s_waitcnt lgkmcnt(0)
	global_load_ushort v7, v8, s[6:7]
	s_waitcnt vmcnt(0)
	v_lshlrev_b32_e32 v7, 16, v7
	v_and_b32_e32 v8, 0x7fffffff, v7
	v_cmpx_ngt_f32_e64 0x48000000, |v7|
	s_xor_b32 s2, exec_lo, s1
	s_cbranch_execz .LBB33_130
; %bb.129:
	s_mov_b32 s0, 0x7fffff
	v_mov_b32_e32 v20, 0
	v_and_or_b32 v12, v8, s0, 0x800000
	v_lshrrev_b32_e32 v25, 23, v8
	v_mad_u64_u32 v[18:19], null, 0xfe5163ab, v12, 0
	v_add_nc_u32_e32 v26, 0xffffff88, v25
	v_cmp_lt_u32_e32 vcc_lo, 63, v26
	v_mad_u64_u32 v[21:22], null, 0x3c439041, v12, v[19:20]
	v_cndmask_b32_e64 v27, 0, 0xffffffc0, vcc_lo
	v_mov_b32_e32 v19, v22
	v_add_nc_u32_e32 v27, v27, v26
	v_mad_u64_u32 v[22:23], null, 0xdb629599, v12, v[19:20]
	v_cmp_lt_u32_e64 s0, 31, v27
	v_cndmask_b32_e64 v28, 0, 0xffffffe0, s0
	v_mov_b32_e32 v19, v23
	v_cndmask_b32_e32 v18, v22, v18, vcc_lo
	v_mad_u64_u32 v[23:24], null, 0xf534ddc0, v12, v[19:20]
	v_mov_b32_e32 v19, v24
	v_cndmask_b32_e32 v21, v23, v21, vcc_lo
	v_mad_u64_u32 v[24:25], null, 0xfc2757d1, v12, v[19:20]
	v_cndmask_b32_e64 v18, v21, v18, s0
	v_mov_b32_e32 v19, v25
	v_mad_u64_u32 v[25:26], null, 0x4e441529, v12, v[19:20]
	v_mov_b32_e32 v19, v26
	v_add_nc_u32_e32 v26, v28, v27
	v_cndmask_b32_e32 v27, v25, v23, vcc_lo
	v_mad_u64_u32 v[19:20], null, 0xa2f9836e, v12, v[19:20]
	v_cmp_lt_u32_e64 s1, 31, v26
	v_cndmask_b32_e64 v12, 0, 0xffffffe0, s1
	v_cndmask_b32_e32 v19, v19, v24, vcc_lo
	v_cndmask_b32_e32 v20, v20, v25, vcc_lo
	;; [unrolled: 1-line block ×3, first 2 shown]
	v_add_nc_u32_e32 v12, v12, v26
	v_cndmask_b32_e64 v23, v19, v27, s0
	v_cndmask_b32_e64 v19, v20, v19, s0
	;; [unrolled: 1-line block ×4, first 2 shown]
	v_sub_nc_u32_e32 v25, 32, v12
	v_cmp_eq_u32_e32 vcc_lo, 0, v12
	v_cndmask_b32_e64 v19, v19, v23, s1
	v_cndmask_b32_e64 v23, v23, v20, s1
	;; [unrolled: 1-line block ×4, first 2 shown]
	v_alignbit_b32 v26, v19, v23, v25
	v_alignbit_b32 v22, v23, v20, v25
	;; [unrolled: 1-line block ×3, first 2 shown]
	v_cndmask_b32_e32 v12, v26, v19, vcc_lo
	v_cndmask_b32_e32 v19, v22, v23, vcc_lo
	;; [unrolled: 1-line block ×3, first 2 shown]
	v_bfe_u32 v21, v12, 29, 1
	v_alignbit_b32 v22, v12, v19, 30
	v_alignbit_b32 v19, v19, v20, 30
	v_alignbit_b32 v18, v20, v18, 30
	v_sub_nc_u32_e32 v23, 0, v21
	v_xor_b32_e32 v22, v22, v23
	v_xor_b32_e32 v19, v19, v23
	;; [unrolled: 1-line block ×3, first 2 shown]
	v_lshrrev_b32_e32 v23, 29, v12
	v_ffbh_u32_e32 v24, v22
	v_min_u32_e32 v24, 32, v24
	v_sub_nc_u32_e32 v20, 31, v24
	v_lshlrev_b32_e32 v25, 23, v24
	v_alignbit_b32 v22, v22, v19, v20
	v_alignbit_b32 v18, v19, v18, v20
	v_lshlrev_b32_e32 v19, 31, v23
	v_alignbit_b32 v20, v22, v18, 9
	v_or_b32_e32 v23, 0.5, v19
	v_lshrrev_b32_e32 v22, 9, v22
	v_or_b32_e32 v19, 0x33000000, v19
	v_ffbh_u32_e32 v26, v20
	v_sub_nc_u32_e32 v23, v23, v25
	v_min_u32_e32 v25, 32, v26
	v_or_b32_e32 v22, v22, v23
	v_not_b32_e32 v23, v25
	v_mul_f32_e32 v26, 0x3fc90fda, v22
	v_add_lshl_u32 v24, v25, v24, 23
	v_alignbit_b32 v18, v20, v18, v23
	v_fma_f32 v20, 0x3fc90fda, v22, -v26
	v_sub_nc_u32_e32 v19, v19, v24
	v_lshrrev_b32_e32 v18, 9, v18
	v_fmamk_f32 v20, v22, 0x33a22168, v20
	v_or_b32_e32 v18, v19, v18
	v_fmac_f32_e32 v20, 0x3fc90fda, v18
	v_lshrrev_b32_e32 v18, 30, v12
	v_add_f32_e32 v12, v26, v20
	v_add_nc_u32_e32 v18, v21, v18
.LBB33_130:
	s_andn2_saveexec_b32 s0, s2
; %bb.131:
	v_mul_f32_e64 v12, 0x3f22f983, |v7|
	v_rndne_f32_e32 v18, v12
	v_fma_f32 v12, 0xbfc90fda, v18, |v7|
	v_fmamk_f32 v12, v18, 0xb3a22168, v12
	v_fmamk_f32 v12, v18, 0xa7c234c4, v12
	v_cvt_i32_f32_e32 v18, v18
; %bb.132:
	s_or_b32 exec_lo, exec_lo, s0
	global_load_ushort v9, v9, s[6:7]
                                        ; implicit-def: $vgpr21
                                        ; implicit-def: $vgpr20
	s_mov_b32 s1, exec_lo
	s_waitcnt vmcnt(0)
	v_lshlrev_b32_e32 v9, 16, v9
	v_and_b32_e32 v19, 0x7fffffff, v9
	v_cmpx_ngt_f32_e64 0x48000000, |v9|
	s_xor_b32 s2, exec_lo, s1
	s_cbranch_execz .LBB33_134
; %bb.133:
	s_mov_b32 s0, 0x7fffff
	v_mov_b32_e32 v22, 0
	v_and_or_b32 v29, v19, s0, 0x800000
	v_lshrrev_b32_e32 v27, 23, v19
	v_mad_u64_u32 v[20:21], null, 0xfe5163ab, v29, 0
	v_add_nc_u32_e32 v28, 0xffffff88, v27
	v_cmp_lt_u32_e32 vcc_lo, 63, v28
	v_mad_u64_u32 v[23:24], null, 0x3c439041, v29, v[21:22]
	v_cndmask_b32_e64 v30, 0, 0xffffffc0, vcc_lo
	v_mov_b32_e32 v21, v24
	v_add_nc_u32_e32 v30, v30, v28
	v_mad_u64_u32 v[24:25], null, 0xdb629599, v29, v[21:22]
	v_cmp_lt_u32_e64 s0, 31, v30
	v_cndmask_b32_e64 v31, 0, 0xffffffe0, s0
	v_mov_b32_e32 v21, v25
	v_cndmask_b32_e32 v20, v24, v20, vcc_lo
	v_mad_u64_u32 v[25:26], null, 0xf534ddc0, v29, v[21:22]
	v_mov_b32_e32 v21, v26
	v_cndmask_b32_e32 v23, v25, v23, vcc_lo
	v_mad_u64_u32 v[26:27], null, 0xfc2757d1, v29, v[21:22]
	v_cndmask_b32_e64 v20, v23, v20, s0
	v_mov_b32_e32 v21, v27
	v_mad_u64_u32 v[27:28], null, 0x4e441529, v29, v[21:22]
	v_mov_b32_e32 v21, v28
	v_add_nc_u32_e32 v28, v31, v30
	v_cndmask_b32_e32 v30, v27, v25, vcc_lo
	v_mad_u64_u32 v[21:22], null, 0xa2f9836e, v29, v[21:22]
	v_cmp_lt_u32_e64 s1, 31, v28
	v_cndmask_b32_e64 v29, 0, 0xffffffe0, s1
	v_cndmask_b32_e32 v21, v21, v26, vcc_lo
	v_cndmask_b32_e32 v22, v22, v27, vcc_lo
	v_cndmask_b32_e32 v26, v26, v24, vcc_lo
	v_add_nc_u32_e32 v27, v29, v28
	v_cndmask_b32_e64 v25, v21, v30, s0
	v_cndmask_b32_e64 v21, v22, v21, s0
	;; [unrolled: 1-line block ×4, first 2 shown]
	v_sub_nc_u32_e32 v28, 32, v27
	v_cmp_eq_u32_e32 vcc_lo, 0, v27
	v_cndmask_b32_e64 v21, v21, v25, s1
	v_cndmask_b32_e64 v25, v25, v22, s1
	;; [unrolled: 1-line block ×4, first 2 shown]
	v_alignbit_b32 v29, v21, v25, v28
	v_alignbit_b32 v24, v25, v22, v28
	;; [unrolled: 1-line block ×3, first 2 shown]
	v_cndmask_b32_e32 v21, v29, v21, vcc_lo
	v_cndmask_b32_e32 v23, v24, v25, vcc_lo
	;; [unrolled: 1-line block ×3, first 2 shown]
	v_bfe_u32 v24, v21, 29, 1
	v_alignbit_b32 v25, v21, v23, 30
	v_alignbit_b32 v23, v23, v22, 30
	;; [unrolled: 1-line block ×3, first 2 shown]
	v_sub_nc_u32_e32 v26, 0, v24
	v_xor_b32_e32 v25, v25, v26
	v_xor_b32_e32 v22, v23, v26
	;; [unrolled: 1-line block ×3, first 2 shown]
	v_lshrrev_b32_e32 v26, 29, v21
	v_lshrrev_b32_e32 v21, 30, v21
	v_ffbh_u32_e32 v27, v25
	v_add_nc_u32_e32 v21, v24, v21
	v_min_u32_e32 v27, 32, v27
	v_sub_nc_u32_e32 v23, 31, v27
	v_lshlrev_b32_e32 v28, 23, v27
	v_alignbit_b32 v25, v25, v22, v23
	v_alignbit_b32 v20, v22, v20, v23
	v_lshlrev_b32_e32 v22, 31, v26
	v_alignbit_b32 v23, v25, v20, 9
	v_or_b32_e32 v26, 0.5, v22
	v_lshrrev_b32_e32 v25, 9, v25
	v_or_b32_e32 v22, 0x33000000, v22
	v_ffbh_u32_e32 v29, v23
	v_sub_nc_u32_e32 v26, v26, v28
	v_min_u32_e32 v28, 32, v29
	v_or_b32_e32 v25, v25, v26
	v_not_b32_e32 v26, v28
	v_mul_f32_e32 v29, 0x3fc90fda, v25
	v_add_lshl_u32 v27, v28, v27, 23
	v_alignbit_b32 v20, v23, v20, v26
	v_fma_f32 v23, 0x3fc90fda, v25, -v29
	v_sub_nc_u32_e32 v22, v22, v27
	v_lshrrev_b32_e32 v20, 9, v20
	v_fmamk_f32 v23, v25, 0x33a22168, v23
	v_or_b32_e32 v20, v22, v20
	v_fmac_f32_e32 v23, 0x3fc90fda, v20
	v_add_f32_e32 v20, v29, v23
.LBB33_134:
	s_andn2_saveexec_b32 s0, s2
; %bb.135:
	v_mul_f32_e64 v20, 0x3f22f983, |v9|
	v_rndne_f32_e32 v21, v20
	v_fma_f32 v20, 0xbfc90fda, v21, |v9|
	v_fmamk_f32 v20, v21, 0xb3a22168, v20
	v_fmamk_f32 v20, v21, 0xa7c234c4, v20
	v_cvt_i32_f32_e32 v21, v21
; %bb.136:
	s_or_b32 exec_lo, exec_lo, s0
	global_load_ushort v10, v10, s[6:7]
                                        ; implicit-def: $vgpr24
                                        ; implicit-def: $vgpr23
	s_mov_b32 s1, exec_lo
	s_waitcnt vmcnt(0)
	v_lshlrev_b32_e32 v10, 16, v10
	v_and_b32_e32 v22, 0x7fffffff, v10
	v_cmpx_ngt_f32_e64 0x48000000, |v10|
	s_xor_b32 s2, exec_lo, s1
	s_cbranch_execz .LBB33_138
; %bb.137:
	s_mov_b32 s0, 0x7fffff
	v_mov_b32_e32 v25, 0
	v_and_or_b32 v32, v22, s0, 0x800000
	v_lshrrev_b32_e32 v30, 23, v22
	v_mad_u64_u32 v[23:24], null, 0xfe5163ab, v32, 0
	v_add_nc_u32_e32 v31, 0xffffff88, v30
	v_cmp_lt_u32_e32 vcc_lo, 63, v31
	v_mad_u64_u32 v[26:27], null, 0x3c439041, v32, v[24:25]
	v_cndmask_b32_e64 v33, 0, 0xffffffc0, vcc_lo
	v_mov_b32_e32 v24, v27
	v_add_nc_u32_e32 v33, v33, v31
	v_mad_u64_u32 v[27:28], null, 0xdb629599, v32, v[24:25]
	v_cmp_lt_u32_e64 s0, 31, v33
	v_cndmask_b32_e64 v34, 0, 0xffffffe0, s0
	v_mov_b32_e32 v24, v28
	v_cndmask_b32_e32 v23, v27, v23, vcc_lo
	v_mad_u64_u32 v[28:29], null, 0xf534ddc0, v32, v[24:25]
	v_mov_b32_e32 v24, v29
	v_cndmask_b32_e32 v26, v28, v26, vcc_lo
	v_mad_u64_u32 v[29:30], null, 0xfc2757d1, v32, v[24:25]
	v_cndmask_b32_e64 v23, v26, v23, s0
	v_mov_b32_e32 v24, v30
	v_mad_u64_u32 v[30:31], null, 0x4e441529, v32, v[24:25]
	v_mov_b32_e32 v24, v31
	v_add_nc_u32_e32 v31, v34, v33
	v_cndmask_b32_e32 v33, v30, v28, vcc_lo
	v_mad_u64_u32 v[24:25], null, 0xa2f9836e, v32, v[24:25]
	v_cmp_lt_u32_e64 s1, 31, v31
	v_cndmask_b32_e64 v32, 0, 0xffffffe0, s1
	v_cndmask_b32_e32 v24, v24, v29, vcc_lo
	v_cndmask_b32_e32 v25, v25, v30, vcc_lo
	;; [unrolled: 1-line block ×3, first 2 shown]
	v_add_nc_u32_e32 v30, v32, v31
	v_cndmask_b32_e64 v28, v24, v33, s0
	v_cndmask_b32_e64 v24, v25, v24, s0
	;; [unrolled: 1-line block ×4, first 2 shown]
	v_sub_nc_u32_e32 v31, 32, v30
	v_cmp_eq_u32_e32 vcc_lo, 0, v30
	v_cndmask_b32_e64 v24, v24, v28, s1
	v_cndmask_b32_e64 v28, v28, v25, s1
	;; [unrolled: 1-line block ×4, first 2 shown]
	v_alignbit_b32 v32, v24, v28, v31
	v_alignbit_b32 v27, v28, v25, v31
	;; [unrolled: 1-line block ×3, first 2 shown]
	v_cndmask_b32_e32 v24, v32, v24, vcc_lo
	v_cndmask_b32_e32 v26, v27, v28, vcc_lo
	;; [unrolled: 1-line block ×3, first 2 shown]
	v_bfe_u32 v27, v24, 29, 1
	v_alignbit_b32 v28, v24, v26, 30
	v_alignbit_b32 v26, v26, v25, 30
	;; [unrolled: 1-line block ×3, first 2 shown]
	v_sub_nc_u32_e32 v29, 0, v27
	v_xor_b32_e32 v28, v28, v29
	v_xor_b32_e32 v25, v26, v29
	;; [unrolled: 1-line block ×3, first 2 shown]
	v_lshrrev_b32_e32 v29, 29, v24
	v_lshrrev_b32_e32 v24, 30, v24
	v_ffbh_u32_e32 v30, v28
	v_add_nc_u32_e32 v24, v27, v24
	v_min_u32_e32 v30, 32, v30
	v_sub_nc_u32_e32 v26, 31, v30
	v_lshlrev_b32_e32 v31, 23, v30
	v_alignbit_b32 v28, v28, v25, v26
	v_alignbit_b32 v23, v25, v23, v26
	v_lshlrev_b32_e32 v25, 31, v29
	v_alignbit_b32 v26, v28, v23, 9
	v_or_b32_e32 v29, 0.5, v25
	v_lshrrev_b32_e32 v28, 9, v28
	v_or_b32_e32 v25, 0x33000000, v25
	v_ffbh_u32_e32 v32, v26
	v_sub_nc_u32_e32 v29, v29, v31
	v_min_u32_e32 v31, 32, v32
	v_or_b32_e32 v28, v28, v29
	v_not_b32_e32 v29, v31
	v_mul_f32_e32 v32, 0x3fc90fda, v28
	v_add_lshl_u32 v30, v31, v30, 23
	v_alignbit_b32 v23, v26, v23, v29
	v_fma_f32 v26, 0x3fc90fda, v28, -v32
	v_sub_nc_u32_e32 v25, v25, v30
	v_lshrrev_b32_e32 v23, 9, v23
	v_fmamk_f32 v26, v28, 0x33a22168, v26
	v_or_b32_e32 v23, v25, v23
	v_fmac_f32_e32 v26, 0x3fc90fda, v23
	v_add_f32_e32 v23, v32, v26
.LBB33_138:
	s_andn2_saveexec_b32 s0, s2
; %bb.139:
	v_mul_f32_e64 v23, 0x3f22f983, |v10|
	v_rndne_f32_e32 v24, v23
	v_fma_f32 v23, 0xbfc90fda, v24, |v10|
	v_fmamk_f32 v23, v24, 0xb3a22168, v23
	v_fmamk_f32 v23, v24, 0xa7c234c4, v23
	v_cvt_i32_f32_e32 v24, v24
; %bb.140:
	s_or_b32 exec_lo, exec_lo, s0
	global_load_ushort v13, v13, s[6:7]
                                        ; implicit-def: $vgpr27
                                        ; implicit-def: $vgpr26
	s_mov_b32 s1, exec_lo
	s_waitcnt vmcnt(0)
	v_lshlrev_b32_e32 v13, 16, v13
	v_and_b32_e32 v25, 0x7fffffff, v13
	v_cmpx_ngt_f32_e64 0x48000000, |v13|
	s_xor_b32 s2, exec_lo, s1
	s_cbranch_execz .LBB33_142
; %bb.141:
	s_mov_b32 s0, 0x7fffff
	v_mov_b32_e32 v28, 0
	v_and_or_b32 v35, v25, s0, 0x800000
	v_lshrrev_b32_e32 v33, 23, v25
	v_mad_u64_u32 v[26:27], null, 0xfe5163ab, v35, 0
	v_add_nc_u32_e32 v34, 0xffffff88, v33
	v_cmp_lt_u32_e32 vcc_lo, 63, v34
	v_mad_u64_u32 v[29:30], null, 0x3c439041, v35, v[27:28]
	v_cndmask_b32_e64 v36, 0, 0xffffffc0, vcc_lo
	v_mov_b32_e32 v27, v30
	v_add_nc_u32_e32 v36, v36, v34
	v_mad_u64_u32 v[30:31], null, 0xdb629599, v35, v[27:28]
	v_cmp_lt_u32_e64 s0, 31, v36
	v_cndmask_b32_e64 v37, 0, 0xffffffe0, s0
	v_mov_b32_e32 v27, v31
	v_cndmask_b32_e32 v26, v30, v26, vcc_lo
	v_mad_u64_u32 v[31:32], null, 0xf534ddc0, v35, v[27:28]
	v_mov_b32_e32 v27, v32
	v_cndmask_b32_e32 v29, v31, v29, vcc_lo
	v_mad_u64_u32 v[32:33], null, 0xfc2757d1, v35, v[27:28]
	v_cndmask_b32_e64 v26, v29, v26, s0
	v_mov_b32_e32 v27, v33
	v_mad_u64_u32 v[33:34], null, 0x4e441529, v35, v[27:28]
	v_mov_b32_e32 v27, v34
	v_add_nc_u32_e32 v34, v37, v36
	v_cndmask_b32_e32 v36, v33, v31, vcc_lo
	v_mad_u64_u32 v[27:28], null, 0xa2f9836e, v35, v[27:28]
	v_cmp_lt_u32_e64 s1, 31, v34
	v_cndmask_b32_e64 v35, 0, 0xffffffe0, s1
	v_cndmask_b32_e32 v27, v27, v32, vcc_lo
	v_cndmask_b32_e32 v28, v28, v33, vcc_lo
	;; [unrolled: 1-line block ×3, first 2 shown]
	v_add_nc_u32_e32 v33, v35, v34
	v_cndmask_b32_e64 v31, v27, v36, s0
	v_cndmask_b32_e64 v27, v28, v27, s0
	;; [unrolled: 1-line block ×4, first 2 shown]
	v_sub_nc_u32_e32 v34, 32, v33
	v_cmp_eq_u32_e32 vcc_lo, 0, v33
	v_cndmask_b32_e64 v27, v27, v31, s1
	v_cndmask_b32_e64 v31, v31, v28, s1
	;; [unrolled: 1-line block ×4, first 2 shown]
	v_alignbit_b32 v35, v27, v31, v34
	v_alignbit_b32 v30, v31, v28, v34
	;; [unrolled: 1-line block ×3, first 2 shown]
	v_cndmask_b32_e32 v27, v35, v27, vcc_lo
	v_cndmask_b32_e32 v29, v30, v31, vcc_lo
	;; [unrolled: 1-line block ×3, first 2 shown]
	v_bfe_u32 v30, v27, 29, 1
	v_alignbit_b32 v31, v27, v29, 30
	v_alignbit_b32 v29, v29, v28, 30
	;; [unrolled: 1-line block ×3, first 2 shown]
	v_sub_nc_u32_e32 v32, 0, v30
	v_xor_b32_e32 v31, v31, v32
	v_xor_b32_e32 v28, v29, v32
	;; [unrolled: 1-line block ×3, first 2 shown]
	v_lshrrev_b32_e32 v32, 29, v27
	v_lshrrev_b32_e32 v27, 30, v27
	v_ffbh_u32_e32 v33, v31
	v_add_nc_u32_e32 v27, v30, v27
	v_min_u32_e32 v33, 32, v33
	v_sub_nc_u32_e32 v29, 31, v33
	v_lshlrev_b32_e32 v34, 23, v33
	v_alignbit_b32 v31, v31, v28, v29
	v_alignbit_b32 v26, v28, v26, v29
	v_lshlrev_b32_e32 v28, 31, v32
	v_alignbit_b32 v29, v31, v26, 9
	v_or_b32_e32 v32, 0.5, v28
	v_lshrrev_b32_e32 v31, 9, v31
	v_or_b32_e32 v28, 0x33000000, v28
	v_ffbh_u32_e32 v35, v29
	v_sub_nc_u32_e32 v32, v32, v34
	v_min_u32_e32 v34, 32, v35
	v_or_b32_e32 v31, v31, v32
	v_not_b32_e32 v32, v34
	v_mul_f32_e32 v35, 0x3fc90fda, v31
	v_add_lshl_u32 v33, v34, v33, 23
	v_alignbit_b32 v26, v29, v26, v32
	v_fma_f32 v29, 0x3fc90fda, v31, -v35
	v_sub_nc_u32_e32 v28, v28, v33
	v_lshrrev_b32_e32 v26, 9, v26
	v_fmamk_f32 v29, v31, 0x33a22168, v29
	v_or_b32_e32 v26, v28, v26
	v_fmac_f32_e32 v29, 0x3fc90fda, v26
	v_add_f32_e32 v26, v35, v29
.LBB33_142:
	s_andn2_saveexec_b32 s0, s2
; %bb.143:
	v_mul_f32_e64 v26, 0x3f22f983, |v13|
	v_rndne_f32_e32 v27, v26
	v_fma_f32 v26, 0xbfc90fda, v27, |v13|
	v_fmamk_f32 v26, v27, 0xb3a22168, v26
	v_fmamk_f32 v26, v27, 0xa7c234c4, v26
	v_cvt_i32_f32_e32 v27, v27
; %bb.144:
	s_or_b32 exec_lo, exec_lo, s0
	global_load_ushort v14, v14, s[6:7]
                                        ; implicit-def: $vgpr30
                                        ; implicit-def: $vgpr29
	s_mov_b32 s1, exec_lo
	s_waitcnt vmcnt(0)
	v_lshlrev_b32_e32 v14, 16, v14
	v_and_b32_e32 v28, 0x7fffffff, v14
	v_cmpx_ngt_f32_e64 0x48000000, |v14|
	s_xor_b32 s2, exec_lo, s1
	s_cbranch_execz .LBB33_146
; %bb.145:
	s_mov_b32 s0, 0x7fffff
	v_mov_b32_e32 v31, 0
	v_and_or_b32 v38, v28, s0, 0x800000
	v_lshrrev_b32_e32 v36, 23, v28
	v_mad_u64_u32 v[29:30], null, 0xfe5163ab, v38, 0
	v_add_nc_u32_e32 v37, 0xffffff88, v36
	v_cmp_lt_u32_e32 vcc_lo, 63, v37
	v_mad_u64_u32 v[32:33], null, 0x3c439041, v38, v[30:31]
	v_cndmask_b32_e64 v39, 0, 0xffffffc0, vcc_lo
	v_mov_b32_e32 v30, v33
	v_add_nc_u32_e32 v39, v39, v37
	v_mad_u64_u32 v[33:34], null, 0xdb629599, v38, v[30:31]
	v_cmp_lt_u32_e64 s0, 31, v39
	v_cndmask_b32_e64 v40, 0, 0xffffffe0, s0
	v_mov_b32_e32 v30, v34
	v_cndmask_b32_e32 v29, v33, v29, vcc_lo
	v_mad_u64_u32 v[34:35], null, 0xf534ddc0, v38, v[30:31]
	v_mov_b32_e32 v30, v35
	v_cndmask_b32_e32 v32, v34, v32, vcc_lo
	v_mad_u64_u32 v[35:36], null, 0xfc2757d1, v38, v[30:31]
	v_cndmask_b32_e64 v29, v32, v29, s0
	v_mov_b32_e32 v30, v36
	v_mad_u64_u32 v[36:37], null, 0x4e441529, v38, v[30:31]
	v_mov_b32_e32 v30, v37
	v_add_nc_u32_e32 v37, v40, v39
	v_cndmask_b32_e32 v39, v36, v34, vcc_lo
	v_mad_u64_u32 v[30:31], null, 0xa2f9836e, v38, v[30:31]
	v_cmp_lt_u32_e64 s1, 31, v37
	v_cndmask_b32_e64 v38, 0, 0xffffffe0, s1
	v_cndmask_b32_e32 v30, v30, v35, vcc_lo
	v_cndmask_b32_e32 v31, v31, v36, vcc_lo
	;; [unrolled: 1-line block ×3, first 2 shown]
	v_add_nc_u32_e32 v36, v38, v37
	v_cndmask_b32_e64 v34, v30, v39, s0
	v_cndmask_b32_e64 v30, v31, v30, s0
	;; [unrolled: 1-line block ×4, first 2 shown]
	v_sub_nc_u32_e32 v37, 32, v36
	v_cmp_eq_u32_e32 vcc_lo, 0, v36
	v_cndmask_b32_e64 v30, v30, v34, s1
	v_cndmask_b32_e64 v34, v34, v31, s1
	;; [unrolled: 1-line block ×4, first 2 shown]
	v_alignbit_b32 v38, v30, v34, v37
	v_alignbit_b32 v33, v34, v31, v37
	;; [unrolled: 1-line block ×3, first 2 shown]
	v_cndmask_b32_e32 v30, v38, v30, vcc_lo
	v_cndmask_b32_e32 v32, v33, v34, vcc_lo
	;; [unrolled: 1-line block ×3, first 2 shown]
	v_bfe_u32 v33, v30, 29, 1
	v_alignbit_b32 v34, v30, v32, 30
	v_alignbit_b32 v32, v32, v31, 30
	;; [unrolled: 1-line block ×3, first 2 shown]
	v_sub_nc_u32_e32 v35, 0, v33
	v_xor_b32_e32 v34, v34, v35
	v_xor_b32_e32 v31, v32, v35
	;; [unrolled: 1-line block ×3, first 2 shown]
	v_lshrrev_b32_e32 v35, 29, v30
	v_lshrrev_b32_e32 v30, 30, v30
	v_ffbh_u32_e32 v36, v34
	v_add_nc_u32_e32 v30, v33, v30
	v_min_u32_e32 v36, 32, v36
	v_sub_nc_u32_e32 v32, 31, v36
	v_lshlrev_b32_e32 v37, 23, v36
	v_alignbit_b32 v34, v34, v31, v32
	v_alignbit_b32 v29, v31, v29, v32
	v_lshlrev_b32_e32 v31, 31, v35
	v_alignbit_b32 v32, v34, v29, 9
	v_or_b32_e32 v35, 0.5, v31
	v_lshrrev_b32_e32 v34, 9, v34
	v_or_b32_e32 v31, 0x33000000, v31
	v_ffbh_u32_e32 v38, v32
	v_sub_nc_u32_e32 v35, v35, v37
	v_min_u32_e32 v37, 32, v38
	v_or_b32_e32 v34, v34, v35
	v_not_b32_e32 v35, v37
	v_mul_f32_e32 v38, 0x3fc90fda, v34
	v_add_lshl_u32 v36, v37, v36, 23
	v_alignbit_b32 v29, v32, v29, v35
	v_fma_f32 v32, 0x3fc90fda, v34, -v38
	v_sub_nc_u32_e32 v31, v31, v36
	v_lshrrev_b32_e32 v29, 9, v29
	v_fmamk_f32 v32, v34, 0x33a22168, v32
	v_or_b32_e32 v29, v31, v29
	v_fmac_f32_e32 v32, 0x3fc90fda, v29
	v_add_f32_e32 v29, v38, v32
.LBB33_146:
	s_andn2_saveexec_b32 s0, s2
; %bb.147:
	v_mul_f32_e64 v29, 0x3f22f983, |v14|
	v_rndne_f32_e32 v30, v29
	v_fma_f32 v29, 0xbfc90fda, v30, |v14|
	v_fmamk_f32 v29, v30, 0xb3a22168, v29
	v_fmamk_f32 v29, v30, 0xa7c234c4, v29
	v_cvt_i32_f32_e32 v30, v30
; %bb.148:
	s_or_b32 exec_lo, exec_lo, s0
	global_load_ushort v15, v15, s[6:7]
                                        ; implicit-def: $vgpr34
                                        ; implicit-def: $vgpr32
	s_mov_b32 s1, exec_lo
	s_waitcnt vmcnt(0)
	v_lshlrev_b32_e32 v15, 16, v15
	v_and_b32_e32 v31, 0x7fffffff, v15
	v_cmpx_ngt_f32_e64 0x48000000, |v15|
	s_xor_b32 s2, exec_lo, s1
	s_cbranch_execz .LBB33_150
; %bb.149:
	s_mov_b32 s0, 0x7fffff
	v_mov_b32_e32 v34, 0
	v_and_or_b32 v41, v31, s0, 0x800000
	v_lshrrev_b32_e32 v39, 23, v31
	v_mad_u64_u32 v[32:33], null, 0xfe5163ab, v41, 0
	v_add_nc_u32_e32 v40, 0xffffff88, v39
	v_cmp_lt_u32_e32 vcc_lo, 63, v40
	v_mad_u64_u32 v[35:36], null, 0x3c439041, v41, v[33:34]
	v_cndmask_b32_e64 v42, 0, 0xffffffc0, vcc_lo
	v_mov_b32_e32 v33, v36
	v_add_nc_u32_e32 v42, v42, v40
	v_mad_u64_u32 v[36:37], null, 0xdb629599, v41, v[33:34]
	v_cmp_lt_u32_e64 s0, 31, v42
	v_cndmask_b32_e64 v43, 0, 0xffffffe0, s0
	v_mov_b32_e32 v33, v37
	v_cndmask_b32_e32 v32, v36, v32, vcc_lo
	v_mad_u64_u32 v[37:38], null, 0xf534ddc0, v41, v[33:34]
	v_mov_b32_e32 v33, v38
	v_cndmask_b32_e32 v35, v37, v35, vcc_lo
	v_mad_u64_u32 v[38:39], null, 0xfc2757d1, v41, v[33:34]
	v_cndmask_b32_e64 v32, v35, v32, s0
	v_mov_b32_e32 v33, v39
	v_mad_u64_u32 v[39:40], null, 0x4e441529, v41, v[33:34]
	v_mov_b32_e32 v33, v40
	v_add_nc_u32_e32 v40, v43, v42
	v_cndmask_b32_e32 v42, v39, v37, vcc_lo
	v_mad_u64_u32 v[33:34], null, 0xa2f9836e, v41, v[33:34]
	v_cmp_lt_u32_e64 s1, 31, v40
	v_cndmask_b32_e64 v41, 0, 0xffffffe0, s1
	v_cndmask_b32_e32 v33, v33, v38, vcc_lo
	v_cndmask_b32_e32 v34, v34, v39, vcc_lo
	;; [unrolled: 1-line block ×3, first 2 shown]
	v_add_nc_u32_e32 v39, v41, v40
	v_cndmask_b32_e64 v37, v33, v42, s0
	v_cndmask_b32_e64 v33, v34, v33, s0
	;; [unrolled: 1-line block ×4, first 2 shown]
	v_sub_nc_u32_e32 v40, 32, v39
	v_cmp_eq_u32_e32 vcc_lo, 0, v39
	v_cndmask_b32_e64 v33, v33, v37, s1
	v_cndmask_b32_e64 v37, v37, v34, s1
	;; [unrolled: 1-line block ×4, first 2 shown]
	v_alignbit_b32 v41, v33, v37, v40
	v_alignbit_b32 v36, v37, v34, v40
	;; [unrolled: 1-line block ×3, first 2 shown]
	v_cndmask_b32_e32 v33, v41, v33, vcc_lo
	v_cndmask_b32_e32 v35, v36, v37, vcc_lo
	;; [unrolled: 1-line block ×3, first 2 shown]
	v_bfe_u32 v36, v33, 29, 1
	v_alignbit_b32 v37, v33, v35, 30
	v_alignbit_b32 v35, v35, v34, 30
	;; [unrolled: 1-line block ×3, first 2 shown]
	v_sub_nc_u32_e32 v38, 0, v36
	v_xor_b32_e32 v37, v37, v38
	v_xor_b32_e32 v34, v35, v38
	;; [unrolled: 1-line block ×3, first 2 shown]
	v_lshrrev_b32_e32 v38, 29, v33
	v_lshrrev_b32_e32 v33, 30, v33
	v_ffbh_u32_e32 v39, v37
	v_min_u32_e32 v39, 32, v39
	v_sub_nc_u32_e32 v35, 31, v39
	v_lshlrev_b32_e32 v40, 23, v39
	v_alignbit_b32 v37, v37, v34, v35
	v_alignbit_b32 v32, v34, v32, v35
	v_lshlrev_b32_e32 v34, 31, v38
	v_alignbit_b32 v35, v37, v32, 9
	v_or_b32_e32 v38, 0.5, v34
	v_lshrrev_b32_e32 v37, 9, v37
	v_or_b32_e32 v34, 0x33000000, v34
	v_ffbh_u32_e32 v41, v35
	v_sub_nc_u32_e32 v38, v38, v40
	v_min_u32_e32 v40, 32, v41
	v_or_b32_e32 v37, v37, v38
	v_not_b32_e32 v38, v40
	v_mul_f32_e32 v41, 0x3fc90fda, v37
	v_add_lshl_u32 v39, v40, v39, 23
	v_alignbit_b32 v32, v35, v32, v38
	v_fma_f32 v35, 0x3fc90fda, v37, -v41
	v_sub_nc_u32_e32 v34, v34, v39
	v_lshrrev_b32_e32 v32, 9, v32
	v_fmamk_f32 v35, v37, 0x33a22168, v35
	v_or_b32_e32 v32, v34, v32
	v_add_nc_u32_e32 v34, v36, v33
	v_fmac_f32_e32 v35, 0x3fc90fda, v32
	v_add_f32_e32 v32, v41, v35
.LBB33_150:
	s_andn2_saveexec_b32 s0, s2
; %bb.151:
	v_mul_f32_e64 v32, 0x3f22f983, |v15|
	v_rndne_f32_e32 v33, v32
	v_fma_f32 v32, 0xbfc90fda, v33, |v15|
	v_cvt_i32_f32_e32 v34, v33
	v_fmamk_f32 v32, v33, 0xb3a22168, v32
	v_fmamk_f32 v32, v33, 0xa7c234c4, v32
; %bb.152:
	s_or_b32 exec_lo, exec_lo, s0
	global_load_ushort v16, v16, s[6:7]
                                        ; implicit-def: $vgpr39
                                        ; implicit-def: $vgpr38
	s_mov_b32 s1, exec_lo
	s_waitcnt vmcnt(0)
	v_lshlrev_b32_e32 v33, 16, v16
	v_and_b32_e32 v35, 0x7fffffff, v33
	v_cmpx_ngt_f32_e64 0x48000000, |v33|
	s_xor_b32 s2, exec_lo, s1
	s_cbranch_execz .LBB33_154
; %bb.153:
	s_mov_b32 s0, 0x7fffff
	v_mov_b32_e32 v38, 0
	v_and_or_b32 v16, v35, s0, 0x800000
	v_lshrrev_b32_e32 v43, 23, v35
	v_mad_u64_u32 v[36:37], null, 0xfe5163ab, v16, 0
	v_add_nc_u32_e32 v44, 0xffffff88, v43
	v_cmp_lt_u32_e32 vcc_lo, 63, v44
	v_mad_u64_u32 v[39:40], null, 0x3c439041, v16, v[37:38]
	v_cndmask_b32_e64 v45, 0, 0xffffffc0, vcc_lo
	v_mov_b32_e32 v37, v40
	v_add_nc_u32_e32 v45, v45, v44
	v_mad_u64_u32 v[40:41], null, 0xdb629599, v16, v[37:38]
	v_cmp_lt_u32_e64 s0, 31, v45
	v_cndmask_b32_e64 v46, 0, 0xffffffe0, s0
	v_mov_b32_e32 v37, v41
	v_cndmask_b32_e32 v36, v40, v36, vcc_lo
	v_mad_u64_u32 v[41:42], null, 0xf534ddc0, v16, v[37:38]
	v_mov_b32_e32 v37, v42
	v_cndmask_b32_e32 v39, v41, v39, vcc_lo
	v_mad_u64_u32 v[42:43], null, 0xfc2757d1, v16, v[37:38]
	v_cndmask_b32_e64 v36, v39, v36, s0
	v_mov_b32_e32 v37, v43
	v_mad_u64_u32 v[43:44], null, 0x4e441529, v16, v[37:38]
	v_mov_b32_e32 v37, v44
	v_add_nc_u32_e32 v44, v46, v45
	v_cndmask_b32_e32 v45, v43, v41, vcc_lo
	v_mad_u64_u32 v[37:38], null, 0xa2f9836e, v16, v[37:38]
	v_cmp_lt_u32_e64 s1, 31, v44
	v_cndmask_b32_e64 v16, 0, 0xffffffe0, s1
	v_cndmask_b32_e32 v37, v37, v42, vcc_lo
	v_cndmask_b32_e32 v38, v38, v43, vcc_lo
	;; [unrolled: 1-line block ×3, first 2 shown]
	v_add_nc_u32_e32 v16, v16, v44
	v_cndmask_b32_e64 v41, v37, v45, s0
	v_cndmask_b32_e64 v37, v38, v37, s0
	v_cndmask_b32_e64 v38, v45, v42, s0
	v_cndmask_b32_e64 v42, v42, v39, s0
	v_sub_nc_u32_e32 v43, 32, v16
	v_cmp_eq_u32_e32 vcc_lo, 0, v16
	v_cndmask_b32_e64 v37, v37, v41, s1
	v_cndmask_b32_e64 v41, v41, v38, s1
	;; [unrolled: 1-line block ×4, first 2 shown]
	v_alignbit_b32 v44, v37, v41, v43
	v_alignbit_b32 v40, v41, v38, v43
	;; [unrolled: 1-line block ×3, first 2 shown]
	v_cndmask_b32_e32 v16, v44, v37, vcc_lo
	v_cndmask_b32_e32 v37, v40, v41, vcc_lo
	;; [unrolled: 1-line block ×3, first 2 shown]
	v_bfe_u32 v39, v16, 29, 1
	v_alignbit_b32 v40, v16, v37, 30
	v_alignbit_b32 v37, v37, v38, 30
	;; [unrolled: 1-line block ×3, first 2 shown]
	v_sub_nc_u32_e32 v41, 0, v39
	v_xor_b32_e32 v40, v40, v41
	v_xor_b32_e32 v37, v37, v41
	;; [unrolled: 1-line block ×3, first 2 shown]
	v_lshrrev_b32_e32 v41, 29, v16
	v_lshrrev_b32_e32 v16, 30, v16
	v_ffbh_u32_e32 v42, v40
	v_add_nc_u32_e32 v39, v39, v16
	v_min_u32_e32 v42, 32, v42
	v_sub_nc_u32_e32 v38, 31, v42
	v_lshlrev_b32_e32 v43, 23, v42
	v_alignbit_b32 v40, v40, v37, v38
	v_alignbit_b32 v36, v37, v36, v38
	v_lshlrev_b32_e32 v37, 31, v41
	v_alignbit_b32 v38, v40, v36, 9
	v_or_b32_e32 v41, 0.5, v37
	v_lshrrev_b32_e32 v40, 9, v40
	v_or_b32_e32 v37, 0x33000000, v37
	v_ffbh_u32_e32 v44, v38
	v_sub_nc_u32_e32 v41, v41, v43
	v_min_u32_e32 v43, 32, v44
	v_or_b32_e32 v40, v40, v41
	v_not_b32_e32 v41, v43
	v_mul_f32_e32 v44, 0x3fc90fda, v40
	v_add_lshl_u32 v42, v43, v42, 23
	v_alignbit_b32 v36, v38, v36, v41
	v_fma_f32 v38, 0x3fc90fda, v40, -v44
	v_sub_nc_u32_e32 v37, v37, v42
	v_lshrrev_b32_e32 v36, 9, v36
	v_fmamk_f32 v38, v40, 0x33a22168, v38
	v_or_b32_e32 v36, v37, v36
	v_fmac_f32_e32 v38, 0x3fc90fda, v36
	v_add_f32_e32 v38, v44, v38
.LBB33_154:
	s_andn2_saveexec_b32 s0, s2
; %bb.155:
	v_mul_f32_e64 v16, 0x3f22f983, |v33|
	v_rndne_f32_e32 v16, v16
	v_fma_f32 v36, 0xbfc90fda, v16, |v33|
	v_cvt_i32_f32_e32 v39, v16
	v_fmamk_f32 v36, v16, 0xb3a22168, v36
	v_fmamk_f32 v38, v16, 0xa7c234c4, v36
; %bb.156:
	s_or_b32 exec_lo, exec_lo, s0
	global_load_ushort v16, v17, s[6:7]
                                        ; implicit-def: $vgpr37
                                        ; implicit-def: $vgpr36
	s_mov_b32 s1, exec_lo
	s_waitcnt vmcnt(0)
	v_lshlrev_b32_e32 v16, 16, v16
	v_and_b32_e32 v17, 0x7fffffff, v16
	v_cmpx_ngt_f32_e64 0x48000000, |v16|
	s_xor_b32 s2, exec_lo, s1
	s_cbranch_execz .LBB33_158
; %bb.157:
	s_mov_b32 s0, 0x7fffff
	v_mov_b32_e32 v41, 0
	v_and_or_b32 v48, v17, s0, 0x800000
	v_mad_u64_u32 v[36:37], null, 0xfe5163ab, v48, 0
	v_mov_b32_e32 v40, v37
	v_lshrrev_b32_e32 v37, 23, v17
	v_mad_u64_u32 v[42:43], null, 0x3c439041, v48, v[40:41]
	v_add_nc_u32_e32 v37, 0xffffff88, v37
	v_cmp_lt_u32_e32 vcc_lo, 63, v37
	v_mov_b32_e32 v40, v43
	v_cndmask_b32_e64 v47, 0, 0xffffffc0, vcc_lo
	v_mad_u64_u32 v[43:44], null, 0xdb629599, v48, v[40:41]
	v_add_nc_u32_e32 v37, v47, v37
	v_mov_b32_e32 v40, v44
	v_cmp_lt_u32_e64 s0, 31, v37
	v_cndmask_b32_e32 v36, v43, v36, vcc_lo
	v_mad_u64_u32 v[44:45], null, 0xf534ddc0, v48, v[40:41]
	v_cndmask_b32_e64 v49, 0, 0xffffffe0, s0
	v_add_nc_u32_e32 v37, v49, v37
	v_mov_b32_e32 v40, v45
	v_cndmask_b32_e32 v42, v44, v42, vcc_lo
	v_cmp_lt_u32_e64 s1, 31, v37
	v_mad_u64_u32 v[45:46], null, 0xfc2757d1, v48, v[40:41]
	v_cndmask_b32_e64 v36, v42, v36, s0
	v_mov_b32_e32 v40, v46
	v_mad_u64_u32 v[46:47], null, 0x4e441529, v48, v[40:41]
	v_mov_b32_e32 v40, v47
	v_cndmask_b32_e64 v47, 0, 0xffffffe0, s1
	v_mad_u64_u32 v[40:41], null, 0xa2f9836e, v48, v[40:41]
	v_cndmask_b32_e32 v48, v46, v44, vcc_lo
	v_add_nc_u32_e32 v37, v47, v37
	v_cndmask_b32_e32 v40, v40, v45, vcc_lo
	v_cndmask_b32_e32 v41, v41, v46, vcc_lo
	;; [unrolled: 1-line block ×3, first 2 shown]
	v_sub_nc_u32_e32 v46, 32, v37
	v_cmp_eq_u32_e32 vcc_lo, 0, v37
	v_cndmask_b32_e64 v44, v40, v48, s0
	v_cndmask_b32_e64 v40, v41, v40, s0
	;; [unrolled: 1-line block ×8, first 2 shown]
	v_alignbit_b32 v47, v40, v44, v46
	v_alignbit_b32 v43, v44, v41, v46
	;; [unrolled: 1-line block ×3, first 2 shown]
	v_cndmask_b32_e32 v37, v47, v40, vcc_lo
	v_cndmask_b32_e32 v40, v43, v44, vcc_lo
	;; [unrolled: 1-line block ×3, first 2 shown]
	v_bfe_u32 v42, v37, 29, 1
	v_alignbit_b32 v43, v37, v40, 30
	v_alignbit_b32 v40, v40, v41, 30
	;; [unrolled: 1-line block ×3, first 2 shown]
	v_sub_nc_u32_e32 v44, 0, v42
	v_xor_b32_e32 v43, v43, v44
	v_xor_b32_e32 v40, v40, v44
	;; [unrolled: 1-line block ×3, first 2 shown]
	v_lshrrev_b32_e32 v44, 29, v37
	v_lshrrev_b32_e32 v37, 30, v37
	v_ffbh_u32_e32 v45, v43
	v_add_nc_u32_e32 v37, v42, v37
	v_min_u32_e32 v45, 32, v45
	v_sub_nc_u32_e32 v41, 31, v45
	v_lshlrev_b32_e32 v46, 23, v45
	v_alignbit_b32 v43, v43, v40, v41
	v_alignbit_b32 v36, v40, v36, v41
	v_lshlrev_b32_e32 v40, 31, v44
	v_alignbit_b32 v41, v43, v36, 9
	v_or_b32_e32 v44, 0.5, v40
	v_lshrrev_b32_e32 v43, 9, v43
	v_or_b32_e32 v40, 0x33000000, v40
	v_ffbh_u32_e32 v47, v41
	v_sub_nc_u32_e32 v44, v44, v46
	v_min_u32_e32 v46, 32, v47
	v_or_b32_e32 v43, v43, v44
	v_not_b32_e32 v44, v46
	v_mul_f32_e32 v47, 0x3fc90fda, v43
	v_add_lshl_u32 v45, v46, v45, 23
	v_alignbit_b32 v36, v41, v36, v44
	v_fma_f32 v41, 0x3fc90fda, v43, -v47
	v_sub_nc_u32_e32 v40, v40, v45
	v_lshrrev_b32_e32 v36, 9, v36
	v_fmamk_f32 v41, v43, 0x33a22168, v41
	v_or_b32_e32 v36, v40, v36
	v_fmac_f32_e32 v41, 0x3fc90fda, v36
	v_add_f32_e32 v36, v47, v41
.LBB33_158:
	s_andn2_saveexec_b32 s0, s2
; %bb.159:
	v_mul_f32_e64 v36, 0x3f22f983, |v16|
	v_rndne_f32_e32 v37, v36
	v_fma_f32 v36, 0xbfc90fda, v37, |v16|
	v_fmamk_f32 v36, v37, 0xb3a22168, v36
	v_fmamk_f32 v36, v37, 0xa7c234c4, v36
	v_cvt_i32_f32_e32 v37, v37
; %bb.160:
	s_or_b32 exec_lo, exec_lo, s0
	v_mul_f32_e32 v40, v38, v38
	s_mov_b32 s0, 0xb94c1982
	s_mov_b32 s1, 0x37d75334
	v_and_b32_e32 v41, 1, v39
	v_lshlrev_b32_e32 v39, 30, v39
	v_fmaak_f32 v42, s0, v40, 0x3c0881c4
	v_fmaak_f32 v43, s1, v40, 0xbab64f3b
	v_mul_f32_e32 v44, v32, v32
	v_cmp_eq_u32_e32 vcc_lo, 0, v41
	v_and_b32_e32 v39, 0x80000000, v39
	v_fmaak_f32 v42, v40, v42, 0xbe2aaa9d
	v_fmaak_f32 v43, v40, v43, 0x3d2aabf7
	;; [unrolled: 1-line block ×4, first 2 shown]
	v_xor_b32_e32 v35, v35, v39
	v_mul_f32_e32 v42, v40, v42
	v_fmaak_f32 v43, v40, v43, 0xbf000004
	v_fmaak_f32 v39, v44, v48, 0xbe2aaa9d
	v_and_b32_e32 v45, 1, v34
	v_lshlrev_b32_e32 v34, 30, v34
	v_fmac_f32_e32 v38, v38, v42
	v_fma_f32 v40, v40, v43, 1.0
	v_fmaak_f32 v42, v44, v49, 0x3d2aabf7
	v_mul_f32_e32 v39, v44, v39
	v_mul_f32_e32 v46, v29, v29
	v_and_b32_e32 v34, 0x80000000, v34
	v_cndmask_b32_e32 v38, v40, v38, vcc_lo
	v_fmaak_f32 v40, v44, v42, 0xbf000004
	v_cmp_class_f32_e64 vcc_lo, v33, 0x1f8
	v_fmac_f32_e32 v32, v32, v39
	v_fmaak_f32 v41, s0, v46, 0x3c0881c4
	v_xor3_b32 v35, v35, v38, v33
	v_fma_f32 v39, v44, v40, 1.0
	v_fmaak_f32 v38, s1, v46, 0xbab64f3b
	v_xor_b32_e32 v31, v31, v34
	v_fmaak_f32 v34, v46, v41, 0xbe2aaa9d
	v_cndmask_b32_e32 v33, 0x7fc00000, v35, vcc_lo
	v_cmp_eq_u32_e32 vcc_lo, 0, v45
	v_fmaak_f32 v38, v46, v38, 0x3d2aabf7
	v_and_b32_e32 v47, 1, v30
	v_mul_f32_e32 v34, v46, v34
	v_bfe_u32 v35, v33, 16, 1
	v_cndmask_b32_e32 v32, v39, v32, vcc_lo
	v_cmp_class_f32_e64 vcc_lo, v15, 0x1f8
	v_lshlrev_b32_e32 v30, 30, v30
	v_fmac_f32_e32 v29, v29, v34
	v_mul_f32_e32 v34, v26, v26
	v_xor3_b32 v31, v31, v32, v15
	v_add3_u32 v32, v33, v35, 0x7fff
	v_fmaak_f32 v35, v46, v38, 0xbf000004
	v_and_b32_e32 v30, 0x80000000, v30
	v_cndmask_b32_e32 v15, 0x7fc00000, v31, vcc_lo
	v_lshrrev_b32_e32 v31, 16, v32
	v_fma_f32 v32, v46, v35, 1.0
	v_cmp_eq_u32_e32 vcc_lo, 0, v47
	v_xor_b32_e32 v28, v28, v30
	v_bfe_u32 v35, v15, 16, 1
	v_fmaak_f32 v30, s0, v34, 0x3c0881c4
	v_cndmask_b32_e32 v29, v32, v29, vcc_lo
	v_cmp_o_f32_e32 vcc_lo, v33, v33
	v_add3_u32 v32, v15, v35, 0x7fff
	v_lshlrev_b32_e32 v35, 30, v27
	v_and_b32_e32 v27, 1, v27
	v_xor3_b32 v28, v28, v29, v14
	v_cndmask_b32_e32 v31, 0x7fc0, v31, vcc_lo
	v_fmaak_f32 v29, v34, v30, 0xbe2aaa9d
	v_lshrrev_b32_e32 v30, 16, v32
	v_fmaak_f32 v32, s1, v34, 0xbab64f3b
	v_cmp_class_f32_e64 vcc_lo, v14, 0x1f8
	v_fmaak_f32 v32, v34, v32, 0x3d2aabf7
	v_cndmask_b32_e32 v14, 0x7fc00000, v28, vcc_lo
	v_mul_f32_e32 v28, v34, v29
	v_mul_f32_e32 v29, v23, v23
	v_cmp_o_f32_e32 vcc_lo, v15, v15
	v_fmac_f32_e32 v26, v26, v28
	v_fmaak_f32 v33, s0, v29, 0x3c0881c4
	v_fmaak_f32 v28, v34, v32, 0xbf000004
	;; [unrolled: 1-line block ×3, first 2 shown]
	v_cndmask_b32_e32 v15, 0x7fc0, v30, vcc_lo
	v_cmp_eq_u32_e32 vcc_lo, 0, v27
	v_fmaak_f32 v33, v29, v33, 0xbe2aaa9d
	v_fma_f32 v28, v34, v28, 1.0
	v_fmaak_f32 v32, v29, v32, 0x3d2aabf7
	v_and_b32_e32 v34, 0x80000000, v35
	v_bfe_u32 v30, v14, 16, 1
	v_mul_f32_e32 v33, v29, v33
	v_cndmask_b32_e32 v26, v28, v26, vcc_lo
	v_fmaak_f32 v27, v29, v32, 0xbf000004
	v_lshlrev_b32_e32 v28, 30, v24
	v_and_b32_e32 v24, 1, v24
	v_xor_b32_e32 v25, v25, v34
	v_fmac_f32_e32 v23, v23, v33
	v_fma_f32 v27, v29, v27, 1.0
	v_and_b32_e32 v28, 0x80000000, v28
	v_cmp_eq_u32_e32 vcc_lo, 0, v24
	v_add3_u32 v29, v14, v30, 0x7fff
	v_xor3_b32 v25, v25, v26, v13
	v_mul_f32_e32 v24, v20, v20
	v_xor_b32_e32 v22, v22, v28
	v_cndmask_b32_e32 v23, v27, v23, vcc_lo
	v_cmp_class_f32_e64 vcc_lo, v13, 0x1f8
	v_lshrrev_b32_e32 v26, 16, v29
	v_xor3_b32 v22, v22, v23, v10
	v_cndmask_b32_e32 v13, 0x7fc00000, v25, vcc_lo
	v_cmp_o_f32_e32 vcc_lo, v14, v14
	v_fmaak_f32 v23, s0, v24, 0x3c0881c4
	v_bfe_u32 v25, v13, 16, 1
	v_cndmask_b32_e32 v14, 0x7fc0, v26, vcc_lo
	v_cmp_class_f32_e64 vcc_lo, v10, 0x1f8
	v_mul_f32_e32 v26, v12, v12
	v_add3_u32 v25, v13, v25, 0x7fff
	v_cndmask_b32_e32 v10, 0x7fc00000, v22, vcc_lo
	v_fmaak_f32 v22, v24, v23, 0xbe2aaa9d
	v_fmaak_f32 v23, s1, v24, 0xbab64f3b
	;; [unrolled: 1-line block ×4, first 2 shown]
	v_bfe_u32 v27, v10, 16, 1
	v_mul_f32_e32 v22, v24, v22
	v_fmaak_f32 v23, v24, v23, 0x3d2aabf7
	v_fmaak_f32 v28, v26, v28, 0xbe2aaa9d
	v_lshrrev_b32_e32 v25, 16, v25
	v_add3_u32 v27, v10, v27, 0x7fff
	v_fmac_f32_e32 v20, v20, v22
	v_fmaak_f32 v22, v24, v23, 0xbf000004
	v_lshlrev_b32_e32 v23, 30, v21
	v_and_b32_e32 v21, 1, v21
	v_fma_f32 v22, v24, v22, 1.0
	v_and_b32_e32 v23, 0x80000000, v23
	v_mul_f32_e32 v24, v26, v28
	v_fmaak_f32 v28, v26, v29, 0x3d2aabf7
	v_cmp_eq_u32_e32 vcc_lo, 0, v21
	v_mul_f32_e32 v21, v36, v36
	v_xor_b32_e32 v19, v19, v23
	v_lshlrev_b32_e32 v23, 30, v18
	v_and_b32_e32 v18, 1, v18
	v_cndmask_b32_e32 v20, v22, v20, vcc_lo
	v_fmaak_f32 v22, v26, v28, 0xbf000004
	v_fmac_f32_e32 v12, v12, v24
	v_fmaak_f32 v24, s0, v21, 0x3c0881c4
	v_fmaak_f32 v28, s1, v21, 0xbab64f3b
	v_and_b32_e32 v23, 0x80000000, v23
	v_fma_f32 v22, v26, v22, 1.0
	v_cmp_eq_u32_e32 vcc_lo, 0, v18
	v_fmaak_f32 v24, v21, v24, 0xbe2aaa9d
	v_fmaak_f32 v26, v21, v28, 0x3d2aabf7
	v_xor_b32_e32 v8, v8, v23
	v_xor3_b32 v19, v19, v20, v9
	v_cndmask_b32_e32 v12, v22, v12, vcc_lo
	v_mul_f32_e32 v18, v21, v24
	v_fmaak_f32 v20, v21, v26, 0xbf000004
	v_cmp_class_f32_e64 vcc_lo, v7, 0x1f8
	v_lshlrev_b32_e32 v22, 30, v37
	v_xor3_b32 v8, v8, v12, v7
	v_and_b32_e32 v12, 1, v37
	v_fmac_f32_e32 v36, v36, v18
	v_fma_f32 v18, v21, v20, 1.0
	v_and_b32_e32 v20, 0x80000000, v22
	v_cndmask_b32_e32 v7, 0x7fc00000, v8, vcc_lo
	v_cmp_eq_u32_e32 vcc_lo, 0, v12
	v_xor_b32_e32 v12, v17, v20
	v_bfe_u32 v17, v7, 16, 1
	v_cndmask_b32_e32 v8, v18, v36, vcc_lo
	v_cmp_class_f32_e64 vcc_lo, v9, 0x1f8
	v_lshrrev_b32_e32 v18, 16, v27
	v_add3_u32 v17, v7, v17, 0x7fff
	v_xor3_b32 v8, v12, v8, v16
	v_cndmask_b32_e32 v9, 0x7fc00000, v19, vcc_lo
	v_cmp_o_f32_e32 vcc_lo, v13, v13
	v_bfe_u32 v12, v9, 16, 1
	v_cndmask_b32_e32 v13, 0x7fc0, v25, vcc_lo
	v_cmp_class_f32_e64 vcc_lo, v16, 0x1f8
	v_lshrrev_b32_e32 v16, 16, v17
	v_cmp_o_f32_e64 s0, v9, v9
	v_add3_u32 v12, v9, v12, 0x7fff
	v_cndmask_b32_e32 v8, 0x7fc00000, v8, vcc_lo
	v_cmp_o_f32_e32 vcc_lo, v10, v10
	v_lshrrev_b32_e32 v12, 16, v12
	v_bfe_u32 v17, v8, 16, 1
	v_cndmask_b32_e32 v10, 0x7fc0, v18, vcc_lo
	v_cmp_o_f32_e32 vcc_lo, v7, v7
	v_cndmask_b32_e64 v9, 0x7fc0, v12, s0
	v_cndmask_b32_e32 v7, 0x7fc0, v16, vcc_lo
	v_cmp_o_f32_e32 vcc_lo, v8, v8
	v_add3_u32 v8, v8, v17, 0x7fff
	v_mov_b32_e32 v16, 0x7fc0
	v_cndmask_b32_sdwa v8, v16, v8, vcc_lo dst_sel:DWORD dst_unused:UNUSED_PAD src0_sel:DWORD src1_sel:WORD_1
	global_store_short v0, v7, s[4:5]
	global_store_short v1, v9, s[4:5]
	;; [unrolled: 1-line block ×8, first 2 shown]
	s_endpgm
.LBB33_161:
	v_mov_b32_e32 v0, 0
	v_mov_b32_e32 v2, 0
	s_branch .LBB33_167
.LBB33_162:
	v_mov_b32_e32 v0, 0
	v_mov_b32_e32 v2, 0
	s_branch .LBB33_187
.LBB33_163:
	v_mov_b32_e32 v0, 0
	v_mov_b32_e32 v2, 0
	;; [unrolled: 1-line block ×3, first 2 shown]
	s_mov_b32 s31, 0
.LBB33_164:
	s_and_b32 s33, s33, 3
	s_cmp_eq_u32 s33, 0
	s_cbranch_scc1 .LBB33_167
; %bb.165:
	s_lshl_b32 s0, s31, 3
	s_mul_i32 s20, s31, 12
	s_add_u32 s0, s2, s0
	s_addc_u32 s1, s3, 0
	s_add_u32 s0, s0, 0xc4
	s_addc_u32 s1, s1, 0
	;; [unrolled: 2-line block ×3, first 2 shown]
	.p2align	6
.LBB33_166:                             ; =>This Inner Loop Header: Depth=1
	s_clause 0x1
	s_load_dwordx2 s[34:35], s[20:21], 0x4
	s_load_dword s31, s[20:21], 0xc
	s_load_dwordx2 s[36:37], s[0:1], 0x0
	s_add_u32 s20, s20, 12
	s_addc_u32 s21, s21, 0
	s_add_u32 s0, s0, 8
	s_addc_u32 s1, s1, 0
	s_add_i32 s33, s33, -1
	s_cmp_lg_u32 s33, 0
	s_waitcnt lgkmcnt(0)
	v_mul_hi_u32 v3, s35, v1
	v_add_nc_u32_e32 v3, v1, v3
	v_lshrrev_b32_e32 v4, s31, v3
	v_mul_lo_u32 v3, v4, s34
	v_sub_nc_u32_e32 v3, v1, v3
	v_mad_u64_u32 v[0:1], null, v3, s36, v[0:1]
	v_mad_u64_u32 v[2:3], null, v3, s37, v[2:3]
	v_mov_b32_e32 v1, v4
	s_cbranch_scc1 .LBB33_166
.LBB33_167:
	s_cbranch_execnz .LBB33_170
.LBB33_168:
	s_waitcnt lgkmcnt(0)
	v_mul_hi_u32 v0, s13, v7
	s_andn2_b32 vcc_lo, exec_lo, s26
	v_add_nc_u32_e32 v0, v7, v0
	v_lshrrev_b32_e32 v1, s14, v0
	v_mul_lo_u32 v0, v1, s12
	v_sub_nc_u32_e32 v2, v7, v0
	v_mul_lo_u32 v0, v2, s8
	v_mul_lo_u32 v2, v2, s9
	s_cbranch_vccnz .LBB33_170
; %bb.169:
	v_mul_hi_u32 v3, s16, v1
	v_add_nc_u32_e32 v3, v1, v3
	v_lshrrev_b32_e32 v3, s17, v3
	v_mul_lo_u32 v3, v3, s15
	v_sub_nc_u32_e32 v3, v1, v3
	v_mad_u64_u32 v[0:1], null, v3, s10, v[0:1]
	v_mad_u64_u32 v[2:3], null, v3, s11, v[2:3]
.LBB33_170:
	s_waitcnt lgkmcnt(0)
	global_load_ushort v1, v2, s[6:7]
                                        ; implicit-def: $vgpr4
                                        ; implicit-def: $vgpr3
	s_mov_b32 s1, exec_lo
	s_waitcnt vmcnt(0)
	v_lshlrev_b32_e32 v1, 16, v1
	v_and_b32_e32 v2, 0x7fffffff, v1
	v_cmpx_ngt_f32_e64 0x48000000, |v1|
	s_xor_b32 s20, exec_lo, s1
	s_cbranch_execz .LBB33_172
; %bb.171:
	s_mov_b32 s0, 0x7fffff
	v_mov_b32_e32 v5, 0
	v_and_or_b32 v6, v2, s0, 0x800000
	v_lshrrev_b32_e32 v12, 23, v2
	v_mad_u64_u32 v[3:4], null, 0xfe5163ab, v6, 0
	v_add_nc_u32_e32 v13, 0xffffff88, v12
	v_cmp_lt_u32_e32 vcc_lo, 63, v13
	v_mad_u64_u32 v[8:9], null, 0x3c439041, v6, v[4:5]
	v_cndmask_b32_e64 v14, 0, 0xffffffc0, vcc_lo
	v_mov_b32_e32 v4, v9
	v_add_nc_u32_e32 v14, v14, v13
	v_mad_u64_u32 v[9:10], null, 0xdb629599, v6, v[4:5]
	v_cmp_lt_u32_e64 s0, 31, v14
	v_cndmask_b32_e64 v15, 0, 0xffffffe0, s0
	v_mov_b32_e32 v4, v10
	v_cndmask_b32_e32 v3, v9, v3, vcc_lo
	v_mad_u64_u32 v[10:11], null, 0xf534ddc0, v6, v[4:5]
	v_mov_b32_e32 v4, v11
	v_cndmask_b32_e32 v8, v10, v8, vcc_lo
	v_mad_u64_u32 v[11:12], null, 0xfc2757d1, v6, v[4:5]
	v_cndmask_b32_e64 v3, v8, v3, s0
	v_mov_b32_e32 v4, v12
	v_mad_u64_u32 v[12:13], null, 0x4e441529, v6, v[4:5]
	v_mov_b32_e32 v4, v13
	v_add_nc_u32_e32 v13, v15, v14
	v_cndmask_b32_e32 v14, v12, v10, vcc_lo
	v_mad_u64_u32 v[4:5], null, 0xa2f9836e, v6, v[4:5]
	v_cmp_lt_u32_e64 s1, 31, v13
	v_cndmask_b32_e64 v6, 0, 0xffffffe0, s1
	v_cndmask_b32_e32 v4, v4, v11, vcc_lo
	v_cndmask_b32_e32 v5, v5, v12, vcc_lo
	;; [unrolled: 1-line block ×3, first 2 shown]
	v_add_nc_u32_e32 v6, v6, v13
	v_cndmask_b32_e64 v10, v4, v14, s0
	v_cndmask_b32_e64 v4, v5, v4, s0
	;; [unrolled: 1-line block ×4, first 2 shown]
	v_sub_nc_u32_e32 v12, 32, v6
	v_cmp_eq_u32_e32 vcc_lo, 0, v6
	v_cndmask_b32_e64 v4, v4, v10, s1
	v_cndmask_b32_e64 v10, v10, v5, s1
	;; [unrolled: 1-line block ×4, first 2 shown]
	v_alignbit_b32 v13, v4, v10, v12
	v_alignbit_b32 v9, v10, v5, v12
	;; [unrolled: 1-line block ×3, first 2 shown]
	v_cndmask_b32_e32 v4, v13, v4, vcc_lo
	v_cndmask_b32_e32 v6, v9, v10, vcc_lo
	;; [unrolled: 1-line block ×3, first 2 shown]
	v_bfe_u32 v8, v4, 29, 1
	v_alignbit_b32 v9, v4, v6, 30
	v_alignbit_b32 v6, v6, v5, 30
	;; [unrolled: 1-line block ×3, first 2 shown]
	v_sub_nc_u32_e32 v10, 0, v8
	v_xor_b32_e32 v9, v9, v10
	v_xor_b32_e32 v5, v6, v10
	;; [unrolled: 1-line block ×3, first 2 shown]
	v_lshrrev_b32_e32 v10, 29, v4
	v_lshrrev_b32_e32 v4, 30, v4
	v_ffbh_u32_e32 v11, v9
	v_add_nc_u32_e32 v4, v8, v4
	v_min_u32_e32 v11, 32, v11
	v_sub_nc_u32_e32 v6, 31, v11
	v_lshlrev_b32_e32 v12, 23, v11
	v_alignbit_b32 v9, v9, v5, v6
	v_alignbit_b32 v3, v5, v3, v6
	v_lshlrev_b32_e32 v5, 31, v10
	v_alignbit_b32 v6, v9, v3, 9
	v_or_b32_e32 v10, 0.5, v5
	v_lshrrev_b32_e32 v9, 9, v9
	v_or_b32_e32 v5, 0x33000000, v5
	v_ffbh_u32_e32 v13, v6
	v_sub_nc_u32_e32 v10, v10, v12
	v_min_u32_e32 v12, 32, v13
	v_or_b32_e32 v9, v9, v10
	v_not_b32_e32 v10, v12
	v_mul_f32_e32 v13, 0x3fc90fda, v9
	v_add_lshl_u32 v11, v12, v11, 23
	v_alignbit_b32 v3, v6, v3, v10
	v_fma_f32 v6, 0x3fc90fda, v9, -v13
	v_sub_nc_u32_e32 v5, v5, v11
	v_lshrrev_b32_e32 v3, 9, v3
	v_fmamk_f32 v6, v9, 0x33a22168, v6
	v_or_b32_e32 v3, v5, v3
	v_fmac_f32_e32 v6, 0x3fc90fda, v3
	v_add_f32_e32 v3, v13, v6
.LBB33_172:
	s_andn2_saveexec_b32 s0, s20
; %bb.173:
	v_mul_f32_e64 v3, 0x3f22f983, |v1|
	v_rndne_f32_e32 v4, v3
	v_fma_f32 v3, 0xbfc90fda, v4, |v1|
	v_fmamk_f32 v3, v4, 0xb3a22168, v3
	v_fmamk_f32 v3, v4, 0xa7c234c4, v3
	v_cvt_i32_f32_e32 v4, v4
; %bb.174:
	s_or_b32 exec_lo, exec_lo, s0
	v_mul_f32_e32 v5, v3, v3
	s_mov_b32 s0, 0xb94c1982
	s_mov_b32 s1, 0x37d75334
	v_lshlrev_b32_e32 v9, 30, v4
	v_and_b32_e32 v4, 1, v4
	v_fmaak_f32 v6, s0, v5, 0x3c0881c4
	v_fmaak_f32 v8, s1, v5, 0xbab64f3b
	v_add_nc_u32_e32 v7, 0x80, v7
	v_and_b32_e32 v9, 0x80000000, v9
	v_cmp_eq_u32_e32 vcc_lo, 0, v4
	v_fmaak_f32 v6, v5, v6, 0xbe2aaa9d
	v_fmaak_f32 v8, v5, v8, 0x3d2aabf7
	v_xor_b32_e32 v2, v2, v9
	v_mul_f32_e32 v6, v5, v6
	v_fmaak_f32 v8, v5, v8, 0xbf000004
	v_fmac_f32_e32 v3, v3, v6
	v_fma_f32 v5, v5, v8, 1.0
	v_cndmask_b32_e32 v3, v5, v3, vcc_lo
	v_cmp_class_f32_e64 vcc_lo, v1, 0x1f8
	v_xor3_b32 v2, v2, v3, v1
	v_cndmask_b32_e32 v1, 0x7fc00000, v2, vcc_lo
	v_bfe_u32 v2, v1, 16, 1
	v_cmp_o_f32_e32 vcc_lo, v1, v1
	v_add3_u32 v1, v1, v2, 0x7fff
	v_mov_b32_e32 v2, 0x7fc0
	v_cndmask_b32_sdwa v1, v2, v1, vcc_lo dst_sel:DWORD dst_unused:UNUSED_PAD src0_sel:DWORD src1_sel:WORD_1
	global_store_short v0, v1, s[4:5]
	s_or_b32 exec_lo, exec_lo, s30
	s_mov_b32 s30, exec_lo
	v_cmpx_gt_i32_e64 s27, v7
	s_cbranch_execnz .LBB33_15
.LBB33_175:
	s_or_b32 exec_lo, exec_lo, s30
	s_mov_b32 s30, exec_lo
	v_cmpx_gt_i32_e64 s27, v7
	s_cbranch_execz .LBB33_195
.LBB33_176:
	s_andn2_b32 vcc_lo, exec_lo, s24
	s_cbranch_vccnz .LBB33_181
; %bb.177:
	s_andn2_b32 vcc_lo, exec_lo, s29
	s_cbranch_vccnz .LBB33_182
; %bb.178:
	s_add_i32 s33, s28, 1
	s_cmp_eq_u32 s23, 2
	s_cbranch_scc1 .LBB33_203
; %bb.179:
	v_mov_b32_e32 v2, 0
	v_mov_b32_e32 v0, 0
	;; [unrolled: 1-line block ×3, first 2 shown]
	s_and_b32 s31, s33, 28
	s_mov_b32 s34, 0
	s_mov_b64 s[0:1], s[2:3]
	s_mov_b64 s[20:21], s[18:19]
.LBB33_180:                             ; =>This Inner Loop Header: Depth=1
	s_clause 0x1
	s_load_dwordx8 s[36:43], s[0:1], 0x4
	s_load_dwordx4 s[52:55], s[0:1], 0x24
	s_load_dwordx8 s[44:51], s[20:21], 0x0
	s_add_u32 s0, s0, 48
	s_addc_u32 s1, s1, 0
	s_add_i32 s34, s34, 4
	s_add_u32 s20, s20, 32
	s_addc_u32 s21, s21, 0
	s_cmp_eq_u32 s31, s34
	s_waitcnt lgkmcnt(0)
	v_mul_hi_u32 v3, s37, v1
	v_add_nc_u32_e32 v3, v1, v3
	v_lshrrev_b32_e32 v3, s38, v3
	v_mul_hi_u32 v4, s40, v3
	v_mul_lo_u32 v6, v3, s36
	v_add_nc_u32_e32 v4, v3, v4
	v_sub_nc_u32_e32 v1, v1, v6
	v_lshrrev_b32_e32 v4, s41, v4
	v_mul_lo_u32 v6, v1, s44
	v_mul_lo_u32 v9, v1, s45
	v_mul_hi_u32 v5, s43, v4
	v_add_nc_u32_e32 v5, v4, v5
	v_lshrrev_b32_e32 v5, s52, v5
	v_mul_hi_u32 v8, s54, v5
	v_mul_lo_u32 v10, v5, s42
	v_add_nc_u32_e32 v1, v5, v8
	v_mul_lo_u32 v8, v4, s39
	v_sub_nc_u32_e32 v4, v4, v10
	v_lshrrev_b32_e32 v1, s55, v1
	v_mul_lo_u32 v10, v4, s48
	v_mul_lo_u32 v4, v4, s49
	v_sub_nc_u32_e32 v3, v3, v8
	v_mul_lo_u32 v11, v1, s53
	v_mul_lo_u32 v8, v3, s46
	;; [unrolled: 1-line block ×3, first 2 shown]
	v_sub_nc_u32_e32 v5, v5, v11
	v_add3_u32 v0, v6, v0, v8
	v_mul_lo_u32 v11, v5, s50
	v_mul_lo_u32 v5, v5, s51
	v_add3_u32 v2, v9, v2, v3
	v_add3_u32 v0, v10, v0, v11
	;; [unrolled: 1-line block ×3, first 2 shown]
	s_cbranch_scc0 .LBB33_180
	s_branch .LBB33_204
.LBB33_181:
                                        ; implicit-def: $vgpr0
                                        ; implicit-def: $vgpr2
	s_branch .LBB33_208
.LBB33_182:
	v_mov_b32_e32 v0, 0
	v_mov_b32_e32 v2, 0
	s_branch .LBB33_207
.LBB33_183:
	v_mov_b32_e32 v0, 0
	v_mov_b32_e32 v2, 0
	;; [unrolled: 1-line block ×3, first 2 shown]
	s_mov_b32 s31, 0
.LBB33_184:
	s_and_b32 s33, s33, 3
	s_cmp_eq_u32 s33, 0
	s_cbranch_scc1 .LBB33_187
; %bb.185:
	s_lshl_b32 s0, s31, 3
	s_mul_i32 s20, s31, 12
	s_add_u32 s0, s2, s0
	s_addc_u32 s1, s3, 0
	s_add_u32 s0, s0, 0xc4
	s_addc_u32 s1, s1, 0
	s_add_u32 s20, s2, s20
	s_addc_u32 s21, s3, 0
	.p2align	6
.LBB33_186:                             ; =>This Inner Loop Header: Depth=1
	s_clause 0x1
	s_load_dwordx2 s[34:35], s[20:21], 0x4
	s_load_dword s31, s[20:21], 0xc
	s_load_dwordx2 s[36:37], s[0:1], 0x0
	s_add_u32 s20, s20, 12
	s_addc_u32 s21, s21, 0
	s_add_u32 s0, s0, 8
	s_addc_u32 s1, s1, 0
	s_add_i32 s33, s33, -1
	s_cmp_lg_u32 s33, 0
	s_waitcnt lgkmcnt(0)
	v_mul_hi_u32 v3, s35, v1
	v_add_nc_u32_e32 v3, v1, v3
	v_lshrrev_b32_e32 v4, s31, v3
	v_mul_lo_u32 v3, v4, s34
	v_sub_nc_u32_e32 v3, v1, v3
	v_mad_u64_u32 v[0:1], null, v3, s36, v[0:1]
	v_mad_u64_u32 v[2:3], null, v3, s37, v[2:3]
	v_mov_b32_e32 v1, v4
	s_cbranch_scc1 .LBB33_186
.LBB33_187:
	s_cbranch_execnz .LBB33_190
.LBB33_188:
	s_waitcnt lgkmcnt(0)
	v_mul_hi_u32 v0, s13, v7
	s_andn2_b32 vcc_lo, exec_lo, s26
	v_add_nc_u32_e32 v0, v7, v0
	v_lshrrev_b32_e32 v1, s14, v0
	v_mul_lo_u32 v0, v1, s12
	v_sub_nc_u32_e32 v2, v7, v0
	v_mul_lo_u32 v0, v2, s8
	v_mul_lo_u32 v2, v2, s9
	s_cbranch_vccnz .LBB33_190
; %bb.189:
	v_mul_hi_u32 v3, s16, v1
	v_add_nc_u32_e32 v3, v1, v3
	v_lshrrev_b32_e32 v3, s17, v3
	v_mul_lo_u32 v3, v3, s15
	v_sub_nc_u32_e32 v3, v1, v3
	v_mad_u64_u32 v[0:1], null, v3, s10, v[0:1]
	v_mad_u64_u32 v[2:3], null, v3, s11, v[2:3]
.LBB33_190:
	s_waitcnt lgkmcnt(0)
	global_load_ushort v1, v2, s[6:7]
                                        ; implicit-def: $vgpr4
                                        ; implicit-def: $vgpr3
	s_mov_b32 s1, exec_lo
	s_waitcnt vmcnt(0)
	v_lshlrev_b32_e32 v1, 16, v1
	v_and_b32_e32 v2, 0x7fffffff, v1
	v_cmpx_ngt_f32_e64 0x48000000, |v1|
	s_xor_b32 s20, exec_lo, s1
	s_cbranch_execz .LBB33_192
; %bb.191:
	s_mov_b32 s0, 0x7fffff
	v_mov_b32_e32 v5, 0
	v_and_or_b32 v6, v2, s0, 0x800000
	v_lshrrev_b32_e32 v12, 23, v2
	v_mad_u64_u32 v[3:4], null, 0xfe5163ab, v6, 0
	v_add_nc_u32_e32 v13, 0xffffff88, v12
	v_cmp_lt_u32_e32 vcc_lo, 63, v13
	v_mad_u64_u32 v[8:9], null, 0x3c439041, v6, v[4:5]
	v_cndmask_b32_e64 v14, 0, 0xffffffc0, vcc_lo
	v_mov_b32_e32 v4, v9
	v_add_nc_u32_e32 v14, v14, v13
	v_mad_u64_u32 v[9:10], null, 0xdb629599, v6, v[4:5]
	v_cmp_lt_u32_e64 s0, 31, v14
	v_cndmask_b32_e64 v15, 0, 0xffffffe0, s0
	v_mov_b32_e32 v4, v10
	v_cndmask_b32_e32 v3, v9, v3, vcc_lo
	v_mad_u64_u32 v[10:11], null, 0xf534ddc0, v6, v[4:5]
	v_mov_b32_e32 v4, v11
	v_cndmask_b32_e32 v8, v10, v8, vcc_lo
	v_mad_u64_u32 v[11:12], null, 0xfc2757d1, v6, v[4:5]
	v_cndmask_b32_e64 v3, v8, v3, s0
	v_mov_b32_e32 v4, v12
	v_mad_u64_u32 v[12:13], null, 0x4e441529, v6, v[4:5]
	v_mov_b32_e32 v4, v13
	v_add_nc_u32_e32 v13, v15, v14
	v_cndmask_b32_e32 v14, v12, v10, vcc_lo
	v_mad_u64_u32 v[4:5], null, 0xa2f9836e, v6, v[4:5]
	v_cmp_lt_u32_e64 s1, 31, v13
	v_cndmask_b32_e64 v6, 0, 0xffffffe0, s1
	v_cndmask_b32_e32 v4, v4, v11, vcc_lo
	v_cndmask_b32_e32 v5, v5, v12, vcc_lo
	;; [unrolled: 1-line block ×3, first 2 shown]
	v_add_nc_u32_e32 v6, v6, v13
	v_cndmask_b32_e64 v10, v4, v14, s0
	v_cndmask_b32_e64 v4, v5, v4, s0
	;; [unrolled: 1-line block ×4, first 2 shown]
	v_sub_nc_u32_e32 v12, 32, v6
	v_cmp_eq_u32_e32 vcc_lo, 0, v6
	v_cndmask_b32_e64 v4, v4, v10, s1
	v_cndmask_b32_e64 v10, v10, v5, s1
	;; [unrolled: 1-line block ×4, first 2 shown]
	v_alignbit_b32 v13, v4, v10, v12
	v_alignbit_b32 v9, v10, v5, v12
	;; [unrolled: 1-line block ×3, first 2 shown]
	v_cndmask_b32_e32 v4, v13, v4, vcc_lo
	v_cndmask_b32_e32 v6, v9, v10, vcc_lo
	v_cndmask_b32_e32 v5, v11, v5, vcc_lo
	v_bfe_u32 v8, v4, 29, 1
	v_alignbit_b32 v9, v4, v6, 30
	v_alignbit_b32 v6, v6, v5, 30
	;; [unrolled: 1-line block ×3, first 2 shown]
	v_sub_nc_u32_e32 v10, 0, v8
	v_xor_b32_e32 v9, v9, v10
	v_xor_b32_e32 v5, v6, v10
	;; [unrolled: 1-line block ×3, first 2 shown]
	v_lshrrev_b32_e32 v10, 29, v4
	v_lshrrev_b32_e32 v4, 30, v4
	v_ffbh_u32_e32 v11, v9
	v_add_nc_u32_e32 v4, v8, v4
	v_min_u32_e32 v11, 32, v11
	v_sub_nc_u32_e32 v6, 31, v11
	v_lshlrev_b32_e32 v12, 23, v11
	v_alignbit_b32 v9, v9, v5, v6
	v_alignbit_b32 v3, v5, v3, v6
	v_lshlrev_b32_e32 v5, 31, v10
	v_alignbit_b32 v6, v9, v3, 9
	v_or_b32_e32 v10, 0.5, v5
	v_lshrrev_b32_e32 v9, 9, v9
	v_or_b32_e32 v5, 0x33000000, v5
	v_ffbh_u32_e32 v13, v6
	v_sub_nc_u32_e32 v10, v10, v12
	v_min_u32_e32 v12, 32, v13
	v_or_b32_e32 v9, v9, v10
	v_not_b32_e32 v10, v12
	v_mul_f32_e32 v13, 0x3fc90fda, v9
	v_add_lshl_u32 v11, v12, v11, 23
	v_alignbit_b32 v3, v6, v3, v10
	v_fma_f32 v6, 0x3fc90fda, v9, -v13
	v_sub_nc_u32_e32 v5, v5, v11
	v_lshrrev_b32_e32 v3, 9, v3
	v_fmamk_f32 v6, v9, 0x33a22168, v6
	v_or_b32_e32 v3, v5, v3
	v_fmac_f32_e32 v6, 0x3fc90fda, v3
	v_add_f32_e32 v3, v13, v6
.LBB33_192:
	s_andn2_saveexec_b32 s0, s20
; %bb.193:
	v_mul_f32_e64 v3, 0x3f22f983, |v1|
	v_rndne_f32_e32 v4, v3
	v_fma_f32 v3, 0xbfc90fda, v4, |v1|
	v_fmamk_f32 v3, v4, 0xb3a22168, v3
	v_fmamk_f32 v3, v4, 0xa7c234c4, v3
	v_cvt_i32_f32_e32 v4, v4
; %bb.194:
	s_or_b32 exec_lo, exec_lo, s0
	v_mul_f32_e32 v5, v3, v3
	s_mov_b32 s0, 0xb94c1982
	s_mov_b32 s1, 0x37d75334
	v_lshlrev_b32_e32 v9, 30, v4
	v_and_b32_e32 v4, 1, v4
	v_fmaak_f32 v6, s0, v5, 0x3c0881c4
	v_fmaak_f32 v8, s1, v5, 0xbab64f3b
	v_add_nc_u32_e32 v7, 0x80, v7
	v_and_b32_e32 v9, 0x80000000, v9
	v_cmp_eq_u32_e32 vcc_lo, 0, v4
	v_fmaak_f32 v6, v5, v6, 0xbe2aaa9d
	v_fmaak_f32 v8, v5, v8, 0x3d2aabf7
	v_xor_b32_e32 v2, v2, v9
	v_mul_f32_e32 v6, v5, v6
	v_fmaak_f32 v8, v5, v8, 0xbf000004
	v_fmac_f32_e32 v3, v3, v6
	v_fma_f32 v5, v5, v8, 1.0
	v_cndmask_b32_e32 v3, v5, v3, vcc_lo
	v_cmp_class_f32_e64 vcc_lo, v1, 0x1f8
	v_xor3_b32 v2, v2, v3, v1
	v_cndmask_b32_e32 v1, 0x7fc00000, v2, vcc_lo
	v_bfe_u32 v2, v1, 16, 1
	v_cmp_o_f32_e32 vcc_lo, v1, v1
	v_add3_u32 v1, v1, v2, 0x7fff
	v_mov_b32_e32 v2, 0x7fc0
	v_cndmask_b32_sdwa v1, v2, v1, vcc_lo dst_sel:DWORD dst_unused:UNUSED_PAD src0_sel:DWORD src1_sel:WORD_1
	global_store_short v0, v1, s[4:5]
	s_or_b32 exec_lo, exec_lo, s30
	s_mov_b32 s30, exec_lo
	v_cmpx_gt_i32_e64 s27, v7
	s_cbranch_execnz .LBB33_176
.LBB33_195:
	s_or_b32 exec_lo, exec_lo, s30
	s_mov_b32 s30, exec_lo
	v_cmpx_gt_i32_e64 s27, v7
	s_cbranch_execz .LBB33_215
.LBB33_196:
	s_andn2_b32 vcc_lo, exec_lo, s24
	s_cbranch_vccnz .LBB33_201
; %bb.197:
	s_andn2_b32 vcc_lo, exec_lo, s29
	s_cbranch_vccnz .LBB33_202
; %bb.198:
	s_add_i32 s33, s28, 1
	s_cmp_eq_u32 s23, 2
	s_cbranch_scc1 .LBB33_223
; %bb.199:
	v_mov_b32_e32 v2, 0
	v_mov_b32_e32 v0, 0
	;; [unrolled: 1-line block ×3, first 2 shown]
	s_and_b32 s31, s33, 28
	s_mov_b32 s34, 0
	s_mov_b64 s[0:1], s[2:3]
	s_mov_b64 s[20:21], s[18:19]
.LBB33_200:                             ; =>This Inner Loop Header: Depth=1
	s_clause 0x1
	s_load_dwordx8 s[36:43], s[0:1], 0x4
	s_load_dwordx4 s[52:55], s[0:1], 0x24
	s_load_dwordx8 s[44:51], s[20:21], 0x0
	s_add_u32 s0, s0, 48
	s_addc_u32 s1, s1, 0
	s_add_i32 s34, s34, 4
	s_add_u32 s20, s20, 32
	s_addc_u32 s21, s21, 0
	s_cmp_eq_u32 s31, s34
	s_waitcnt lgkmcnt(0)
	v_mul_hi_u32 v3, s37, v1
	v_add_nc_u32_e32 v3, v1, v3
	v_lshrrev_b32_e32 v3, s38, v3
	v_mul_hi_u32 v4, s40, v3
	v_mul_lo_u32 v6, v3, s36
	v_add_nc_u32_e32 v4, v3, v4
	v_sub_nc_u32_e32 v1, v1, v6
	v_lshrrev_b32_e32 v4, s41, v4
	v_mul_lo_u32 v6, v1, s44
	v_mul_lo_u32 v9, v1, s45
	v_mul_hi_u32 v5, s43, v4
	v_add_nc_u32_e32 v5, v4, v5
	v_lshrrev_b32_e32 v5, s52, v5
	v_mul_hi_u32 v8, s54, v5
	v_mul_lo_u32 v10, v5, s42
	v_add_nc_u32_e32 v1, v5, v8
	v_mul_lo_u32 v8, v4, s39
	v_sub_nc_u32_e32 v4, v4, v10
	v_lshrrev_b32_e32 v1, s55, v1
	v_mul_lo_u32 v10, v4, s48
	v_mul_lo_u32 v4, v4, s49
	v_sub_nc_u32_e32 v3, v3, v8
	v_mul_lo_u32 v11, v1, s53
	v_mul_lo_u32 v8, v3, s46
	;; [unrolled: 1-line block ×3, first 2 shown]
	v_sub_nc_u32_e32 v5, v5, v11
	v_add3_u32 v0, v6, v0, v8
	v_mul_lo_u32 v11, v5, s50
	v_mul_lo_u32 v5, v5, s51
	v_add3_u32 v2, v9, v2, v3
	v_add3_u32 v0, v10, v0, v11
	;; [unrolled: 1-line block ×3, first 2 shown]
	s_cbranch_scc0 .LBB33_200
	s_branch .LBB33_224
.LBB33_201:
                                        ; implicit-def: $vgpr0
                                        ; implicit-def: $vgpr2
	s_branch .LBB33_228
.LBB33_202:
	v_mov_b32_e32 v0, 0
	v_mov_b32_e32 v2, 0
	s_branch .LBB33_227
.LBB33_203:
	v_mov_b32_e32 v0, 0
	v_mov_b32_e32 v2, 0
	;; [unrolled: 1-line block ×3, first 2 shown]
	s_mov_b32 s31, 0
.LBB33_204:
	s_and_b32 s33, s33, 3
	s_cmp_eq_u32 s33, 0
	s_cbranch_scc1 .LBB33_207
; %bb.205:
	s_lshl_b32 s0, s31, 3
	s_mul_i32 s20, s31, 12
	s_add_u32 s0, s2, s0
	s_addc_u32 s1, s3, 0
	s_add_u32 s0, s0, 0xc4
	s_addc_u32 s1, s1, 0
	;; [unrolled: 2-line block ×3, first 2 shown]
	.p2align	6
.LBB33_206:                             ; =>This Inner Loop Header: Depth=1
	s_clause 0x1
	s_load_dwordx2 s[34:35], s[20:21], 0x4
	s_load_dword s31, s[20:21], 0xc
	s_load_dwordx2 s[36:37], s[0:1], 0x0
	s_add_u32 s20, s20, 12
	s_addc_u32 s21, s21, 0
	s_add_u32 s0, s0, 8
	s_addc_u32 s1, s1, 0
	s_add_i32 s33, s33, -1
	s_cmp_lg_u32 s33, 0
	s_waitcnt lgkmcnt(0)
	v_mul_hi_u32 v3, s35, v1
	v_add_nc_u32_e32 v3, v1, v3
	v_lshrrev_b32_e32 v4, s31, v3
	v_mul_lo_u32 v3, v4, s34
	v_sub_nc_u32_e32 v3, v1, v3
	v_mad_u64_u32 v[0:1], null, v3, s36, v[0:1]
	v_mad_u64_u32 v[2:3], null, v3, s37, v[2:3]
	v_mov_b32_e32 v1, v4
	s_cbranch_scc1 .LBB33_206
.LBB33_207:
	s_cbranch_execnz .LBB33_210
.LBB33_208:
	s_waitcnt lgkmcnt(0)
	v_mul_hi_u32 v0, s13, v7
	s_andn2_b32 vcc_lo, exec_lo, s26
	v_add_nc_u32_e32 v0, v7, v0
	v_lshrrev_b32_e32 v1, s14, v0
	v_mul_lo_u32 v0, v1, s12
	v_sub_nc_u32_e32 v2, v7, v0
	v_mul_lo_u32 v0, v2, s8
	v_mul_lo_u32 v2, v2, s9
	s_cbranch_vccnz .LBB33_210
; %bb.209:
	v_mul_hi_u32 v3, s16, v1
	v_add_nc_u32_e32 v3, v1, v3
	v_lshrrev_b32_e32 v3, s17, v3
	v_mul_lo_u32 v3, v3, s15
	v_sub_nc_u32_e32 v3, v1, v3
	v_mad_u64_u32 v[0:1], null, v3, s10, v[0:1]
	v_mad_u64_u32 v[2:3], null, v3, s11, v[2:3]
.LBB33_210:
	s_waitcnt lgkmcnt(0)
	global_load_ushort v1, v2, s[6:7]
                                        ; implicit-def: $vgpr4
                                        ; implicit-def: $vgpr3
	s_mov_b32 s1, exec_lo
	s_waitcnt vmcnt(0)
	v_lshlrev_b32_e32 v1, 16, v1
	v_and_b32_e32 v2, 0x7fffffff, v1
	v_cmpx_ngt_f32_e64 0x48000000, |v1|
	s_xor_b32 s20, exec_lo, s1
	s_cbranch_execz .LBB33_212
; %bb.211:
	s_mov_b32 s0, 0x7fffff
	v_mov_b32_e32 v5, 0
	v_and_or_b32 v6, v2, s0, 0x800000
	v_lshrrev_b32_e32 v12, 23, v2
	v_mad_u64_u32 v[3:4], null, 0xfe5163ab, v6, 0
	v_add_nc_u32_e32 v13, 0xffffff88, v12
	v_cmp_lt_u32_e32 vcc_lo, 63, v13
	v_mad_u64_u32 v[8:9], null, 0x3c439041, v6, v[4:5]
	v_cndmask_b32_e64 v14, 0, 0xffffffc0, vcc_lo
	v_mov_b32_e32 v4, v9
	v_add_nc_u32_e32 v14, v14, v13
	v_mad_u64_u32 v[9:10], null, 0xdb629599, v6, v[4:5]
	v_cmp_lt_u32_e64 s0, 31, v14
	v_cndmask_b32_e64 v15, 0, 0xffffffe0, s0
	v_mov_b32_e32 v4, v10
	v_cndmask_b32_e32 v3, v9, v3, vcc_lo
	v_mad_u64_u32 v[10:11], null, 0xf534ddc0, v6, v[4:5]
	v_mov_b32_e32 v4, v11
	v_cndmask_b32_e32 v8, v10, v8, vcc_lo
	v_mad_u64_u32 v[11:12], null, 0xfc2757d1, v6, v[4:5]
	v_cndmask_b32_e64 v3, v8, v3, s0
	v_mov_b32_e32 v4, v12
	v_mad_u64_u32 v[12:13], null, 0x4e441529, v6, v[4:5]
	v_mov_b32_e32 v4, v13
	v_add_nc_u32_e32 v13, v15, v14
	v_cndmask_b32_e32 v14, v12, v10, vcc_lo
	v_mad_u64_u32 v[4:5], null, 0xa2f9836e, v6, v[4:5]
	v_cmp_lt_u32_e64 s1, 31, v13
	v_cndmask_b32_e64 v6, 0, 0xffffffe0, s1
	v_cndmask_b32_e32 v4, v4, v11, vcc_lo
	v_cndmask_b32_e32 v5, v5, v12, vcc_lo
	;; [unrolled: 1-line block ×3, first 2 shown]
	v_add_nc_u32_e32 v6, v6, v13
	v_cndmask_b32_e64 v10, v4, v14, s0
	v_cndmask_b32_e64 v4, v5, v4, s0
	;; [unrolled: 1-line block ×4, first 2 shown]
	v_sub_nc_u32_e32 v12, 32, v6
	v_cmp_eq_u32_e32 vcc_lo, 0, v6
	v_cndmask_b32_e64 v4, v4, v10, s1
	v_cndmask_b32_e64 v10, v10, v5, s1
	;; [unrolled: 1-line block ×4, first 2 shown]
	v_alignbit_b32 v13, v4, v10, v12
	v_alignbit_b32 v9, v10, v5, v12
	v_alignbit_b32 v11, v5, v3, v12
	v_cndmask_b32_e32 v4, v13, v4, vcc_lo
	v_cndmask_b32_e32 v6, v9, v10, vcc_lo
	;; [unrolled: 1-line block ×3, first 2 shown]
	v_bfe_u32 v8, v4, 29, 1
	v_alignbit_b32 v9, v4, v6, 30
	v_alignbit_b32 v6, v6, v5, 30
	;; [unrolled: 1-line block ×3, first 2 shown]
	v_sub_nc_u32_e32 v10, 0, v8
	v_xor_b32_e32 v9, v9, v10
	v_xor_b32_e32 v5, v6, v10
	;; [unrolled: 1-line block ×3, first 2 shown]
	v_lshrrev_b32_e32 v10, 29, v4
	v_lshrrev_b32_e32 v4, 30, v4
	v_ffbh_u32_e32 v11, v9
	v_add_nc_u32_e32 v4, v8, v4
	v_min_u32_e32 v11, 32, v11
	v_sub_nc_u32_e32 v6, 31, v11
	v_lshlrev_b32_e32 v12, 23, v11
	v_alignbit_b32 v9, v9, v5, v6
	v_alignbit_b32 v3, v5, v3, v6
	v_lshlrev_b32_e32 v5, 31, v10
	v_alignbit_b32 v6, v9, v3, 9
	v_or_b32_e32 v10, 0.5, v5
	v_lshrrev_b32_e32 v9, 9, v9
	v_or_b32_e32 v5, 0x33000000, v5
	v_ffbh_u32_e32 v13, v6
	v_sub_nc_u32_e32 v10, v10, v12
	v_min_u32_e32 v12, 32, v13
	v_or_b32_e32 v9, v9, v10
	v_not_b32_e32 v10, v12
	v_mul_f32_e32 v13, 0x3fc90fda, v9
	v_add_lshl_u32 v11, v12, v11, 23
	v_alignbit_b32 v3, v6, v3, v10
	v_fma_f32 v6, 0x3fc90fda, v9, -v13
	v_sub_nc_u32_e32 v5, v5, v11
	v_lshrrev_b32_e32 v3, 9, v3
	v_fmamk_f32 v6, v9, 0x33a22168, v6
	v_or_b32_e32 v3, v5, v3
	v_fmac_f32_e32 v6, 0x3fc90fda, v3
	v_add_f32_e32 v3, v13, v6
.LBB33_212:
	s_andn2_saveexec_b32 s0, s20
; %bb.213:
	v_mul_f32_e64 v3, 0x3f22f983, |v1|
	v_rndne_f32_e32 v4, v3
	v_fma_f32 v3, 0xbfc90fda, v4, |v1|
	v_fmamk_f32 v3, v4, 0xb3a22168, v3
	v_fmamk_f32 v3, v4, 0xa7c234c4, v3
	v_cvt_i32_f32_e32 v4, v4
; %bb.214:
	s_or_b32 exec_lo, exec_lo, s0
	v_mul_f32_e32 v5, v3, v3
	s_mov_b32 s0, 0xb94c1982
	s_mov_b32 s1, 0x37d75334
	v_lshlrev_b32_e32 v9, 30, v4
	v_and_b32_e32 v4, 1, v4
	v_fmaak_f32 v6, s0, v5, 0x3c0881c4
	v_fmaak_f32 v8, s1, v5, 0xbab64f3b
	v_add_nc_u32_e32 v7, 0x80, v7
	v_and_b32_e32 v9, 0x80000000, v9
	v_cmp_eq_u32_e32 vcc_lo, 0, v4
	v_fmaak_f32 v6, v5, v6, 0xbe2aaa9d
	v_fmaak_f32 v8, v5, v8, 0x3d2aabf7
	v_xor_b32_e32 v2, v2, v9
	v_mul_f32_e32 v6, v5, v6
	v_fmaak_f32 v8, v5, v8, 0xbf000004
	v_fmac_f32_e32 v3, v3, v6
	v_fma_f32 v5, v5, v8, 1.0
	v_cndmask_b32_e32 v3, v5, v3, vcc_lo
	v_cmp_class_f32_e64 vcc_lo, v1, 0x1f8
	v_xor3_b32 v2, v2, v3, v1
	v_cndmask_b32_e32 v1, 0x7fc00000, v2, vcc_lo
	v_bfe_u32 v2, v1, 16, 1
	v_cmp_o_f32_e32 vcc_lo, v1, v1
	v_add3_u32 v1, v1, v2, 0x7fff
	v_mov_b32_e32 v2, 0x7fc0
	v_cndmask_b32_sdwa v1, v2, v1, vcc_lo dst_sel:DWORD dst_unused:UNUSED_PAD src0_sel:DWORD src1_sel:WORD_1
	global_store_short v0, v1, s[4:5]
	s_or_b32 exec_lo, exec_lo, s30
	s_mov_b32 s30, exec_lo
	v_cmpx_gt_i32_e64 s27, v7
	s_cbranch_execnz .LBB33_196
.LBB33_215:
	s_or_b32 exec_lo, exec_lo, s30
	s_mov_b32 s30, exec_lo
	v_cmpx_gt_i32_e64 s27, v7
	s_cbranch_execz .LBB33_235
.LBB33_216:
	s_andn2_b32 vcc_lo, exec_lo, s24
	s_cbranch_vccnz .LBB33_221
; %bb.217:
	s_andn2_b32 vcc_lo, exec_lo, s29
	s_cbranch_vccnz .LBB33_222
; %bb.218:
	s_add_i32 s33, s28, 1
	s_cmp_eq_u32 s23, 2
	s_cbranch_scc1 .LBB33_243
; %bb.219:
	v_mov_b32_e32 v2, 0
	v_mov_b32_e32 v0, 0
	;; [unrolled: 1-line block ×3, first 2 shown]
	s_and_b32 s31, s33, 28
	s_mov_b32 s34, 0
	s_mov_b64 s[0:1], s[2:3]
	s_mov_b64 s[20:21], s[18:19]
.LBB33_220:                             ; =>This Inner Loop Header: Depth=1
	s_clause 0x1
	s_load_dwordx8 s[36:43], s[0:1], 0x4
	s_load_dwordx4 s[52:55], s[0:1], 0x24
	s_load_dwordx8 s[44:51], s[20:21], 0x0
	s_add_u32 s0, s0, 48
	s_addc_u32 s1, s1, 0
	s_add_i32 s34, s34, 4
	s_add_u32 s20, s20, 32
	s_addc_u32 s21, s21, 0
	s_cmp_eq_u32 s31, s34
	s_waitcnt lgkmcnt(0)
	v_mul_hi_u32 v3, s37, v1
	v_add_nc_u32_e32 v3, v1, v3
	v_lshrrev_b32_e32 v3, s38, v3
	v_mul_hi_u32 v4, s40, v3
	v_mul_lo_u32 v6, v3, s36
	v_add_nc_u32_e32 v4, v3, v4
	v_sub_nc_u32_e32 v1, v1, v6
	v_lshrrev_b32_e32 v4, s41, v4
	v_mul_lo_u32 v6, v1, s44
	v_mul_lo_u32 v9, v1, s45
	v_mul_hi_u32 v5, s43, v4
	v_add_nc_u32_e32 v5, v4, v5
	v_lshrrev_b32_e32 v5, s52, v5
	v_mul_hi_u32 v8, s54, v5
	v_mul_lo_u32 v10, v5, s42
	v_add_nc_u32_e32 v1, v5, v8
	v_mul_lo_u32 v8, v4, s39
	v_sub_nc_u32_e32 v4, v4, v10
	v_lshrrev_b32_e32 v1, s55, v1
	v_mul_lo_u32 v10, v4, s48
	v_mul_lo_u32 v4, v4, s49
	v_sub_nc_u32_e32 v3, v3, v8
	v_mul_lo_u32 v11, v1, s53
	v_mul_lo_u32 v8, v3, s46
	;; [unrolled: 1-line block ×3, first 2 shown]
	v_sub_nc_u32_e32 v5, v5, v11
	v_add3_u32 v0, v6, v0, v8
	v_mul_lo_u32 v11, v5, s50
	v_mul_lo_u32 v5, v5, s51
	v_add3_u32 v2, v9, v2, v3
	v_add3_u32 v0, v10, v0, v11
	v_add3_u32 v2, v4, v2, v5
	s_cbranch_scc0 .LBB33_220
	s_branch .LBB33_244
.LBB33_221:
                                        ; implicit-def: $vgpr0
                                        ; implicit-def: $vgpr2
	s_branch .LBB33_248
.LBB33_222:
	v_mov_b32_e32 v0, 0
	v_mov_b32_e32 v2, 0
	s_branch .LBB33_247
.LBB33_223:
	v_mov_b32_e32 v0, 0
	v_mov_b32_e32 v2, 0
	;; [unrolled: 1-line block ×3, first 2 shown]
	s_mov_b32 s31, 0
.LBB33_224:
	s_and_b32 s33, s33, 3
	s_cmp_eq_u32 s33, 0
	s_cbranch_scc1 .LBB33_227
; %bb.225:
	s_lshl_b32 s0, s31, 3
	s_mul_i32 s20, s31, 12
	s_add_u32 s0, s2, s0
	s_addc_u32 s1, s3, 0
	s_add_u32 s0, s0, 0xc4
	s_addc_u32 s1, s1, 0
	;; [unrolled: 2-line block ×3, first 2 shown]
	.p2align	6
.LBB33_226:                             ; =>This Inner Loop Header: Depth=1
	s_clause 0x1
	s_load_dwordx2 s[34:35], s[20:21], 0x4
	s_load_dword s31, s[20:21], 0xc
	s_load_dwordx2 s[36:37], s[0:1], 0x0
	s_add_u32 s20, s20, 12
	s_addc_u32 s21, s21, 0
	s_add_u32 s0, s0, 8
	s_addc_u32 s1, s1, 0
	s_add_i32 s33, s33, -1
	s_cmp_lg_u32 s33, 0
	s_waitcnt lgkmcnt(0)
	v_mul_hi_u32 v3, s35, v1
	v_add_nc_u32_e32 v3, v1, v3
	v_lshrrev_b32_e32 v4, s31, v3
	v_mul_lo_u32 v3, v4, s34
	v_sub_nc_u32_e32 v3, v1, v3
	v_mad_u64_u32 v[0:1], null, v3, s36, v[0:1]
	v_mad_u64_u32 v[2:3], null, v3, s37, v[2:3]
	v_mov_b32_e32 v1, v4
	s_cbranch_scc1 .LBB33_226
.LBB33_227:
	s_cbranch_execnz .LBB33_230
.LBB33_228:
	s_waitcnt lgkmcnt(0)
	v_mul_hi_u32 v0, s13, v7
	s_andn2_b32 vcc_lo, exec_lo, s26
	v_add_nc_u32_e32 v0, v7, v0
	v_lshrrev_b32_e32 v1, s14, v0
	v_mul_lo_u32 v0, v1, s12
	v_sub_nc_u32_e32 v2, v7, v0
	v_mul_lo_u32 v0, v2, s8
	v_mul_lo_u32 v2, v2, s9
	s_cbranch_vccnz .LBB33_230
; %bb.229:
	v_mul_hi_u32 v3, s16, v1
	v_add_nc_u32_e32 v3, v1, v3
	v_lshrrev_b32_e32 v3, s17, v3
	v_mul_lo_u32 v3, v3, s15
	v_sub_nc_u32_e32 v3, v1, v3
	v_mad_u64_u32 v[0:1], null, v3, s10, v[0:1]
	v_mad_u64_u32 v[2:3], null, v3, s11, v[2:3]
.LBB33_230:
	s_waitcnt lgkmcnt(0)
	global_load_ushort v1, v2, s[6:7]
                                        ; implicit-def: $vgpr4
                                        ; implicit-def: $vgpr3
	s_mov_b32 s1, exec_lo
	s_waitcnt vmcnt(0)
	v_lshlrev_b32_e32 v1, 16, v1
	v_and_b32_e32 v2, 0x7fffffff, v1
	v_cmpx_ngt_f32_e64 0x48000000, |v1|
	s_xor_b32 s20, exec_lo, s1
	s_cbranch_execz .LBB33_232
; %bb.231:
	s_mov_b32 s0, 0x7fffff
	v_mov_b32_e32 v5, 0
	v_and_or_b32 v6, v2, s0, 0x800000
	v_lshrrev_b32_e32 v12, 23, v2
	v_mad_u64_u32 v[3:4], null, 0xfe5163ab, v6, 0
	v_add_nc_u32_e32 v13, 0xffffff88, v12
	v_cmp_lt_u32_e32 vcc_lo, 63, v13
	v_mad_u64_u32 v[8:9], null, 0x3c439041, v6, v[4:5]
	v_cndmask_b32_e64 v14, 0, 0xffffffc0, vcc_lo
	v_mov_b32_e32 v4, v9
	v_add_nc_u32_e32 v14, v14, v13
	v_mad_u64_u32 v[9:10], null, 0xdb629599, v6, v[4:5]
	v_cmp_lt_u32_e64 s0, 31, v14
	v_cndmask_b32_e64 v15, 0, 0xffffffe0, s0
	v_mov_b32_e32 v4, v10
	v_cndmask_b32_e32 v3, v9, v3, vcc_lo
	v_mad_u64_u32 v[10:11], null, 0xf534ddc0, v6, v[4:5]
	v_mov_b32_e32 v4, v11
	v_cndmask_b32_e32 v8, v10, v8, vcc_lo
	v_mad_u64_u32 v[11:12], null, 0xfc2757d1, v6, v[4:5]
	v_cndmask_b32_e64 v3, v8, v3, s0
	v_mov_b32_e32 v4, v12
	v_mad_u64_u32 v[12:13], null, 0x4e441529, v6, v[4:5]
	v_mov_b32_e32 v4, v13
	v_add_nc_u32_e32 v13, v15, v14
	v_cndmask_b32_e32 v14, v12, v10, vcc_lo
	v_mad_u64_u32 v[4:5], null, 0xa2f9836e, v6, v[4:5]
	v_cmp_lt_u32_e64 s1, 31, v13
	v_cndmask_b32_e64 v6, 0, 0xffffffe0, s1
	v_cndmask_b32_e32 v4, v4, v11, vcc_lo
	v_cndmask_b32_e32 v5, v5, v12, vcc_lo
	;; [unrolled: 1-line block ×3, first 2 shown]
	v_add_nc_u32_e32 v6, v6, v13
	v_cndmask_b32_e64 v10, v4, v14, s0
	v_cndmask_b32_e64 v4, v5, v4, s0
	;; [unrolled: 1-line block ×4, first 2 shown]
	v_sub_nc_u32_e32 v12, 32, v6
	v_cmp_eq_u32_e32 vcc_lo, 0, v6
	v_cndmask_b32_e64 v4, v4, v10, s1
	v_cndmask_b32_e64 v10, v10, v5, s1
	;; [unrolled: 1-line block ×4, first 2 shown]
	v_alignbit_b32 v13, v4, v10, v12
	v_alignbit_b32 v9, v10, v5, v12
	;; [unrolled: 1-line block ×3, first 2 shown]
	v_cndmask_b32_e32 v4, v13, v4, vcc_lo
	v_cndmask_b32_e32 v6, v9, v10, vcc_lo
	;; [unrolled: 1-line block ×3, first 2 shown]
	v_bfe_u32 v8, v4, 29, 1
	v_alignbit_b32 v9, v4, v6, 30
	v_alignbit_b32 v6, v6, v5, 30
	;; [unrolled: 1-line block ×3, first 2 shown]
	v_sub_nc_u32_e32 v10, 0, v8
	v_xor_b32_e32 v9, v9, v10
	v_xor_b32_e32 v5, v6, v10
	;; [unrolled: 1-line block ×3, first 2 shown]
	v_lshrrev_b32_e32 v10, 29, v4
	v_lshrrev_b32_e32 v4, 30, v4
	v_ffbh_u32_e32 v11, v9
	v_add_nc_u32_e32 v4, v8, v4
	v_min_u32_e32 v11, 32, v11
	v_sub_nc_u32_e32 v6, 31, v11
	v_lshlrev_b32_e32 v12, 23, v11
	v_alignbit_b32 v9, v9, v5, v6
	v_alignbit_b32 v3, v5, v3, v6
	v_lshlrev_b32_e32 v5, 31, v10
	v_alignbit_b32 v6, v9, v3, 9
	v_or_b32_e32 v10, 0.5, v5
	v_lshrrev_b32_e32 v9, 9, v9
	v_or_b32_e32 v5, 0x33000000, v5
	v_ffbh_u32_e32 v13, v6
	v_sub_nc_u32_e32 v10, v10, v12
	v_min_u32_e32 v12, 32, v13
	v_or_b32_e32 v9, v9, v10
	v_not_b32_e32 v10, v12
	v_mul_f32_e32 v13, 0x3fc90fda, v9
	v_add_lshl_u32 v11, v12, v11, 23
	v_alignbit_b32 v3, v6, v3, v10
	v_fma_f32 v6, 0x3fc90fda, v9, -v13
	v_sub_nc_u32_e32 v5, v5, v11
	v_lshrrev_b32_e32 v3, 9, v3
	v_fmamk_f32 v6, v9, 0x33a22168, v6
	v_or_b32_e32 v3, v5, v3
	v_fmac_f32_e32 v6, 0x3fc90fda, v3
	v_add_f32_e32 v3, v13, v6
.LBB33_232:
	s_andn2_saveexec_b32 s0, s20
; %bb.233:
	v_mul_f32_e64 v3, 0x3f22f983, |v1|
	v_rndne_f32_e32 v4, v3
	v_fma_f32 v3, 0xbfc90fda, v4, |v1|
	v_fmamk_f32 v3, v4, 0xb3a22168, v3
	v_fmamk_f32 v3, v4, 0xa7c234c4, v3
	v_cvt_i32_f32_e32 v4, v4
; %bb.234:
	s_or_b32 exec_lo, exec_lo, s0
	v_mul_f32_e32 v5, v3, v3
	s_mov_b32 s0, 0xb94c1982
	s_mov_b32 s1, 0x37d75334
	v_lshlrev_b32_e32 v9, 30, v4
	v_and_b32_e32 v4, 1, v4
	v_fmaak_f32 v6, s0, v5, 0x3c0881c4
	v_fmaak_f32 v8, s1, v5, 0xbab64f3b
	v_add_nc_u32_e32 v7, 0x80, v7
	v_and_b32_e32 v9, 0x80000000, v9
	v_cmp_eq_u32_e32 vcc_lo, 0, v4
	v_fmaak_f32 v6, v5, v6, 0xbe2aaa9d
	v_fmaak_f32 v8, v5, v8, 0x3d2aabf7
	v_xor_b32_e32 v2, v2, v9
	v_mul_f32_e32 v6, v5, v6
	v_fmaak_f32 v8, v5, v8, 0xbf000004
	v_fmac_f32_e32 v3, v3, v6
	v_fma_f32 v5, v5, v8, 1.0
	v_cndmask_b32_e32 v3, v5, v3, vcc_lo
	v_cmp_class_f32_e64 vcc_lo, v1, 0x1f8
	v_xor3_b32 v2, v2, v3, v1
	v_cndmask_b32_e32 v1, 0x7fc00000, v2, vcc_lo
	v_bfe_u32 v2, v1, 16, 1
	v_cmp_o_f32_e32 vcc_lo, v1, v1
	v_add3_u32 v1, v1, v2, 0x7fff
	v_mov_b32_e32 v2, 0x7fc0
	v_cndmask_b32_sdwa v1, v2, v1, vcc_lo dst_sel:DWORD dst_unused:UNUSED_PAD src0_sel:DWORD src1_sel:WORD_1
	global_store_short v0, v1, s[4:5]
	s_or_b32 exec_lo, exec_lo, s30
	s_mov_b32 s30, exec_lo
	v_cmpx_gt_i32_e64 s27, v7
	s_cbranch_execnz .LBB33_216
.LBB33_235:
	s_or_b32 exec_lo, exec_lo, s30
	s_mov_b32 s30, exec_lo
	v_cmpx_gt_i32_e64 s27, v7
	s_cbranch_execz .LBB33_255
.LBB33_236:
	s_andn2_b32 vcc_lo, exec_lo, s24
	s_cbranch_vccnz .LBB33_241
; %bb.237:
	s_andn2_b32 vcc_lo, exec_lo, s29
	s_cbranch_vccnz .LBB33_242
; %bb.238:
	s_add_i32 s33, s28, 1
	s_cmp_eq_u32 s23, 2
	s_cbranch_scc1 .LBB33_263
; %bb.239:
	v_mov_b32_e32 v2, 0
	v_mov_b32_e32 v0, 0
	;; [unrolled: 1-line block ×3, first 2 shown]
	s_and_b32 s31, s33, 28
	s_mov_b32 s34, 0
	s_mov_b64 s[0:1], s[2:3]
	s_mov_b64 s[20:21], s[18:19]
.LBB33_240:                             ; =>This Inner Loop Header: Depth=1
	s_clause 0x1
	s_load_dwordx8 s[36:43], s[0:1], 0x4
	s_load_dwordx4 s[52:55], s[0:1], 0x24
	s_load_dwordx8 s[44:51], s[20:21], 0x0
	s_add_u32 s0, s0, 48
	s_addc_u32 s1, s1, 0
	s_add_i32 s34, s34, 4
	s_add_u32 s20, s20, 32
	s_addc_u32 s21, s21, 0
	s_cmp_eq_u32 s31, s34
	s_waitcnt lgkmcnt(0)
	v_mul_hi_u32 v3, s37, v1
	v_add_nc_u32_e32 v3, v1, v3
	v_lshrrev_b32_e32 v3, s38, v3
	v_mul_hi_u32 v4, s40, v3
	v_mul_lo_u32 v6, v3, s36
	v_add_nc_u32_e32 v4, v3, v4
	v_sub_nc_u32_e32 v1, v1, v6
	v_lshrrev_b32_e32 v4, s41, v4
	v_mul_lo_u32 v6, v1, s44
	v_mul_lo_u32 v9, v1, s45
	v_mul_hi_u32 v5, s43, v4
	v_add_nc_u32_e32 v5, v4, v5
	v_lshrrev_b32_e32 v5, s52, v5
	v_mul_hi_u32 v8, s54, v5
	v_mul_lo_u32 v10, v5, s42
	v_add_nc_u32_e32 v1, v5, v8
	v_mul_lo_u32 v8, v4, s39
	v_sub_nc_u32_e32 v4, v4, v10
	v_lshrrev_b32_e32 v1, s55, v1
	v_mul_lo_u32 v10, v4, s48
	v_mul_lo_u32 v4, v4, s49
	v_sub_nc_u32_e32 v3, v3, v8
	v_mul_lo_u32 v11, v1, s53
	v_mul_lo_u32 v8, v3, s46
	v_mul_lo_u32 v3, v3, s47
	v_sub_nc_u32_e32 v5, v5, v11
	v_add3_u32 v0, v6, v0, v8
	v_mul_lo_u32 v11, v5, s50
	v_mul_lo_u32 v5, v5, s51
	v_add3_u32 v2, v9, v2, v3
	v_add3_u32 v0, v10, v0, v11
	;; [unrolled: 1-line block ×3, first 2 shown]
	s_cbranch_scc0 .LBB33_240
	s_branch .LBB33_264
.LBB33_241:
                                        ; implicit-def: $vgpr0
                                        ; implicit-def: $vgpr2
	s_branch .LBB33_268
.LBB33_242:
	v_mov_b32_e32 v0, 0
	v_mov_b32_e32 v2, 0
	s_branch .LBB33_267
.LBB33_243:
	v_mov_b32_e32 v0, 0
	v_mov_b32_e32 v2, 0
	;; [unrolled: 1-line block ×3, first 2 shown]
	s_mov_b32 s31, 0
.LBB33_244:
	s_and_b32 s33, s33, 3
	s_cmp_eq_u32 s33, 0
	s_cbranch_scc1 .LBB33_247
; %bb.245:
	s_lshl_b32 s0, s31, 3
	s_mul_i32 s20, s31, 12
	s_add_u32 s0, s2, s0
	s_addc_u32 s1, s3, 0
	s_add_u32 s0, s0, 0xc4
	s_addc_u32 s1, s1, 0
	;; [unrolled: 2-line block ×3, first 2 shown]
	.p2align	6
.LBB33_246:                             ; =>This Inner Loop Header: Depth=1
	s_clause 0x1
	s_load_dwordx2 s[34:35], s[20:21], 0x4
	s_load_dword s31, s[20:21], 0xc
	s_load_dwordx2 s[36:37], s[0:1], 0x0
	s_add_u32 s20, s20, 12
	s_addc_u32 s21, s21, 0
	s_add_u32 s0, s0, 8
	s_addc_u32 s1, s1, 0
	s_add_i32 s33, s33, -1
	s_cmp_lg_u32 s33, 0
	s_waitcnt lgkmcnt(0)
	v_mul_hi_u32 v3, s35, v1
	v_add_nc_u32_e32 v3, v1, v3
	v_lshrrev_b32_e32 v4, s31, v3
	v_mul_lo_u32 v3, v4, s34
	v_sub_nc_u32_e32 v3, v1, v3
	v_mad_u64_u32 v[0:1], null, v3, s36, v[0:1]
	v_mad_u64_u32 v[2:3], null, v3, s37, v[2:3]
	v_mov_b32_e32 v1, v4
	s_cbranch_scc1 .LBB33_246
.LBB33_247:
	s_cbranch_execnz .LBB33_250
.LBB33_248:
	s_waitcnt lgkmcnt(0)
	v_mul_hi_u32 v0, s13, v7
	s_andn2_b32 vcc_lo, exec_lo, s26
	v_add_nc_u32_e32 v0, v7, v0
	v_lshrrev_b32_e32 v1, s14, v0
	v_mul_lo_u32 v0, v1, s12
	v_sub_nc_u32_e32 v2, v7, v0
	v_mul_lo_u32 v0, v2, s8
	v_mul_lo_u32 v2, v2, s9
	s_cbranch_vccnz .LBB33_250
; %bb.249:
	v_mul_hi_u32 v3, s16, v1
	v_add_nc_u32_e32 v3, v1, v3
	v_lshrrev_b32_e32 v3, s17, v3
	v_mul_lo_u32 v3, v3, s15
	v_sub_nc_u32_e32 v3, v1, v3
	v_mad_u64_u32 v[0:1], null, v3, s10, v[0:1]
	v_mad_u64_u32 v[2:3], null, v3, s11, v[2:3]
.LBB33_250:
	s_waitcnt lgkmcnt(0)
	global_load_ushort v1, v2, s[6:7]
                                        ; implicit-def: $vgpr4
                                        ; implicit-def: $vgpr3
	s_mov_b32 s1, exec_lo
	s_waitcnt vmcnt(0)
	v_lshlrev_b32_e32 v1, 16, v1
	v_and_b32_e32 v2, 0x7fffffff, v1
	v_cmpx_ngt_f32_e64 0x48000000, |v1|
	s_xor_b32 s20, exec_lo, s1
	s_cbranch_execz .LBB33_252
; %bb.251:
	s_mov_b32 s0, 0x7fffff
	v_mov_b32_e32 v5, 0
	v_and_or_b32 v6, v2, s0, 0x800000
	v_lshrrev_b32_e32 v12, 23, v2
	v_mad_u64_u32 v[3:4], null, 0xfe5163ab, v6, 0
	v_add_nc_u32_e32 v13, 0xffffff88, v12
	v_cmp_lt_u32_e32 vcc_lo, 63, v13
	v_mad_u64_u32 v[8:9], null, 0x3c439041, v6, v[4:5]
	v_cndmask_b32_e64 v14, 0, 0xffffffc0, vcc_lo
	v_mov_b32_e32 v4, v9
	v_add_nc_u32_e32 v14, v14, v13
	v_mad_u64_u32 v[9:10], null, 0xdb629599, v6, v[4:5]
	v_cmp_lt_u32_e64 s0, 31, v14
	v_cndmask_b32_e64 v15, 0, 0xffffffe0, s0
	v_mov_b32_e32 v4, v10
	v_cndmask_b32_e32 v3, v9, v3, vcc_lo
	v_mad_u64_u32 v[10:11], null, 0xf534ddc0, v6, v[4:5]
	v_mov_b32_e32 v4, v11
	v_cndmask_b32_e32 v8, v10, v8, vcc_lo
	v_mad_u64_u32 v[11:12], null, 0xfc2757d1, v6, v[4:5]
	v_cndmask_b32_e64 v3, v8, v3, s0
	v_mov_b32_e32 v4, v12
	v_mad_u64_u32 v[12:13], null, 0x4e441529, v6, v[4:5]
	v_mov_b32_e32 v4, v13
	v_add_nc_u32_e32 v13, v15, v14
	v_cndmask_b32_e32 v14, v12, v10, vcc_lo
	v_mad_u64_u32 v[4:5], null, 0xa2f9836e, v6, v[4:5]
	v_cmp_lt_u32_e64 s1, 31, v13
	v_cndmask_b32_e64 v6, 0, 0xffffffe0, s1
	v_cndmask_b32_e32 v4, v4, v11, vcc_lo
	v_cndmask_b32_e32 v5, v5, v12, vcc_lo
	;; [unrolled: 1-line block ×3, first 2 shown]
	v_add_nc_u32_e32 v6, v6, v13
	v_cndmask_b32_e64 v10, v4, v14, s0
	v_cndmask_b32_e64 v4, v5, v4, s0
	;; [unrolled: 1-line block ×4, first 2 shown]
	v_sub_nc_u32_e32 v12, 32, v6
	v_cmp_eq_u32_e32 vcc_lo, 0, v6
	v_cndmask_b32_e64 v4, v4, v10, s1
	v_cndmask_b32_e64 v10, v10, v5, s1
	v_cndmask_b32_e64 v5, v5, v11, s1
	v_cndmask_b32_e64 v3, v11, v3, s1
	v_alignbit_b32 v13, v4, v10, v12
	v_alignbit_b32 v9, v10, v5, v12
	;; [unrolled: 1-line block ×3, first 2 shown]
	v_cndmask_b32_e32 v4, v13, v4, vcc_lo
	v_cndmask_b32_e32 v6, v9, v10, vcc_lo
	;; [unrolled: 1-line block ×3, first 2 shown]
	v_bfe_u32 v8, v4, 29, 1
	v_alignbit_b32 v9, v4, v6, 30
	v_alignbit_b32 v6, v6, v5, 30
	;; [unrolled: 1-line block ×3, first 2 shown]
	v_sub_nc_u32_e32 v10, 0, v8
	v_xor_b32_e32 v9, v9, v10
	v_xor_b32_e32 v5, v6, v10
	;; [unrolled: 1-line block ×3, first 2 shown]
	v_lshrrev_b32_e32 v10, 29, v4
	v_lshrrev_b32_e32 v4, 30, v4
	v_ffbh_u32_e32 v11, v9
	v_add_nc_u32_e32 v4, v8, v4
	v_min_u32_e32 v11, 32, v11
	v_sub_nc_u32_e32 v6, 31, v11
	v_lshlrev_b32_e32 v12, 23, v11
	v_alignbit_b32 v9, v9, v5, v6
	v_alignbit_b32 v3, v5, v3, v6
	v_lshlrev_b32_e32 v5, 31, v10
	v_alignbit_b32 v6, v9, v3, 9
	v_or_b32_e32 v10, 0.5, v5
	v_lshrrev_b32_e32 v9, 9, v9
	v_or_b32_e32 v5, 0x33000000, v5
	v_ffbh_u32_e32 v13, v6
	v_sub_nc_u32_e32 v10, v10, v12
	v_min_u32_e32 v12, 32, v13
	v_or_b32_e32 v9, v9, v10
	v_not_b32_e32 v10, v12
	v_mul_f32_e32 v13, 0x3fc90fda, v9
	v_add_lshl_u32 v11, v12, v11, 23
	v_alignbit_b32 v3, v6, v3, v10
	v_fma_f32 v6, 0x3fc90fda, v9, -v13
	v_sub_nc_u32_e32 v5, v5, v11
	v_lshrrev_b32_e32 v3, 9, v3
	v_fmamk_f32 v6, v9, 0x33a22168, v6
	v_or_b32_e32 v3, v5, v3
	v_fmac_f32_e32 v6, 0x3fc90fda, v3
	v_add_f32_e32 v3, v13, v6
.LBB33_252:
	s_andn2_saveexec_b32 s0, s20
; %bb.253:
	v_mul_f32_e64 v3, 0x3f22f983, |v1|
	v_rndne_f32_e32 v4, v3
	v_fma_f32 v3, 0xbfc90fda, v4, |v1|
	v_fmamk_f32 v3, v4, 0xb3a22168, v3
	v_fmamk_f32 v3, v4, 0xa7c234c4, v3
	v_cvt_i32_f32_e32 v4, v4
; %bb.254:
	s_or_b32 exec_lo, exec_lo, s0
	v_mul_f32_e32 v5, v3, v3
	s_mov_b32 s0, 0xb94c1982
	s_mov_b32 s1, 0x37d75334
	v_lshlrev_b32_e32 v9, 30, v4
	v_and_b32_e32 v4, 1, v4
	v_fmaak_f32 v6, s0, v5, 0x3c0881c4
	v_fmaak_f32 v8, s1, v5, 0xbab64f3b
	v_add_nc_u32_e32 v7, 0x80, v7
	v_and_b32_e32 v9, 0x80000000, v9
	v_cmp_eq_u32_e32 vcc_lo, 0, v4
	v_fmaak_f32 v6, v5, v6, 0xbe2aaa9d
	v_fmaak_f32 v8, v5, v8, 0x3d2aabf7
	v_xor_b32_e32 v2, v2, v9
	v_mul_f32_e32 v6, v5, v6
	v_fmaak_f32 v8, v5, v8, 0xbf000004
	v_fmac_f32_e32 v3, v3, v6
	v_fma_f32 v5, v5, v8, 1.0
	v_cndmask_b32_e32 v3, v5, v3, vcc_lo
	v_cmp_class_f32_e64 vcc_lo, v1, 0x1f8
	v_xor3_b32 v2, v2, v3, v1
	v_cndmask_b32_e32 v1, 0x7fc00000, v2, vcc_lo
	v_bfe_u32 v2, v1, 16, 1
	v_cmp_o_f32_e32 vcc_lo, v1, v1
	v_add3_u32 v1, v1, v2, 0x7fff
	v_mov_b32_e32 v2, 0x7fc0
	v_cndmask_b32_sdwa v1, v2, v1, vcc_lo dst_sel:DWORD dst_unused:UNUSED_PAD src0_sel:DWORD src1_sel:WORD_1
	global_store_short v0, v1, s[4:5]
	s_or_b32 exec_lo, exec_lo, s30
	s_mov_b32 s30, exec_lo
	v_cmpx_gt_i32_e64 s27, v7
	s_cbranch_execnz .LBB33_236
.LBB33_255:
	s_or_b32 exec_lo, exec_lo, s30
	s_mov_b32 s30, exec_lo
	v_cmpx_gt_i32_e64 s27, v7
	s_cbranch_execz .LBB33_275
.LBB33_256:
	s_andn2_b32 vcc_lo, exec_lo, s24
	s_cbranch_vccnz .LBB33_261
; %bb.257:
	s_andn2_b32 vcc_lo, exec_lo, s29
	s_cbranch_vccnz .LBB33_262
; %bb.258:
	s_add_i32 s33, s28, 1
	s_cmp_eq_u32 s23, 2
	s_cbranch_scc1 .LBB33_278
; %bb.259:
	v_mov_b32_e32 v2, 0
	v_mov_b32_e32 v0, 0
	;; [unrolled: 1-line block ×3, first 2 shown]
	s_and_b32 s31, s33, 28
	s_mov_b32 s34, 0
	s_mov_b64 s[0:1], s[2:3]
	s_mov_b64 s[20:21], s[18:19]
.LBB33_260:                             ; =>This Inner Loop Header: Depth=1
	s_clause 0x1
	s_load_dwordx8 s[36:43], s[0:1], 0x4
	s_load_dwordx4 s[52:55], s[0:1], 0x24
	s_load_dwordx8 s[44:51], s[20:21], 0x0
	s_add_u32 s0, s0, 48
	s_addc_u32 s1, s1, 0
	s_add_i32 s34, s34, 4
	s_add_u32 s20, s20, 32
	s_addc_u32 s21, s21, 0
	s_cmp_eq_u32 s31, s34
	s_waitcnt lgkmcnt(0)
	v_mul_hi_u32 v3, s37, v1
	v_add_nc_u32_e32 v3, v1, v3
	v_lshrrev_b32_e32 v3, s38, v3
	v_mul_hi_u32 v4, s40, v3
	v_mul_lo_u32 v6, v3, s36
	v_add_nc_u32_e32 v4, v3, v4
	v_sub_nc_u32_e32 v1, v1, v6
	v_lshrrev_b32_e32 v4, s41, v4
	v_mul_lo_u32 v6, v1, s44
	v_mul_lo_u32 v9, v1, s45
	v_mul_hi_u32 v5, s43, v4
	v_add_nc_u32_e32 v5, v4, v5
	v_lshrrev_b32_e32 v5, s52, v5
	v_mul_hi_u32 v8, s54, v5
	v_mul_lo_u32 v10, v5, s42
	v_add_nc_u32_e32 v1, v5, v8
	v_mul_lo_u32 v8, v4, s39
	v_sub_nc_u32_e32 v4, v4, v10
	v_lshrrev_b32_e32 v1, s55, v1
	v_mul_lo_u32 v10, v4, s48
	v_mul_lo_u32 v4, v4, s49
	v_sub_nc_u32_e32 v3, v3, v8
	v_mul_lo_u32 v11, v1, s53
	v_mul_lo_u32 v8, v3, s46
	;; [unrolled: 1-line block ×3, first 2 shown]
	v_sub_nc_u32_e32 v5, v5, v11
	v_add3_u32 v0, v6, v0, v8
	v_mul_lo_u32 v11, v5, s50
	v_mul_lo_u32 v5, v5, s51
	v_add3_u32 v2, v9, v2, v3
	v_add3_u32 v0, v10, v0, v11
	;; [unrolled: 1-line block ×3, first 2 shown]
	s_cbranch_scc0 .LBB33_260
	s_branch .LBB33_279
.LBB33_261:
                                        ; implicit-def: $vgpr0
                                        ; implicit-def: $vgpr2
	s_branch .LBB33_283
.LBB33_262:
	v_mov_b32_e32 v0, 0
	v_mov_b32_e32 v2, 0
	s_branch .LBB33_282
.LBB33_263:
	v_mov_b32_e32 v0, 0
	v_mov_b32_e32 v2, 0
	;; [unrolled: 1-line block ×3, first 2 shown]
	s_mov_b32 s31, 0
.LBB33_264:
	s_and_b32 s33, s33, 3
	s_cmp_eq_u32 s33, 0
	s_cbranch_scc1 .LBB33_267
; %bb.265:
	s_lshl_b32 s0, s31, 3
	s_mul_i32 s20, s31, 12
	s_add_u32 s0, s2, s0
	s_addc_u32 s1, s3, 0
	s_add_u32 s0, s0, 0xc4
	s_addc_u32 s1, s1, 0
	;; [unrolled: 2-line block ×3, first 2 shown]
	.p2align	6
.LBB33_266:                             ; =>This Inner Loop Header: Depth=1
	s_clause 0x1
	s_load_dwordx2 s[34:35], s[20:21], 0x4
	s_load_dword s31, s[20:21], 0xc
	s_load_dwordx2 s[36:37], s[0:1], 0x0
	s_add_u32 s20, s20, 12
	s_addc_u32 s21, s21, 0
	s_add_u32 s0, s0, 8
	s_addc_u32 s1, s1, 0
	s_add_i32 s33, s33, -1
	s_cmp_lg_u32 s33, 0
	s_waitcnt lgkmcnt(0)
	v_mul_hi_u32 v3, s35, v1
	v_add_nc_u32_e32 v3, v1, v3
	v_lshrrev_b32_e32 v4, s31, v3
	v_mul_lo_u32 v3, v4, s34
	v_sub_nc_u32_e32 v3, v1, v3
	v_mad_u64_u32 v[0:1], null, v3, s36, v[0:1]
	v_mad_u64_u32 v[2:3], null, v3, s37, v[2:3]
	v_mov_b32_e32 v1, v4
	s_cbranch_scc1 .LBB33_266
.LBB33_267:
	s_cbranch_execnz .LBB33_270
.LBB33_268:
	s_waitcnt lgkmcnt(0)
	v_mul_hi_u32 v0, s13, v7
	s_andn2_b32 vcc_lo, exec_lo, s26
	v_add_nc_u32_e32 v0, v7, v0
	v_lshrrev_b32_e32 v1, s14, v0
	v_mul_lo_u32 v0, v1, s12
	v_sub_nc_u32_e32 v2, v7, v0
	v_mul_lo_u32 v0, v2, s8
	v_mul_lo_u32 v2, v2, s9
	s_cbranch_vccnz .LBB33_270
; %bb.269:
	v_mul_hi_u32 v3, s16, v1
	v_add_nc_u32_e32 v3, v1, v3
	v_lshrrev_b32_e32 v3, s17, v3
	v_mul_lo_u32 v3, v3, s15
	v_sub_nc_u32_e32 v3, v1, v3
	v_mad_u64_u32 v[0:1], null, v3, s10, v[0:1]
	v_mad_u64_u32 v[2:3], null, v3, s11, v[2:3]
.LBB33_270:
	s_waitcnt lgkmcnt(0)
	global_load_ushort v1, v2, s[6:7]
                                        ; implicit-def: $vgpr4
                                        ; implicit-def: $vgpr3
	s_mov_b32 s1, exec_lo
	s_waitcnt vmcnt(0)
	v_lshlrev_b32_e32 v1, 16, v1
	v_and_b32_e32 v2, 0x7fffffff, v1
	v_cmpx_ngt_f32_e64 0x48000000, |v1|
	s_xor_b32 s20, exec_lo, s1
	s_cbranch_execz .LBB33_272
; %bb.271:
	s_mov_b32 s0, 0x7fffff
	v_mov_b32_e32 v5, 0
	v_and_or_b32 v6, v2, s0, 0x800000
	v_lshrrev_b32_e32 v12, 23, v2
	v_mad_u64_u32 v[3:4], null, 0xfe5163ab, v6, 0
	v_add_nc_u32_e32 v13, 0xffffff88, v12
	v_cmp_lt_u32_e32 vcc_lo, 63, v13
	v_mad_u64_u32 v[8:9], null, 0x3c439041, v6, v[4:5]
	v_cndmask_b32_e64 v14, 0, 0xffffffc0, vcc_lo
	v_mov_b32_e32 v4, v9
	v_add_nc_u32_e32 v14, v14, v13
	v_mad_u64_u32 v[9:10], null, 0xdb629599, v6, v[4:5]
	v_cmp_lt_u32_e64 s0, 31, v14
	v_cndmask_b32_e64 v15, 0, 0xffffffe0, s0
	v_mov_b32_e32 v4, v10
	v_cndmask_b32_e32 v3, v9, v3, vcc_lo
	v_mad_u64_u32 v[10:11], null, 0xf534ddc0, v6, v[4:5]
	v_mov_b32_e32 v4, v11
	v_cndmask_b32_e32 v8, v10, v8, vcc_lo
	v_mad_u64_u32 v[11:12], null, 0xfc2757d1, v6, v[4:5]
	v_cndmask_b32_e64 v3, v8, v3, s0
	v_mov_b32_e32 v4, v12
	v_mad_u64_u32 v[12:13], null, 0x4e441529, v6, v[4:5]
	v_mov_b32_e32 v4, v13
	v_add_nc_u32_e32 v13, v15, v14
	v_cndmask_b32_e32 v14, v12, v10, vcc_lo
	v_mad_u64_u32 v[4:5], null, 0xa2f9836e, v6, v[4:5]
	v_cmp_lt_u32_e64 s1, 31, v13
	v_cndmask_b32_e64 v6, 0, 0xffffffe0, s1
	v_cndmask_b32_e32 v4, v4, v11, vcc_lo
	v_cndmask_b32_e32 v5, v5, v12, vcc_lo
	;; [unrolled: 1-line block ×3, first 2 shown]
	v_add_nc_u32_e32 v6, v6, v13
	v_cndmask_b32_e64 v10, v4, v14, s0
	v_cndmask_b32_e64 v4, v5, v4, s0
	;; [unrolled: 1-line block ×4, first 2 shown]
	v_sub_nc_u32_e32 v12, 32, v6
	v_cmp_eq_u32_e32 vcc_lo, 0, v6
	v_cndmask_b32_e64 v4, v4, v10, s1
	v_cndmask_b32_e64 v10, v10, v5, s1
	;; [unrolled: 1-line block ×4, first 2 shown]
	v_alignbit_b32 v13, v4, v10, v12
	v_alignbit_b32 v9, v10, v5, v12
	;; [unrolled: 1-line block ×3, first 2 shown]
	v_cndmask_b32_e32 v4, v13, v4, vcc_lo
	v_cndmask_b32_e32 v6, v9, v10, vcc_lo
	;; [unrolled: 1-line block ×3, first 2 shown]
	v_bfe_u32 v8, v4, 29, 1
	v_alignbit_b32 v9, v4, v6, 30
	v_alignbit_b32 v6, v6, v5, 30
	;; [unrolled: 1-line block ×3, first 2 shown]
	v_sub_nc_u32_e32 v10, 0, v8
	v_xor_b32_e32 v9, v9, v10
	v_xor_b32_e32 v5, v6, v10
	v_xor_b32_e32 v3, v3, v10
	v_lshrrev_b32_e32 v10, 29, v4
	v_lshrrev_b32_e32 v4, 30, v4
	v_ffbh_u32_e32 v11, v9
	v_add_nc_u32_e32 v4, v8, v4
	v_min_u32_e32 v11, 32, v11
	v_sub_nc_u32_e32 v6, 31, v11
	v_lshlrev_b32_e32 v12, 23, v11
	v_alignbit_b32 v9, v9, v5, v6
	v_alignbit_b32 v3, v5, v3, v6
	v_lshlrev_b32_e32 v5, 31, v10
	v_alignbit_b32 v6, v9, v3, 9
	v_or_b32_e32 v10, 0.5, v5
	v_lshrrev_b32_e32 v9, 9, v9
	v_or_b32_e32 v5, 0x33000000, v5
	v_ffbh_u32_e32 v13, v6
	v_sub_nc_u32_e32 v10, v10, v12
	v_min_u32_e32 v12, 32, v13
	v_or_b32_e32 v9, v9, v10
	v_not_b32_e32 v10, v12
	v_mul_f32_e32 v13, 0x3fc90fda, v9
	v_add_lshl_u32 v11, v12, v11, 23
	v_alignbit_b32 v3, v6, v3, v10
	v_fma_f32 v6, 0x3fc90fda, v9, -v13
	v_sub_nc_u32_e32 v5, v5, v11
	v_lshrrev_b32_e32 v3, 9, v3
	v_fmamk_f32 v6, v9, 0x33a22168, v6
	v_or_b32_e32 v3, v5, v3
	v_fmac_f32_e32 v6, 0x3fc90fda, v3
	v_add_f32_e32 v3, v13, v6
.LBB33_272:
	s_andn2_saveexec_b32 s0, s20
; %bb.273:
	v_mul_f32_e64 v3, 0x3f22f983, |v1|
	v_rndne_f32_e32 v4, v3
	v_fma_f32 v3, 0xbfc90fda, v4, |v1|
	v_fmamk_f32 v3, v4, 0xb3a22168, v3
	v_fmamk_f32 v3, v4, 0xa7c234c4, v3
	v_cvt_i32_f32_e32 v4, v4
; %bb.274:
	s_or_b32 exec_lo, exec_lo, s0
	v_mul_f32_e32 v5, v3, v3
	s_mov_b32 s0, 0xb94c1982
	s_mov_b32 s1, 0x37d75334
	v_lshlrev_b32_e32 v9, 30, v4
	v_and_b32_e32 v4, 1, v4
	v_fmaak_f32 v6, s0, v5, 0x3c0881c4
	v_fmaak_f32 v8, s1, v5, 0xbab64f3b
	v_add_nc_u32_e32 v7, 0x80, v7
	v_and_b32_e32 v9, 0x80000000, v9
	v_cmp_eq_u32_e32 vcc_lo, 0, v4
	v_fmaak_f32 v6, v5, v6, 0xbe2aaa9d
	v_fmaak_f32 v8, v5, v8, 0x3d2aabf7
	v_xor_b32_e32 v2, v2, v9
	v_mul_f32_e32 v6, v5, v6
	v_fmaak_f32 v8, v5, v8, 0xbf000004
	v_fmac_f32_e32 v3, v3, v6
	v_fma_f32 v5, v5, v8, 1.0
	v_cndmask_b32_e32 v3, v5, v3, vcc_lo
	v_cmp_class_f32_e64 vcc_lo, v1, 0x1f8
	v_xor3_b32 v2, v2, v3, v1
	v_cndmask_b32_e32 v1, 0x7fc00000, v2, vcc_lo
	v_bfe_u32 v2, v1, 16, 1
	v_cmp_o_f32_e32 vcc_lo, v1, v1
	v_add3_u32 v1, v1, v2, 0x7fff
	v_mov_b32_e32 v2, 0x7fc0
	v_cndmask_b32_sdwa v1, v2, v1, vcc_lo dst_sel:DWORD dst_unused:UNUSED_PAD src0_sel:DWORD src1_sel:WORD_1
	global_store_short v0, v1, s[4:5]
	s_or_b32 exec_lo, exec_lo, s30
	s_mov_b32 s30, exec_lo
	v_cmpx_gt_i32_e64 s27, v7
	s_cbranch_execnz .LBB33_256
.LBB33_275:
	s_or_b32 exec_lo, exec_lo, s30
	s_mov_b32 s20, exec_lo
	v_cmpx_gt_i32_e64 s27, v7
	s_cbranch_execnz .LBB33_290
.LBB33_276:
	s_or_b32 exec_lo, exec_lo, s20
                                        ; implicit-def: $vgpr19
                                        ; implicit-def: $vgpr7
	s_andn2_saveexec_b32 s0, s25
	s_cbranch_execnz .LBB33_8
.LBB33_277:
	s_endpgm
.LBB33_278:
	v_mov_b32_e32 v0, 0
	v_mov_b32_e32 v2, 0
	;; [unrolled: 1-line block ×3, first 2 shown]
	s_mov_b32 s31, 0
.LBB33_279:
	s_and_b32 s33, s33, 3
	s_cmp_eq_u32 s33, 0
	s_cbranch_scc1 .LBB33_282
; %bb.280:
	s_lshl_b32 s0, s31, 3
	s_mul_i32 s20, s31, 12
	s_add_u32 s0, s2, s0
	s_addc_u32 s1, s3, 0
	s_add_u32 s0, s0, 0xc4
	s_addc_u32 s1, s1, 0
	;; [unrolled: 2-line block ×3, first 2 shown]
	.p2align	6
.LBB33_281:                             ; =>This Inner Loop Header: Depth=1
	s_clause 0x1
	s_load_dwordx2 s[34:35], s[20:21], 0x4
	s_load_dword s31, s[20:21], 0xc
	s_load_dwordx2 s[36:37], s[0:1], 0x0
	s_add_u32 s20, s20, 12
	s_addc_u32 s21, s21, 0
	s_add_u32 s0, s0, 8
	s_addc_u32 s1, s1, 0
	s_add_i32 s33, s33, -1
	s_cmp_lg_u32 s33, 0
	s_waitcnt lgkmcnt(0)
	v_mul_hi_u32 v3, s35, v1
	v_add_nc_u32_e32 v3, v1, v3
	v_lshrrev_b32_e32 v4, s31, v3
	v_mul_lo_u32 v3, v4, s34
	v_sub_nc_u32_e32 v3, v1, v3
	v_mad_u64_u32 v[0:1], null, v3, s36, v[0:1]
	v_mad_u64_u32 v[2:3], null, v3, s37, v[2:3]
	v_mov_b32_e32 v1, v4
	s_cbranch_scc1 .LBB33_281
.LBB33_282:
	s_cbranch_execnz .LBB33_285
.LBB33_283:
	s_waitcnt lgkmcnt(0)
	v_mul_hi_u32 v0, s13, v7
	s_andn2_b32 vcc_lo, exec_lo, s26
	v_add_nc_u32_e32 v0, v7, v0
	v_lshrrev_b32_e32 v1, s14, v0
	v_mul_lo_u32 v0, v1, s12
	v_sub_nc_u32_e32 v2, v7, v0
	v_mul_lo_u32 v0, v2, s8
	v_mul_lo_u32 v2, v2, s9
	s_cbranch_vccnz .LBB33_285
; %bb.284:
	v_mul_hi_u32 v3, s16, v1
	v_add_nc_u32_e32 v3, v1, v3
	v_lshrrev_b32_e32 v3, s17, v3
	v_mul_lo_u32 v3, v3, s15
	v_sub_nc_u32_e32 v3, v1, v3
	v_mad_u64_u32 v[0:1], null, v3, s10, v[0:1]
	v_mad_u64_u32 v[2:3], null, v3, s11, v[2:3]
.LBB33_285:
	s_waitcnt lgkmcnt(0)
	global_load_ushort v1, v2, s[6:7]
                                        ; implicit-def: $vgpr4
                                        ; implicit-def: $vgpr3
	s_mov_b32 s1, exec_lo
	s_waitcnt vmcnt(0)
	v_lshlrev_b32_e32 v1, 16, v1
	v_and_b32_e32 v2, 0x7fffffff, v1
	v_cmpx_ngt_f32_e64 0x48000000, |v1|
	s_xor_b32 s20, exec_lo, s1
	s_cbranch_execz .LBB33_287
; %bb.286:
	s_mov_b32 s0, 0x7fffff
	v_mov_b32_e32 v5, 0
	v_and_or_b32 v6, v2, s0, 0x800000
	v_lshrrev_b32_e32 v12, 23, v2
	v_mad_u64_u32 v[3:4], null, 0xfe5163ab, v6, 0
	v_add_nc_u32_e32 v13, 0xffffff88, v12
	v_cmp_lt_u32_e32 vcc_lo, 63, v13
	v_mad_u64_u32 v[8:9], null, 0x3c439041, v6, v[4:5]
	v_cndmask_b32_e64 v14, 0, 0xffffffc0, vcc_lo
	v_mov_b32_e32 v4, v9
	v_add_nc_u32_e32 v14, v14, v13
	v_mad_u64_u32 v[9:10], null, 0xdb629599, v6, v[4:5]
	v_cmp_lt_u32_e64 s0, 31, v14
	v_cndmask_b32_e64 v15, 0, 0xffffffe0, s0
	v_mov_b32_e32 v4, v10
	v_cndmask_b32_e32 v3, v9, v3, vcc_lo
	v_mad_u64_u32 v[10:11], null, 0xf534ddc0, v6, v[4:5]
	v_mov_b32_e32 v4, v11
	v_cndmask_b32_e32 v8, v10, v8, vcc_lo
	v_mad_u64_u32 v[11:12], null, 0xfc2757d1, v6, v[4:5]
	v_cndmask_b32_e64 v3, v8, v3, s0
	v_mov_b32_e32 v4, v12
	v_mad_u64_u32 v[12:13], null, 0x4e441529, v6, v[4:5]
	v_mov_b32_e32 v4, v13
	v_add_nc_u32_e32 v13, v15, v14
	v_cndmask_b32_e32 v14, v12, v10, vcc_lo
	v_mad_u64_u32 v[4:5], null, 0xa2f9836e, v6, v[4:5]
	v_cmp_lt_u32_e64 s1, 31, v13
	v_cndmask_b32_e64 v6, 0, 0xffffffe0, s1
	v_cndmask_b32_e32 v4, v4, v11, vcc_lo
	v_cndmask_b32_e32 v5, v5, v12, vcc_lo
	;; [unrolled: 1-line block ×3, first 2 shown]
	v_add_nc_u32_e32 v6, v6, v13
	v_cndmask_b32_e64 v10, v4, v14, s0
	v_cndmask_b32_e64 v4, v5, v4, s0
	;; [unrolled: 1-line block ×4, first 2 shown]
	v_sub_nc_u32_e32 v12, 32, v6
	v_cmp_eq_u32_e32 vcc_lo, 0, v6
	v_cndmask_b32_e64 v4, v4, v10, s1
	v_cndmask_b32_e64 v10, v10, v5, s1
	;; [unrolled: 1-line block ×4, first 2 shown]
	v_alignbit_b32 v13, v4, v10, v12
	v_alignbit_b32 v9, v10, v5, v12
	v_alignbit_b32 v11, v5, v3, v12
	v_cndmask_b32_e32 v4, v13, v4, vcc_lo
	v_cndmask_b32_e32 v6, v9, v10, vcc_lo
	;; [unrolled: 1-line block ×3, first 2 shown]
	v_bfe_u32 v8, v4, 29, 1
	v_alignbit_b32 v9, v4, v6, 30
	v_alignbit_b32 v6, v6, v5, 30
	;; [unrolled: 1-line block ×3, first 2 shown]
	v_sub_nc_u32_e32 v10, 0, v8
	v_xor_b32_e32 v9, v9, v10
	v_xor_b32_e32 v5, v6, v10
	;; [unrolled: 1-line block ×3, first 2 shown]
	v_lshrrev_b32_e32 v10, 29, v4
	v_lshrrev_b32_e32 v4, 30, v4
	v_ffbh_u32_e32 v11, v9
	v_add_nc_u32_e32 v4, v8, v4
	v_min_u32_e32 v11, 32, v11
	v_sub_nc_u32_e32 v6, 31, v11
	v_lshlrev_b32_e32 v12, 23, v11
	v_alignbit_b32 v9, v9, v5, v6
	v_alignbit_b32 v3, v5, v3, v6
	v_lshlrev_b32_e32 v5, 31, v10
	v_alignbit_b32 v6, v9, v3, 9
	v_or_b32_e32 v10, 0.5, v5
	v_lshrrev_b32_e32 v9, 9, v9
	v_or_b32_e32 v5, 0x33000000, v5
	v_ffbh_u32_e32 v13, v6
	v_sub_nc_u32_e32 v10, v10, v12
	v_min_u32_e32 v12, 32, v13
	v_or_b32_e32 v9, v9, v10
	v_not_b32_e32 v10, v12
	v_mul_f32_e32 v13, 0x3fc90fda, v9
	v_add_lshl_u32 v11, v12, v11, 23
	v_alignbit_b32 v3, v6, v3, v10
	v_fma_f32 v6, 0x3fc90fda, v9, -v13
	v_sub_nc_u32_e32 v5, v5, v11
	v_lshrrev_b32_e32 v3, 9, v3
	v_fmamk_f32 v6, v9, 0x33a22168, v6
	v_or_b32_e32 v3, v5, v3
	v_fmac_f32_e32 v6, 0x3fc90fda, v3
	v_add_f32_e32 v3, v13, v6
.LBB33_287:
	s_andn2_saveexec_b32 s0, s20
; %bb.288:
	v_mul_f32_e64 v3, 0x3f22f983, |v1|
	v_rndne_f32_e32 v4, v3
	v_fma_f32 v3, 0xbfc90fda, v4, |v1|
	v_fmamk_f32 v3, v4, 0xb3a22168, v3
	v_fmamk_f32 v3, v4, 0xa7c234c4, v3
	v_cvt_i32_f32_e32 v4, v4
; %bb.289:
	s_or_b32 exec_lo, exec_lo, s0
	v_mul_f32_e32 v5, v3, v3
	s_mov_b32 s0, 0xb94c1982
	s_mov_b32 s1, 0x37d75334
	v_lshlrev_b32_e32 v9, 30, v4
	v_and_b32_e32 v4, 1, v4
	v_fmaak_f32 v6, s0, v5, 0x3c0881c4
	v_fmaak_f32 v8, s1, v5, 0xbab64f3b
	v_add_nc_u32_e32 v7, 0x80, v7
	v_and_b32_e32 v9, 0x80000000, v9
	v_cmp_eq_u32_e32 vcc_lo, 0, v4
	v_fmaak_f32 v6, v5, v6, 0xbe2aaa9d
	v_fmaak_f32 v8, v5, v8, 0x3d2aabf7
	v_xor_b32_e32 v2, v2, v9
	v_mul_f32_e32 v6, v5, v6
	v_fmaak_f32 v8, v5, v8, 0xbf000004
	v_fmac_f32_e32 v3, v3, v6
	v_fma_f32 v5, v5, v8, 1.0
	v_cndmask_b32_e32 v3, v5, v3, vcc_lo
	v_cmp_class_f32_e64 vcc_lo, v1, 0x1f8
	v_xor3_b32 v2, v2, v3, v1
	v_cndmask_b32_e32 v1, 0x7fc00000, v2, vcc_lo
	v_bfe_u32 v2, v1, 16, 1
	v_cmp_o_f32_e32 vcc_lo, v1, v1
	v_add3_u32 v1, v1, v2, 0x7fff
	v_mov_b32_e32 v2, 0x7fc0
	v_cndmask_b32_sdwa v1, v2, v1, vcc_lo dst_sel:DWORD dst_unused:UNUSED_PAD src0_sel:DWORD src1_sel:WORD_1
	global_store_short v0, v1, s[4:5]
	s_or_b32 exec_lo, exec_lo, s30
	s_mov_b32 s20, exec_lo
	v_cmpx_gt_i32_e64 s27, v7
	s_cbranch_execz .LBB33_276
.LBB33_290:
	s_andn2_b32 vcc_lo, exec_lo, s24
	s_cbranch_vccnz .LBB33_295
; %bb.291:
	s_andn2_b32 vcc_lo, exec_lo, s29
	s_cbranch_vccnz .LBB33_296
; %bb.292:
	s_add_i32 s28, s28, 1
	s_cmp_eq_u32 s23, 2
	s_cbranch_scc1 .LBB33_297
; %bb.293:
	v_mov_b32_e32 v2, 0
	v_mov_b32_e32 v0, 0
	v_mov_b32_e32 v1, v7
	s_and_b32 s21, s28, 28
	s_mov_b32 s27, 0
	s_mov_b64 s[0:1], s[2:3]
.LBB33_294:                             ; =>This Inner Loop Header: Depth=1
	s_clause 0x1
	s_load_dwordx8 s[36:43], s[0:1], 0x4
	s_load_dwordx4 s[52:55], s[0:1], 0x24
	s_load_dwordx8 s[44:51], s[18:19], 0x0
	s_add_u32 s0, s0, 48
	s_addc_u32 s1, s1, 0
	s_add_i32 s27, s27, 4
	s_add_u32 s18, s18, 32
	s_addc_u32 s19, s19, 0
	s_cmp_eq_u32 s21, s27
	s_waitcnt lgkmcnt(0)
	v_mul_hi_u32 v3, s37, v1
	v_add_nc_u32_e32 v3, v1, v3
	v_lshrrev_b32_e32 v3, s38, v3
	v_mul_hi_u32 v4, s40, v3
	v_mul_lo_u32 v6, v3, s36
	v_add_nc_u32_e32 v4, v3, v4
	v_sub_nc_u32_e32 v1, v1, v6
	v_lshrrev_b32_e32 v4, s41, v4
	v_mul_lo_u32 v6, v1, s44
	v_mul_lo_u32 v9, v1, s45
	v_mul_hi_u32 v5, s43, v4
	v_add_nc_u32_e32 v5, v4, v5
	v_lshrrev_b32_e32 v5, s52, v5
	v_mul_hi_u32 v8, s54, v5
	v_mul_lo_u32 v10, v5, s42
	v_add_nc_u32_e32 v1, v5, v8
	v_mul_lo_u32 v8, v4, s39
	v_sub_nc_u32_e32 v4, v4, v10
	v_lshrrev_b32_e32 v1, s55, v1
	v_mul_lo_u32 v10, v4, s48
	v_mul_lo_u32 v4, v4, s49
	v_sub_nc_u32_e32 v3, v3, v8
	v_mul_lo_u32 v11, v1, s53
	v_mul_lo_u32 v8, v3, s46
	;; [unrolled: 1-line block ×3, first 2 shown]
	v_sub_nc_u32_e32 v5, v5, v11
	v_add3_u32 v0, v6, v0, v8
	v_mul_lo_u32 v11, v5, s50
	v_mul_lo_u32 v5, v5, s51
	v_add3_u32 v2, v9, v2, v3
	v_add3_u32 v0, v10, v0, v11
	;; [unrolled: 1-line block ×3, first 2 shown]
	s_cbranch_scc0 .LBB33_294
	s_branch .LBB33_298
.LBB33_295:
                                        ; implicit-def: $vgpr0
                                        ; implicit-def: $vgpr2
	s_branch .LBB33_302
.LBB33_296:
	v_mov_b32_e32 v0, 0
	v_mov_b32_e32 v2, 0
	s_branch .LBB33_301
.LBB33_297:
	v_mov_b32_e32 v0, 0
	v_mov_b32_e32 v2, 0
	v_mov_b32_e32 v1, v7
	s_mov_b32 s21, 0
.LBB33_298:
	s_and_b32 s27, s28, 3
	s_cmp_eq_u32 s27, 0
	s_cbranch_scc1 .LBB33_301
; %bb.299:
	s_lshl_b32 s0, s21, 3
	s_mul_i32 s18, s21, 12
	s_add_u32 s0, s2, s0
	s_addc_u32 s1, s3, 0
	s_add_u32 s0, s0, 0xc4
	s_addc_u32 s1, s1, 0
	;; [unrolled: 2-line block ×3, first 2 shown]
	.p2align	6
.LBB33_300:                             ; =>This Inner Loop Header: Depth=1
	s_clause 0x1
	s_load_dwordx2 s[28:29], s[18:19], 0x4
	s_load_dword s21, s[18:19], 0xc
	s_load_dwordx2 s[30:31], s[0:1], 0x0
	s_add_u32 s18, s18, 12
	s_addc_u32 s19, s19, 0
	s_add_u32 s0, s0, 8
	s_addc_u32 s1, s1, 0
	s_add_i32 s27, s27, -1
	s_cmp_lg_u32 s27, 0
	s_waitcnt lgkmcnt(0)
	v_mul_hi_u32 v3, s29, v1
	v_add_nc_u32_e32 v3, v1, v3
	v_lshrrev_b32_e32 v4, s21, v3
	v_mul_lo_u32 v3, v4, s28
	v_sub_nc_u32_e32 v3, v1, v3
	v_mad_u64_u32 v[0:1], null, v3, s30, v[0:1]
	v_mad_u64_u32 v[2:3], null, v3, s31, v[2:3]
	v_mov_b32_e32 v1, v4
	s_cbranch_scc1 .LBB33_300
.LBB33_301:
	s_cbranch_execnz .LBB33_304
.LBB33_302:
	s_waitcnt lgkmcnt(0)
	v_mul_hi_u32 v0, s13, v7
	s_andn2_b32 vcc_lo, exec_lo, s26
	v_add_nc_u32_e32 v0, v7, v0
	v_lshrrev_b32_e32 v1, s14, v0
	v_mul_lo_u32 v0, v1, s12
	v_sub_nc_u32_e32 v2, v7, v0
	v_mul_lo_u32 v0, v2, s8
	v_mul_lo_u32 v2, v2, s9
	s_cbranch_vccnz .LBB33_304
; %bb.303:
	v_mul_hi_u32 v3, s16, v1
	v_add_nc_u32_e32 v3, v1, v3
	v_lshrrev_b32_e32 v3, s17, v3
	v_mul_lo_u32 v3, v3, s15
	v_sub_nc_u32_e32 v3, v1, v3
	v_mad_u64_u32 v[0:1], null, v3, s10, v[0:1]
	v_mad_u64_u32 v[2:3], null, v3, s11, v[2:3]
.LBB33_304:
	s_waitcnt lgkmcnt(0)
	global_load_ushort v1, v2, s[6:7]
                                        ; implicit-def: $vgpr4
                                        ; implicit-def: $vgpr3
	s_mov_b32 s1, exec_lo
	s_waitcnt vmcnt(0)
	v_lshlrev_b32_e32 v1, 16, v1
	v_and_b32_e32 v2, 0x7fffffff, v1
	v_cmpx_ngt_f32_e64 0x48000000, |v1|
	s_xor_b32 s6, exec_lo, s1
	s_cbranch_execz .LBB33_306
; %bb.305:
	s_mov_b32 s0, 0x7fffff
	v_mov_b32_e32 v5, 0
	v_and_or_b32 v12, v2, s0, 0x800000
	v_lshrrev_b32_e32 v10, 23, v2
	v_mad_u64_u32 v[3:4], null, 0xfe5163ab, v12, 0
	v_add_nc_u32_e32 v11, 0xffffff88, v10
	v_cmp_lt_u32_e32 vcc_lo, 63, v11
	v_mad_u64_u32 v[6:7], null, 0x3c439041, v12, v[4:5]
	v_cndmask_b32_e64 v13, 0, 0xffffffc0, vcc_lo
	v_mov_b32_e32 v4, v7
	v_add_nc_u32_e32 v13, v13, v11
	v_mad_u64_u32 v[7:8], null, 0xdb629599, v12, v[4:5]
	v_cmp_lt_u32_e64 s0, 31, v13
	v_cndmask_b32_e64 v14, 0, 0xffffffe0, s0
	v_mov_b32_e32 v4, v8
	v_cndmask_b32_e32 v3, v7, v3, vcc_lo
	v_mad_u64_u32 v[8:9], null, 0xf534ddc0, v12, v[4:5]
	v_mov_b32_e32 v4, v9
	v_cndmask_b32_e32 v6, v8, v6, vcc_lo
	v_mad_u64_u32 v[9:10], null, 0xfc2757d1, v12, v[4:5]
	v_cndmask_b32_e64 v3, v6, v3, s0
	v_mov_b32_e32 v4, v10
	v_mad_u64_u32 v[10:11], null, 0x4e441529, v12, v[4:5]
	v_mov_b32_e32 v4, v11
	v_add_nc_u32_e32 v11, v14, v13
	v_cndmask_b32_e32 v13, v10, v8, vcc_lo
	v_mad_u64_u32 v[4:5], null, 0xa2f9836e, v12, v[4:5]
	v_cmp_lt_u32_e64 s1, 31, v11
	v_cndmask_b32_e64 v12, 0, 0xffffffe0, s1
	v_cndmask_b32_e32 v4, v4, v9, vcc_lo
	v_cndmask_b32_e32 v5, v5, v10, vcc_lo
	;; [unrolled: 1-line block ×3, first 2 shown]
	v_add_nc_u32_e32 v10, v12, v11
	v_cndmask_b32_e64 v8, v4, v13, s0
	v_cndmask_b32_e64 v4, v5, v4, s0
	;; [unrolled: 1-line block ×4, first 2 shown]
	v_sub_nc_u32_e32 v11, 32, v10
	v_cmp_eq_u32_e32 vcc_lo, 0, v10
	v_cndmask_b32_e64 v4, v4, v8, s1
	v_cndmask_b32_e64 v8, v8, v5, s1
	;; [unrolled: 1-line block ×4, first 2 shown]
	v_alignbit_b32 v12, v4, v8, v11
	v_alignbit_b32 v7, v8, v5, v11
	;; [unrolled: 1-line block ×3, first 2 shown]
	v_cndmask_b32_e32 v4, v12, v4, vcc_lo
	v_cndmask_b32_e32 v6, v7, v8, vcc_lo
	;; [unrolled: 1-line block ×3, first 2 shown]
	v_bfe_u32 v7, v4, 29, 1
	v_alignbit_b32 v8, v4, v6, 30
	v_alignbit_b32 v6, v6, v5, 30
	;; [unrolled: 1-line block ×3, first 2 shown]
	v_sub_nc_u32_e32 v9, 0, v7
	v_xor_b32_e32 v8, v8, v9
	v_xor_b32_e32 v5, v6, v9
	;; [unrolled: 1-line block ×3, first 2 shown]
	v_lshrrev_b32_e32 v9, 29, v4
	v_lshrrev_b32_e32 v4, 30, v4
	v_ffbh_u32_e32 v10, v8
	v_add_nc_u32_e32 v4, v7, v4
	v_min_u32_e32 v10, 32, v10
	v_sub_nc_u32_e32 v6, 31, v10
	v_lshlrev_b32_e32 v11, 23, v10
	v_alignbit_b32 v8, v8, v5, v6
	v_alignbit_b32 v3, v5, v3, v6
	v_lshlrev_b32_e32 v5, 31, v9
	v_alignbit_b32 v6, v8, v3, 9
	v_or_b32_e32 v9, 0.5, v5
	v_lshrrev_b32_e32 v8, 9, v8
	v_or_b32_e32 v5, 0x33000000, v5
	v_ffbh_u32_e32 v12, v6
	v_sub_nc_u32_e32 v9, v9, v11
	v_min_u32_e32 v11, 32, v12
	v_or_b32_e32 v8, v8, v9
	v_not_b32_e32 v9, v11
	v_mul_f32_e32 v12, 0x3fc90fda, v8
	v_add_lshl_u32 v10, v11, v10, 23
	v_alignbit_b32 v3, v6, v3, v9
	v_fma_f32 v6, 0x3fc90fda, v8, -v12
	v_sub_nc_u32_e32 v5, v5, v10
	v_lshrrev_b32_e32 v3, 9, v3
	v_fmamk_f32 v6, v8, 0x33a22168, v6
	v_or_b32_e32 v3, v5, v3
	v_fmac_f32_e32 v6, 0x3fc90fda, v3
	v_add_f32_e32 v3, v12, v6
.LBB33_306:
	s_andn2_saveexec_b32 s0, s6
; %bb.307:
	v_mul_f32_e64 v3, 0x3f22f983, |v1|
	v_rndne_f32_e32 v4, v3
	v_fma_f32 v3, 0xbfc90fda, v4, |v1|
	v_fmamk_f32 v3, v4, 0xb3a22168, v3
	v_fmamk_f32 v3, v4, 0xa7c234c4, v3
	v_cvt_i32_f32_e32 v4, v4
; %bb.308:
	s_or_b32 exec_lo, exec_lo, s0
	v_mul_f32_e32 v5, v3, v3
	s_mov_b32 s0, 0xb94c1982
	s_mov_b32 s1, 0x37d75334
	v_lshlrev_b32_e32 v8, 30, v4
	v_and_b32_e32 v4, 1, v4
	v_fmaak_f32 v6, s0, v5, 0x3c0881c4
	v_fmaak_f32 v7, s1, v5, 0xbab64f3b
	v_and_b32_e32 v8, 0x80000000, v8
	v_cmp_eq_u32_e32 vcc_lo, 0, v4
	v_fmaak_f32 v6, v5, v6, 0xbe2aaa9d
	v_fmaak_f32 v7, v5, v7, 0x3d2aabf7
	v_xor_b32_e32 v2, v2, v8
	v_mul_f32_e32 v6, v5, v6
	v_fmaak_f32 v7, v5, v7, 0xbf000004
	v_fmac_f32_e32 v3, v3, v6
	v_fma_f32 v5, v5, v7, 1.0
	v_cndmask_b32_e32 v3, v5, v3, vcc_lo
	v_cmp_class_f32_e64 vcc_lo, v1, 0x1f8
	v_xor3_b32 v2, v2, v3, v1
	v_cndmask_b32_e32 v1, 0x7fc00000, v2, vcc_lo
	v_bfe_u32 v2, v1, 16, 1
	v_cmp_o_f32_e32 vcc_lo, v1, v1
	v_add3_u32 v1, v1, v2, 0x7fff
	v_mov_b32_e32 v2, 0x7fc0
	v_cndmask_b32_sdwa v1, v2, v1, vcc_lo dst_sel:DWORD dst_unused:UNUSED_PAD src0_sel:DWORD src1_sel:WORD_1
	global_store_short v0, v1, s[4:5]
	s_or_b32 exec_lo, exec_lo, s20
                                        ; implicit-def: $vgpr19
                                        ; implicit-def: $vgpr7
	s_andn2_saveexec_b32 s0, s25
	s_cbranch_execz .LBB33_277
	s_branch .LBB33_8
	.section	.rodata,"a",@progbits
	.p2align	6, 0x0
	.amdhsa_kernel _ZN2at6native32elementwise_kernel_manual_unrollILi128ELi8EZNS0_22gpu_kernel_impl_nocastIZZZNS0_15sin_kernel_cudaERNS_18TensorIteratorBaseEENKUlvE0_clEvENKUlvE2_clEvEUlN3c108BFloat16EE_EEvS4_RKT_EUlibE_EEviT1_
		.amdhsa_group_segment_fixed_size 0
		.amdhsa_private_segment_fixed_size 0
		.amdhsa_kernarg_size 360
		.amdhsa_user_sgpr_count 6
		.amdhsa_user_sgpr_private_segment_buffer 1
		.amdhsa_user_sgpr_dispatch_ptr 0
		.amdhsa_user_sgpr_queue_ptr 0
		.amdhsa_user_sgpr_kernarg_segment_ptr 1
		.amdhsa_user_sgpr_dispatch_id 0
		.amdhsa_user_sgpr_flat_scratch_init 0
		.amdhsa_user_sgpr_private_segment_size 0
		.amdhsa_wavefront_size32 1
		.amdhsa_uses_dynamic_stack 0
		.amdhsa_system_sgpr_private_segment_wavefront_offset 0
		.amdhsa_system_sgpr_workgroup_id_x 1
		.amdhsa_system_sgpr_workgroup_id_y 0
		.amdhsa_system_sgpr_workgroup_id_z 0
		.amdhsa_system_sgpr_workgroup_info 0
		.amdhsa_system_vgpr_workitem_id 0
		.amdhsa_next_free_vgpr 50
		.amdhsa_next_free_sgpr 56
		.amdhsa_reserve_vcc 1
		.amdhsa_reserve_flat_scratch 0
		.amdhsa_float_round_mode_32 0
		.amdhsa_float_round_mode_16_64 0
		.amdhsa_float_denorm_mode_32 3
		.amdhsa_float_denorm_mode_16_64 3
		.amdhsa_dx10_clamp 1
		.amdhsa_ieee_mode 1
		.amdhsa_fp16_overflow 0
		.amdhsa_workgroup_processor_mode 1
		.amdhsa_memory_ordered 1
		.amdhsa_forward_progress 1
		.amdhsa_shared_vgpr_count 0
		.amdhsa_exception_fp_ieee_invalid_op 0
		.amdhsa_exception_fp_denorm_src 0
		.amdhsa_exception_fp_ieee_div_zero 0
		.amdhsa_exception_fp_ieee_overflow 0
		.amdhsa_exception_fp_ieee_underflow 0
		.amdhsa_exception_fp_ieee_inexact 0
		.amdhsa_exception_int_div_zero 0
	.end_amdhsa_kernel
	.section	.text._ZN2at6native32elementwise_kernel_manual_unrollILi128ELi8EZNS0_22gpu_kernel_impl_nocastIZZZNS0_15sin_kernel_cudaERNS_18TensorIteratorBaseEENKUlvE0_clEvENKUlvE2_clEvEUlN3c108BFloat16EE_EEvS4_RKT_EUlibE_EEviT1_,"axG",@progbits,_ZN2at6native32elementwise_kernel_manual_unrollILi128ELi8EZNS0_22gpu_kernel_impl_nocastIZZZNS0_15sin_kernel_cudaERNS_18TensorIteratorBaseEENKUlvE0_clEvENKUlvE2_clEvEUlN3c108BFloat16EE_EEvS4_RKT_EUlibE_EEviT1_,comdat
.Lfunc_end33:
	.size	_ZN2at6native32elementwise_kernel_manual_unrollILi128ELi8EZNS0_22gpu_kernel_impl_nocastIZZZNS0_15sin_kernel_cudaERNS_18TensorIteratorBaseEENKUlvE0_clEvENKUlvE2_clEvEUlN3c108BFloat16EE_EEvS4_RKT_EUlibE_EEviT1_, .Lfunc_end33-_ZN2at6native32elementwise_kernel_manual_unrollILi128ELi8EZNS0_22gpu_kernel_impl_nocastIZZZNS0_15sin_kernel_cudaERNS_18TensorIteratorBaseEENKUlvE0_clEvENKUlvE2_clEvEUlN3c108BFloat16EE_EEvS4_RKT_EUlibE_EEviT1_
                                        ; -- End function
	.set _ZN2at6native32elementwise_kernel_manual_unrollILi128ELi8EZNS0_22gpu_kernel_impl_nocastIZZZNS0_15sin_kernel_cudaERNS_18TensorIteratorBaseEENKUlvE0_clEvENKUlvE2_clEvEUlN3c108BFloat16EE_EEvS4_RKT_EUlibE_EEviT1_.num_vgpr, 50
	.set _ZN2at6native32elementwise_kernel_manual_unrollILi128ELi8EZNS0_22gpu_kernel_impl_nocastIZZZNS0_15sin_kernel_cudaERNS_18TensorIteratorBaseEENKUlvE0_clEvENKUlvE2_clEvEUlN3c108BFloat16EE_EEvS4_RKT_EUlibE_EEviT1_.num_agpr, 0
	.set _ZN2at6native32elementwise_kernel_manual_unrollILi128ELi8EZNS0_22gpu_kernel_impl_nocastIZZZNS0_15sin_kernel_cudaERNS_18TensorIteratorBaseEENKUlvE0_clEvENKUlvE2_clEvEUlN3c108BFloat16EE_EEvS4_RKT_EUlibE_EEviT1_.numbered_sgpr, 56
	.set _ZN2at6native32elementwise_kernel_manual_unrollILi128ELi8EZNS0_22gpu_kernel_impl_nocastIZZZNS0_15sin_kernel_cudaERNS_18TensorIteratorBaseEENKUlvE0_clEvENKUlvE2_clEvEUlN3c108BFloat16EE_EEvS4_RKT_EUlibE_EEviT1_.num_named_barrier, 0
	.set _ZN2at6native32elementwise_kernel_manual_unrollILi128ELi8EZNS0_22gpu_kernel_impl_nocastIZZZNS0_15sin_kernel_cudaERNS_18TensorIteratorBaseEENKUlvE0_clEvENKUlvE2_clEvEUlN3c108BFloat16EE_EEvS4_RKT_EUlibE_EEviT1_.private_seg_size, 0
	.set _ZN2at6native32elementwise_kernel_manual_unrollILi128ELi8EZNS0_22gpu_kernel_impl_nocastIZZZNS0_15sin_kernel_cudaERNS_18TensorIteratorBaseEENKUlvE0_clEvENKUlvE2_clEvEUlN3c108BFloat16EE_EEvS4_RKT_EUlibE_EEviT1_.uses_vcc, 1
	.set _ZN2at6native32elementwise_kernel_manual_unrollILi128ELi8EZNS0_22gpu_kernel_impl_nocastIZZZNS0_15sin_kernel_cudaERNS_18TensorIteratorBaseEENKUlvE0_clEvENKUlvE2_clEvEUlN3c108BFloat16EE_EEvS4_RKT_EUlibE_EEviT1_.uses_flat_scratch, 0
	.set _ZN2at6native32elementwise_kernel_manual_unrollILi128ELi8EZNS0_22gpu_kernel_impl_nocastIZZZNS0_15sin_kernel_cudaERNS_18TensorIteratorBaseEENKUlvE0_clEvENKUlvE2_clEvEUlN3c108BFloat16EE_EEvS4_RKT_EUlibE_EEviT1_.has_dyn_sized_stack, 0
	.set _ZN2at6native32elementwise_kernel_manual_unrollILi128ELi8EZNS0_22gpu_kernel_impl_nocastIZZZNS0_15sin_kernel_cudaERNS_18TensorIteratorBaseEENKUlvE0_clEvENKUlvE2_clEvEUlN3c108BFloat16EE_EEvS4_RKT_EUlibE_EEviT1_.has_recursion, 0
	.set _ZN2at6native32elementwise_kernel_manual_unrollILi128ELi8EZNS0_22gpu_kernel_impl_nocastIZZZNS0_15sin_kernel_cudaERNS_18TensorIteratorBaseEENKUlvE0_clEvENKUlvE2_clEvEUlN3c108BFloat16EE_EEvS4_RKT_EUlibE_EEviT1_.has_indirect_call, 0
	.section	.AMDGPU.csdata,"",@progbits
; Kernel info:
; codeLenInByte = 25136
; TotalNumSgprs: 58
; NumVgprs: 50
; ScratchSize: 0
; MemoryBound: 0
; FloatMode: 240
; IeeeMode: 1
; LDSByteSize: 0 bytes/workgroup (compile time only)
; SGPRBlocks: 0
; VGPRBlocks: 6
; NumSGPRsForWavesPerEU: 58
; NumVGPRsForWavesPerEU: 50
; Occupancy: 16
; WaveLimiterHint : 1
; COMPUTE_PGM_RSRC2:SCRATCH_EN: 0
; COMPUTE_PGM_RSRC2:USER_SGPR: 6
; COMPUTE_PGM_RSRC2:TRAP_HANDLER: 0
; COMPUTE_PGM_RSRC2:TGID_X_EN: 1
; COMPUTE_PGM_RSRC2:TGID_Y_EN: 0
; COMPUTE_PGM_RSRC2:TGID_Z_EN: 0
; COMPUTE_PGM_RSRC2:TIDIG_COMP_CNT: 0
	.section	.text._ZN2at6native32elementwise_kernel_manual_unrollILi128ELi4EZNS0_15gpu_kernel_implIZZZNS0_15sin_kernel_cudaERNS_18TensorIteratorBaseEENKUlvE0_clEvENKUlvE2_clEvEUlN3c108BFloat16EE_EEvS4_RKT_EUlibE_EEviT1_,"axG",@progbits,_ZN2at6native32elementwise_kernel_manual_unrollILi128ELi4EZNS0_15gpu_kernel_implIZZZNS0_15sin_kernel_cudaERNS_18TensorIteratorBaseEENKUlvE0_clEvENKUlvE2_clEvEUlN3c108BFloat16EE_EEvS4_RKT_EUlibE_EEviT1_,comdat
	.globl	_ZN2at6native32elementwise_kernel_manual_unrollILi128ELi4EZNS0_15gpu_kernel_implIZZZNS0_15sin_kernel_cudaERNS_18TensorIteratorBaseEENKUlvE0_clEvENKUlvE2_clEvEUlN3c108BFloat16EE_EEvS4_RKT_EUlibE_EEviT1_ ; -- Begin function _ZN2at6native32elementwise_kernel_manual_unrollILi128ELi4EZNS0_15gpu_kernel_implIZZZNS0_15sin_kernel_cudaERNS_18TensorIteratorBaseEENKUlvE0_clEvENKUlvE2_clEvEUlN3c108BFloat16EE_EEvS4_RKT_EUlibE_EEviT1_
	.p2align	8
	.type	_ZN2at6native32elementwise_kernel_manual_unrollILi128ELi4EZNS0_15gpu_kernel_implIZZZNS0_15sin_kernel_cudaERNS_18TensorIteratorBaseEENKUlvE0_clEvENKUlvE2_clEvEUlN3c108BFloat16EE_EEvS4_RKT_EUlibE_EEviT1_,@function
_ZN2at6native32elementwise_kernel_manual_unrollILi128ELi4EZNS0_15gpu_kernel_implIZZZNS0_15sin_kernel_cudaERNS_18TensorIteratorBaseEENKUlvE0_clEvENKUlvE2_clEvEUlN3c108BFloat16EE_EEvS4_RKT_EUlibE_EEviT1_: ; @_ZN2at6native32elementwise_kernel_manual_unrollILi128ELi4EZNS0_15gpu_kernel_implIZZZNS0_15sin_kernel_cudaERNS_18TensorIteratorBaseEENKUlvE0_clEvENKUlvE2_clEvEUlN3c108BFloat16EE_EEvS4_RKT_EUlibE_EEviT1_
; %bb.0:
	v_mov_b32_e32 v1, 0
	s_clause 0x2
	s_load_dword s13, s[4:5], 0x0
	s_load_dwordx2 s[2:3], s[4:5], 0x18
	s_load_dwordx4 s[8:11], s[4:5], 0x8
	v_lshl_or_b32 v2, s6, 9, v0
	s_mov_b32 s12, 0
	global_load_ushort v1, v1, s[4:5] offset:33
	s_mov_b32 s5, 0
	v_or_b32_e32 v0, 0x180, v2
	s_waitcnt vmcnt(0)
	v_readfirstlane_b32 s4, v1
	s_and_b32 s0, 0xffff, s4
	s_lshr_b32 s6, s0, 8
	s_mov_b32 s0, exec_lo
	s_waitcnt lgkmcnt(0)
	v_cmpx_le_i32_e64 s13, v0
	s_xor_b32 s7, exec_lo, s0
	s_cbranch_execz .LBB34_1044
; %bb.1:
	s_mov_b32 s1, -1
	s_mov_b32 s16, 0
	s_mov_b32 s14, 0
	s_mov_b32 s15, exec_lo
	v_cmpx_gt_i32_e64 s13, v2
	s_cbranch_execz .LBB34_256
; %bb.2:
	v_mul_lo_u32 v0, v2, s3
	s_and_b32 s0, 0xffff, s6
	s_cmp_lt_i32 s0, 11
	v_ashrrev_i32_e32 v1, 31, v0
	v_add_co_u32 v0, vcc_lo, s10, v0
	v_add_co_ci_u32_e64 v1, null, s11, v1, vcc_lo
	s_cbranch_scc1 .LBB34_9
; %bb.3:
	s_cmp_gt_i32 s0, 25
	s_cbranch_scc0 .LBB34_61
; %bb.4:
	s_cmp_gt_i32 s0, 28
	s_cbranch_scc0 .LBB34_62
	;; [unrolled: 3-line block ×4, first 2 shown]
; %bb.7:
	s_cmp_eq_u32 s0, 46
	s_cbranch_scc0 .LBB34_68
; %bb.8:
	global_load_dword v3, v[0:1], off
	s_branch .LBB34_70
.LBB34_9:
	s_mov_b32 s1, 0
                                        ; implicit-def: $vgpr3
	s_cbranch_execnz .LBB34_206
.LBB34_10:
	s_andn2_b32 vcc_lo, exec_lo, s1
	s_cbranch_vccnz .LBB34_253
.LBB34_11:
	s_waitcnt vmcnt(0)
	v_lshlrev_b32_e32 v0, 16, v3
                                        ; implicit-def: $vgpr4
                                        ; implicit-def: $vgpr3
	s_mov_b32 s1, exec_lo
	v_and_b32_e32 v1, 0x7fffffff, v0
	v_cmpx_ngt_f32_e64 0x48000000, |v0|
	s_xor_b32 s12, exec_lo, s1
	s_cbranch_execz .LBB34_13
; %bb.12:
	s_mov_b32 s0, 0x7fffff
	v_mov_b32_e32 v5, 0
	v_and_or_b32 v12, v1, s0, 0x800000
	v_lshrrev_b32_e32 v10, 23, v1
	v_mad_u64_u32 v[3:4], null, 0xfe5163ab, v12, 0
	v_add_nc_u32_e32 v11, 0xffffff88, v10
	v_cmp_lt_u32_e32 vcc_lo, 63, v11
	v_mad_u64_u32 v[6:7], null, 0x3c439041, v12, v[4:5]
	v_cndmask_b32_e64 v13, 0, 0xffffffc0, vcc_lo
	v_mov_b32_e32 v4, v7
	v_add_nc_u32_e32 v13, v13, v11
	v_mad_u64_u32 v[7:8], null, 0xdb629599, v12, v[4:5]
	v_cmp_lt_u32_e64 s0, 31, v13
	v_cndmask_b32_e64 v14, 0, 0xffffffe0, s0
	v_mov_b32_e32 v4, v8
	v_cndmask_b32_e32 v3, v7, v3, vcc_lo
	v_mad_u64_u32 v[8:9], null, 0xf534ddc0, v12, v[4:5]
	v_mov_b32_e32 v4, v9
	v_cndmask_b32_e32 v6, v8, v6, vcc_lo
	v_mad_u64_u32 v[9:10], null, 0xfc2757d1, v12, v[4:5]
	v_cndmask_b32_e64 v3, v6, v3, s0
	v_mov_b32_e32 v4, v10
	v_mad_u64_u32 v[10:11], null, 0x4e441529, v12, v[4:5]
	v_mov_b32_e32 v4, v11
	v_add_nc_u32_e32 v11, v14, v13
	v_cndmask_b32_e32 v13, v10, v8, vcc_lo
	v_mad_u64_u32 v[4:5], null, 0xa2f9836e, v12, v[4:5]
	v_cmp_lt_u32_e64 s1, 31, v11
	v_cndmask_b32_e64 v12, 0, 0xffffffe0, s1
	v_cndmask_b32_e32 v4, v4, v9, vcc_lo
	v_cndmask_b32_e32 v5, v5, v10, vcc_lo
	;; [unrolled: 1-line block ×3, first 2 shown]
	v_add_nc_u32_e32 v10, v12, v11
	v_cndmask_b32_e64 v8, v4, v13, s0
	v_cndmask_b32_e64 v4, v5, v4, s0
	;; [unrolled: 1-line block ×4, first 2 shown]
	v_sub_nc_u32_e32 v11, 32, v10
	v_cmp_eq_u32_e32 vcc_lo, 0, v10
	v_cndmask_b32_e64 v4, v4, v8, s1
	v_cndmask_b32_e64 v8, v8, v5, s1
	;; [unrolled: 1-line block ×4, first 2 shown]
	v_alignbit_b32 v12, v4, v8, v11
	v_alignbit_b32 v7, v8, v5, v11
	;; [unrolled: 1-line block ×3, first 2 shown]
	v_cndmask_b32_e32 v4, v12, v4, vcc_lo
	v_cndmask_b32_e32 v6, v7, v8, vcc_lo
	;; [unrolled: 1-line block ×3, first 2 shown]
	v_bfe_u32 v7, v4, 29, 1
	v_alignbit_b32 v8, v4, v6, 30
	v_alignbit_b32 v6, v6, v5, 30
	;; [unrolled: 1-line block ×3, first 2 shown]
	v_sub_nc_u32_e32 v9, 0, v7
	v_xor_b32_e32 v8, v8, v9
	v_xor_b32_e32 v5, v6, v9
	v_xor_b32_e32 v3, v3, v9
	v_lshrrev_b32_e32 v9, 29, v4
	v_lshrrev_b32_e32 v4, 30, v4
	v_ffbh_u32_e32 v10, v8
	v_add_nc_u32_e32 v4, v7, v4
	v_min_u32_e32 v10, 32, v10
	v_sub_nc_u32_e32 v6, 31, v10
	v_lshlrev_b32_e32 v11, 23, v10
	v_alignbit_b32 v8, v8, v5, v6
	v_alignbit_b32 v3, v5, v3, v6
	v_lshlrev_b32_e32 v5, 31, v9
	v_alignbit_b32 v6, v8, v3, 9
	v_or_b32_e32 v9, 0.5, v5
	v_lshrrev_b32_e32 v8, 9, v8
	v_or_b32_e32 v5, 0x33000000, v5
	v_ffbh_u32_e32 v12, v6
	v_sub_nc_u32_e32 v9, v9, v11
	v_min_u32_e32 v11, 32, v12
	v_or_b32_e32 v8, v8, v9
	v_not_b32_e32 v9, v11
	v_mul_f32_e32 v12, 0x3fc90fda, v8
	v_add_lshl_u32 v10, v11, v10, 23
	v_alignbit_b32 v3, v6, v3, v9
	v_fma_f32 v6, 0x3fc90fda, v8, -v12
	v_sub_nc_u32_e32 v5, v5, v10
	v_lshrrev_b32_e32 v3, 9, v3
	v_fmamk_f32 v6, v8, 0x33a22168, v6
	v_or_b32_e32 v3, v5, v3
	v_fmac_f32_e32 v6, 0x3fc90fda, v3
	v_add_f32_e32 v3, v12, v6
.LBB34_13:
	s_andn2_saveexec_b32 s0, s12
; %bb.14:
	v_mul_f32_e64 v3, 0x3f22f983, |v0|
	v_rndne_f32_e32 v4, v3
	v_fma_f32 v3, 0xbfc90fda, v4, |v0|
	v_fmamk_f32 v3, v4, 0xb3a22168, v3
	v_fmamk_f32 v3, v4, 0xa7c234c4, v3
	v_cvt_i32_f32_e32 v4, v4
; %bb.15:
	s_or_b32 exec_lo, exec_lo, s0
	v_mul_f32_e32 v5, v3, v3
	s_mov_b32 s0, 0xb94c1982
	s_mov_b32 s1, 0x37d75334
	v_lshlrev_b32_e32 v8, 30, v4
	v_and_b32_e32 v4, 1, v4
	v_fmaak_f32 v6, s0, v5, 0x3c0881c4
	v_fmaak_f32 v7, s1, v5, 0xbab64f3b
	s_and_b32 s1, s4, 0xff
	v_and_b32_e32 v8, 0x80000000, v8
	v_cmp_eq_u32_e32 vcc_lo, 0, v4
	v_fmaak_f32 v6, v5, v6, 0xbe2aaa9d
	v_fmaak_f32 v7, v5, v7, 0x3d2aabf7
	s_mov_b32 s0, 0
	v_xor_b32_e32 v1, v1, v8
	s_mov_b32 s12, -1
	v_mul_f32_e32 v6, v5, v6
	v_fmaak_f32 v7, v5, v7, 0xbf000004
	s_cmp_lt_i32 s1, 11
	s_mov_b32 s17, 0
	v_fmac_f32_e32 v3, v3, v6
	v_fma_f32 v5, v5, v7, 1.0
	v_cndmask_b32_e32 v3, v5, v3, vcc_lo
	v_cmp_class_f32_e64 vcc_lo, v0, 0x1f8
	v_xor3_b32 v1, v1, v3, v0
	v_cndmask_b32_e32 v3, 0x7fc00000, v1, vcc_lo
	v_mul_lo_u32 v1, v2, s2
	v_bfe_u32 v0, v3, 16, 1
	v_ashrrev_i32_e32 v4, 31, v1
	v_add3_u32 v0, v3, v0, 0x7fff
	v_lshrrev_b32_e32 v5, 16, v0
	v_add_co_u32 v0, vcc_lo, s8, v1
	v_add_co_ci_u32_e64 v1, null, s9, v4, vcc_lo
	v_cmp_o_f32_e32 vcc_lo, v3, v3
	v_cndmask_b32_e32 v3, 0x7fc0, v5, vcc_lo
	s_cbranch_scc1 .LBB34_22
; %bb.16:
	s_and_b32 s12, 0xffff, s1
	s_cmp_gt_i32 s12, 25
	s_cbranch_scc0 .LBB34_63
; %bb.17:
	s_cmp_gt_i32 s12, 28
	s_cbranch_scc0 .LBB34_65
; %bb.18:
	;; [unrolled: 3-line block ×4, first 2 shown]
	s_mov_b32 s18, 0
	s_mov_b32 s0, -1
	s_cmp_eq_u32 s12, 46
	s_cbranch_scc0 .LBB34_74
; %bb.21:
	v_and_b32_e32 v4, 0xffff, v3
	s_mov_b32 s17, -1
	s_mov_b32 s0, 0
	global_store_dword v[0:1], v4, off
	s_branch .LBB34_74
.LBB34_22:
	s_and_b32 vcc_lo, exec_lo, s12
	s_cbranch_vccz .LBB34_143
; %bb.23:
	s_and_b32 s1, 0xffff, s1
	s_mov_b32 s12, -1
	s_cmp_lt_i32 s1, 5
	s_cbranch_scc1 .LBB34_44
; %bb.24:
	s_cmp_lt_i32 s1, 8
	s_cbranch_scc1 .LBB34_34
; %bb.25:
	;; [unrolled: 3-line block ×3, first 2 shown]
	s_cmp_gt_i32 s1, 9
	s_cbranch_scc0 .LBB34_28
; %bb.27:
	v_lshlrev_b32_e32 v4, 16, v3
	v_mov_b32_e32 v6, 0
	s_mov_b32 s12, 0
	v_cvt_f64_f32_e32 v[4:5], v4
	v_mov_b32_e32 v7, v6
	global_store_dwordx4 v[0:1], v[4:7], off
.LBB34_28:
	s_andn2_b32 vcc_lo, exec_lo, s12
	s_cbranch_vccnz .LBB34_30
; %bb.29:
	v_lshlrev_b32_e32 v4, 16, v3
	v_mov_b32_e32 v5, 0
	global_store_dwordx2 v[0:1], v[4:5], off
.LBB34_30:
	s_mov_b32 s12, 0
.LBB34_31:
	s_andn2_b32 vcc_lo, exec_lo, s12
	s_cbranch_vccnz .LBB34_33
; %bb.32:
	v_lshlrev_b32_e32 v4, 16, v3
	v_cvt_f16_f32_e32 v4, v4
	v_and_b32_e32 v4, 0xffff, v4
	global_store_dword v[0:1], v4, off
.LBB34_33:
	s_mov_b32 s12, 0
.LBB34_34:
	s_andn2_b32 vcc_lo, exec_lo, s12
	s_cbranch_vccnz .LBB34_43
; %bb.35:
	s_cmp_lt_i32 s1, 6
	s_mov_b32 s12, -1
	s_cbranch_scc1 .LBB34_41
; %bb.36:
	s_cmp_gt_i32 s1, 6
	s_cbranch_scc0 .LBB34_38
; %bb.37:
	v_lshlrev_b32_e32 v4, 16, v3
	s_mov_b32 s12, 0
	v_cvt_f64_f32_e32 v[4:5], v4
	global_store_dwordx2 v[0:1], v[4:5], off
.LBB34_38:
	s_andn2_b32 vcc_lo, exec_lo, s12
	s_cbranch_vccnz .LBB34_40
; %bb.39:
	v_lshlrev_b32_e32 v4, 16, v3
	global_store_dword v[0:1], v4, off
.LBB34_40:
	s_mov_b32 s12, 0
.LBB34_41:
	s_andn2_b32 vcc_lo, exec_lo, s12
	s_cbranch_vccnz .LBB34_43
; %bb.42:
	v_lshlrev_b32_e32 v4, 16, v3
	v_cvt_f16_f32_e32 v4, v4
	global_store_short v[0:1], v4, off
.LBB34_43:
	s_mov_b32 s12, 0
.LBB34_44:
	s_andn2_b32 vcc_lo, exec_lo, s12
	s_cbranch_vccnz .LBB34_60
; %bb.45:
	s_cmp_lt_i32 s1, 2
	s_mov_b32 s12, -1
	s_cbranch_scc1 .LBB34_55
; %bb.46:
	s_cmp_lt_i32 s1, 3
	s_cbranch_scc1 .LBB34_52
; %bb.47:
	s_cmp_gt_i32 s1, 3
	s_cbranch_scc0 .LBB34_49
; %bb.48:
	v_lshlrev_b32_e32 v4, 16, v3
	s_mov_b32 s12, 0
	v_trunc_f32_e32 v4, v4
	v_mul_f32_e64 v5, 0x2f800000, |v4|
	v_ashrrev_i32_e32 v7, 31, v4
	v_floor_f32_e32 v5, v5
	v_fma_f32 v6, 0xcf800000, v5, |v4|
	v_cvt_u32_f32_e32 v5, v5
	v_cvt_u32_f32_e32 v4, v6
	v_xor_b32_e32 v5, v5, v7
	v_xor_b32_e32 v4, v4, v7
	v_sub_co_u32 v4, vcc_lo, v4, v7
	v_sub_co_ci_u32_e64 v5, null, v5, v7, vcc_lo
	global_store_dwordx2 v[0:1], v[4:5], off
.LBB34_49:
	s_andn2_b32 vcc_lo, exec_lo, s12
	s_cbranch_vccnz .LBB34_51
; %bb.50:
	v_lshlrev_b32_e32 v4, 16, v3
	v_cvt_i32_f32_e32 v4, v4
	global_store_dword v[0:1], v4, off
.LBB34_51:
	s_mov_b32 s12, 0
.LBB34_52:
	s_andn2_b32 vcc_lo, exec_lo, s12
	s_cbranch_vccnz .LBB34_54
; %bb.53:
	v_lshlrev_b32_e32 v4, 16, v3
	v_cvt_i32_f32_e32 v4, v4
	global_store_short v[0:1], v4, off
.LBB34_54:
	s_mov_b32 s12, 0
.LBB34_55:
	s_andn2_b32 vcc_lo, exec_lo, s12
	s_cbranch_vccnz .LBB34_60
; %bb.56:
	v_lshlrev_b32_e32 v3, 16, v3
	s_cmp_gt_i32 s1, 0
	s_mov_b32 s1, -1
	s_cbranch_scc0 .LBB34_58
; %bb.57:
	v_cvt_i32_f32_e32 v4, v3
	s_mov_b32 s1, 0
	global_store_byte v[0:1], v4, off
.LBB34_58:
	s_andn2_b32 vcc_lo, exec_lo, s1
	s_cbranch_vccnz .LBB34_60
; %bb.59:
	v_trunc_f32_e32 v3, v3
	v_mul_f32_e64 v4, 0x2f800000, |v3|
	v_floor_f32_e32 v4, v4
	v_fma_f32 v4, 0xcf800000, v4, |v3|
	v_ashrrev_i32_e32 v3, 31, v3
	v_cvt_u32_f32_e32 v4, v4
	v_xor_b32_e32 v4, v4, v3
	v_sub_nc_u32_e32 v3, v4, v3
	global_store_byte v[0:1], v3, off
.LBB34_60:
	s_branch .LBB34_144
.LBB34_61:
	s_mov_b32 s1, 0
                                        ; implicit-def: $vgpr3
	s_cbranch_execnz .LBB34_171
	s_branch .LBB34_205
.LBB34_62:
	s_mov_b32 s12, -1
	s_mov_b32 s1, 0
                                        ; implicit-def: $vgpr3
	s_branch .LBB34_152
.LBB34_63:
	s_mov_b32 s18, -1
	s_branch .LBB34_101
.LBB34_64:
	s_mov_b32 s12, -1
	s_mov_b32 s1, 0
                                        ; implicit-def: $vgpr3
	s_branch .LBB34_147
.LBB34_65:
	s_mov_b32 s18, -1
	s_branch .LBB34_84
.LBB34_66:
	s_mov_b32 s12, -1
	s_branch .LBB34_69
.LBB34_67:
	s_mov_b32 s18, -1
	s_branch .LBB34_80
.LBB34_68:
	s_mov_b32 s14, -1
.LBB34_69:
	s_mov_b32 s1, 0
                                        ; implicit-def: $vgpr3
.LBB34_70:
	s_and_b32 vcc_lo, exec_lo, s12
	s_cbranch_vccz .LBB34_146
; %bb.71:
	s_cmp_eq_u32 s0, 44
	s_cbranch_scc0 .LBB34_145
; %bb.72:
	global_load_ubyte v3, v[0:1], off
	s_mov_b32 s14, 0
	s_mov_b32 s1, -1
	s_waitcnt vmcnt(0)
	v_lshlrev_b32_e32 v4, 23, v3
	v_cmp_ne_u32_e32 vcc_lo, 0xff, v3
	v_cndmask_b32_e32 v4, 0x7f800001, v4, vcc_lo
	v_cmp_ne_u32_e32 vcc_lo, 0, v3
	v_cndmask_b32_e32 v3, 0x400000, v4, vcc_lo
	v_mov_b32_e32 v4, 0x7fc0
	v_cmp_o_f32_e32 vcc_lo, v3, v3
	v_add_nc_u32_e32 v3, 0x7fff, v3
	v_cndmask_b32_sdwa v3, v4, v3, vcc_lo dst_sel:DWORD dst_unused:UNUSED_PAD src0_sel:DWORD src1_sel:WORD_1
	s_branch .LBB34_146
.LBB34_73:
	s_mov_b32 s18, -1
.LBB34_74:
	s_and_b32 vcc_lo, exec_lo, s18
	s_cbranch_vccz .LBB34_79
; %bb.75:
	s_cmp_eq_u32 s12, 44
	s_mov_b32 s0, -1
	s_cbranch_scc0 .LBB34_79
; %bb.76:
	v_and_b32_e32 v4, 0xffff, v3
	v_mov_b32_e32 v5, 0xff
	s_mov_b32 s17, exec_lo
	v_bfe_u32 v6, v4, 7, 8
	v_cmpx_ne_u32_e32 0xff, v6
	s_cbranch_execz .LBB34_78
; %bb.77:
	v_lshlrev_b32_e32 v5, 16, v4
	v_and_b32_e32 v7, 64, v4
	v_lshrrev_b32_e32 v4, 7, v4
	v_and_or_b32 v5, 0x3f0000, v5, v6
	v_cmp_ne_u32_e32 vcc_lo, 0, v7
	v_cmp_ne_u32_e64 s0, 0, v5
	s_and_b32 s0, vcc_lo, s0
	v_cndmask_b32_e64 v5, 0, 1, s0
	v_add_nc_u32_e32 v5, v4, v5
.LBB34_78:
	s_or_b32 exec_lo, exec_lo, s17
	s_mov_b32 s17, -1
	s_mov_b32 s0, 0
	global_store_byte v[0:1], v5, off
.LBB34_79:
	s_mov_b32 s18, 0
.LBB34_80:
	s_and_b32 vcc_lo, exec_lo, s18
	s_cbranch_vccz .LBB34_83
; %bb.81:
	s_cmp_eq_u32 s12, 29
	s_mov_b32 s0, -1
	s_cbranch_scc0 .LBB34_83
; %bb.82:
	v_lshlrev_b32_e32 v4, 16, v3
	s_mov_b32 s17, -1
	s_mov_b32 s0, 0
	s_mov_b32 s18, 0
	v_trunc_f32_e32 v4, v4
	v_mul_f32_e32 v5, 0x2f800000, v4
	v_floor_f32_e32 v5, v5
	v_fmamk_f32 v4, v5, 0xcf800000, v4
	v_cvt_u32_f32_e32 v5, v5
	v_cvt_u32_f32_e32 v4, v4
	global_store_dwordx2 v[0:1], v[4:5], off
	s_branch .LBB34_84
.LBB34_83:
	s_mov_b32 s18, 0
.LBB34_84:
	s_and_b32 vcc_lo, exec_lo, s18
	s_cbranch_vccz .LBB34_100
; %bb.85:
	s_cmp_lt_i32 s12, 27
	s_mov_b32 s17, -1
	s_cbranch_scc1 .LBB34_91
; %bb.86:
	s_cmp_gt_i32 s12, 27
	s_cbranch_scc0 .LBB34_88
; %bb.87:
	v_lshlrev_b32_e32 v4, 16, v3
	s_mov_b32 s17, 0
	v_cvt_u32_f32_e32 v4, v4
	global_store_dword v[0:1], v4, off
.LBB34_88:
	s_andn2_b32 vcc_lo, exec_lo, s17
	s_cbranch_vccnz .LBB34_90
; %bb.89:
	v_lshlrev_b32_e32 v4, 16, v3
	v_cvt_u32_f32_e32 v4, v4
	global_store_short v[0:1], v4, off
.LBB34_90:
	s_mov_b32 s17, 0
.LBB34_91:
	s_andn2_b32 vcc_lo, exec_lo, s17
	s_cbranch_vccnz .LBB34_99
; %bb.92:
	v_lshlrev_b32_e32 v6, 16, v3
	v_mov_b32_e32 v7, 0x80
	s_mov_b32 s17, exec_lo
	v_and_b32_e32 v5, 0x7fffffff, v6
	v_cmpx_gt_u32_e32 0x43800000, v5
	s_cbranch_execz .LBB34_98
; %bb.93:
	v_and_b32_e32 v4, 0xffff, v3
	v_cmp_lt_u32_e32 vcc_lo, 0x3bffffff, v5
	s_mov_b32 s18, 0
                                        ; implicit-def: $vgpr5
	s_and_saveexec_b32 s19, vcc_lo
	s_xor_b32 s19, exec_lo, s19
	s_cbranch_execz .LBB34_326
; %bb.94:
	v_bfe_u32 v5, v4, 4, 1
	s_mov_b32 s18, exec_lo
	v_add3_u32 v5, v6, v5, 0x487ffff
                                        ; implicit-def: $vgpr6
	v_lshrrev_b32_e32 v5, 20, v5
	s_andn2_saveexec_b32 s19, s19
	s_cbranch_execnz .LBB34_327
.LBB34_95:
	s_or_b32 exec_lo, exec_lo, s19
	v_mov_b32_e32 v7, 0
	s_and_saveexec_b32 s19, s18
.LBB34_96:
	v_lshrrev_b32_e32 v4, 8, v4
	v_and_or_b32 v7, 0x80, v4, v5
.LBB34_97:
	s_or_b32 exec_lo, exec_lo, s19
.LBB34_98:
	s_or_b32 exec_lo, exec_lo, s17
	global_store_byte v[0:1], v7, off
.LBB34_99:
	s_mov_b32 s17, -1
.LBB34_100:
	s_mov_b32 s18, 0
.LBB34_101:
	s_and_b32 vcc_lo, exec_lo, s18
	s_cbranch_vccz .LBB34_142
; %bb.102:
	s_cmp_gt_i32 s12, 22
	s_mov_b32 s18, -1
	s_cbranch_scc0 .LBB34_134
; %bb.103:
	s_cmp_lt_i32 s12, 24
	s_mov_b32 s17, -1
	s_cbranch_scc1 .LBB34_123
; %bb.104:
	s_cmp_gt_i32 s12, 24
	s_cbranch_scc0 .LBB34_112
; %bb.105:
	v_lshlrev_b32_e32 v6, 16, v3
	v_mov_b32_e32 v7, 0x80
	s_mov_b32 s17, exec_lo
	v_and_b32_e32 v5, 0x7fffffff, v6
	v_cmpx_gt_u32_e32 0x47800000, v5
	s_cbranch_execz .LBB34_111
; %bb.106:
	v_and_b32_e32 v4, 0xffff, v3
	v_cmp_lt_u32_e32 vcc_lo, 0x37ffffff, v5
	s_mov_b32 s18, 0
                                        ; implicit-def: $vgpr5
	s_and_saveexec_b32 s19, vcc_lo
	s_xor_b32 s19, exec_lo, s19
	s_cbranch_execz .LBB34_330
; %bb.107:
	v_bfe_u32 v5, v4, 5, 1
	s_mov_b32 s18, exec_lo
	v_add3_u32 v5, v6, v5, 0x88fffff
                                        ; implicit-def: $vgpr6
	v_lshrrev_b32_e32 v5, 21, v5
	s_andn2_saveexec_b32 s19, s19
	s_cbranch_execnz .LBB34_331
.LBB34_108:
	s_or_b32 exec_lo, exec_lo, s19
	v_mov_b32_e32 v7, 0
	s_and_saveexec_b32 s19, s18
.LBB34_109:
	v_lshrrev_b32_e32 v4, 8, v4
	v_and_or_b32 v7, 0x80, v4, v5
.LBB34_110:
	s_or_b32 exec_lo, exec_lo, s19
.LBB34_111:
	s_or_b32 exec_lo, exec_lo, s17
	s_mov_b32 s17, 0
	global_store_byte v[0:1], v7, off
.LBB34_112:
	s_and_b32 vcc_lo, exec_lo, s17
	s_cbranch_vccz .LBB34_122
; %bb.113:
	v_lshlrev_b32_e32 v6, 16, v3
	v_and_b32_e32 v4, 0xffff, v3
	s_mov_b32 s17, exec_lo
                                        ; implicit-def: $vgpr5
	v_and_b32_e32 v7, 0x7fffffff, v6
	v_cmpx_gt_u32_e32 0x43f00000, v7
	s_xor_b32 s17, exec_lo, s17
	s_cbranch_execz .LBB34_119
; %bb.114:
	s_mov_b32 s18, exec_lo
                                        ; implicit-def: $vgpr5
	v_cmpx_lt_u32_e32 0x3c7fffff, v7
	s_xor_b32 s18, exec_lo, s18
; %bb.115:
	v_bfe_u32 v5, v4, 4, 1
	v_add3_u32 v5, v6, v5, 0x407ffff
	v_and_b32_e32 v6, 0xff00000, v5
	v_lshrrev_b32_e32 v5, 20, v5
	v_cmp_ne_u32_e32 vcc_lo, 0x7f00000, v6
                                        ; implicit-def: $vgpr6
	v_cndmask_b32_e32 v5, 0x7e, v5, vcc_lo
; %bb.116:
	s_andn2_saveexec_b32 s18, s18
; %bb.117:
	v_add_f32_e64 v5, 0x46800000, |v6|
; %bb.118:
	s_or_b32 exec_lo, exec_lo, s18
                                        ; implicit-def: $vgpr7
.LBB34_119:
	s_andn2_saveexec_b32 s17, s17
; %bb.120:
	v_mov_b32_e32 v5, 0x7f
	v_cmp_lt_u32_e32 vcc_lo, 0x7f800000, v7
	v_cndmask_b32_e32 v5, 0x7e, v5, vcc_lo
; %bb.121:
	s_or_b32 exec_lo, exec_lo, s17
	v_lshrrev_b32_e32 v4, 8, v4
	v_and_or_b32 v4, 0x80, v4, v5
	global_store_byte v[0:1], v4, off
.LBB34_122:
	s_mov_b32 s17, 0
.LBB34_123:
	s_andn2_b32 vcc_lo, exec_lo, s17
	s_cbranch_vccnz .LBB34_133
; %bb.124:
	v_lshlrev_b32_e32 v6, 16, v3
	v_and_b32_e32 v4, 0xffff, v3
	s_mov_b32 s17, exec_lo
                                        ; implicit-def: $vgpr5
	v_and_b32_e32 v7, 0x7fffffff, v6
	v_cmpx_gt_u32_e32 0x47800000, v7
	s_xor_b32 s17, exec_lo, s17
	s_cbranch_execz .LBB34_130
; %bb.125:
	s_mov_b32 s18, exec_lo
                                        ; implicit-def: $vgpr5
	v_cmpx_lt_u32_e32 0x387fffff, v7
	s_xor_b32 s18, exec_lo, s18
; %bb.126:
	v_bfe_u32 v5, v4, 5, 1
	v_add3_u32 v5, v6, v5, 0x80fffff
                                        ; implicit-def: $vgpr6
	v_lshrrev_b32_e32 v5, 21, v5
; %bb.127:
	s_andn2_saveexec_b32 s18, s18
; %bb.128:
	v_add_f32_e64 v5, 0x43000000, |v6|
; %bb.129:
	s_or_b32 exec_lo, exec_lo, s18
                                        ; implicit-def: $vgpr7
.LBB34_130:
	s_andn2_saveexec_b32 s17, s17
; %bb.131:
	v_mov_b32_e32 v5, 0x7f
	v_cmp_lt_u32_e32 vcc_lo, 0x7f800000, v7
	v_cndmask_b32_e32 v5, 0x7c, v5, vcc_lo
; %bb.132:
	s_or_b32 exec_lo, exec_lo, s17
	v_lshrrev_b32_e32 v4, 8, v4
	v_and_or_b32 v4, 0x80, v4, v5
	global_store_byte v[0:1], v4, off
.LBB34_133:
	s_mov_b32 s18, 0
	s_mov_b32 s17, -1
.LBB34_134:
	s_andn2_b32 vcc_lo, exec_lo, s18
	s_cbranch_vccnz .LBB34_142
; %bb.135:
	s_cmp_gt_i32 s12, 14
	s_mov_b32 s18, -1
	s_cbranch_scc0 .LBB34_139
; %bb.136:
	s_cmp_eq_u32 s12, 15
	s_mov_b32 s0, -1
	s_cbranch_scc0 .LBB34_138
; %bb.137:
	s_mov_b32 s17, -1
	s_mov_b32 s0, 0
	global_store_short v[0:1], v3, off
.LBB34_138:
	s_mov_b32 s18, 0
.LBB34_139:
	s_and_b32 vcc_lo, exec_lo, s18
	s_cbranch_vccz .LBB34_142
; %bb.140:
	s_cmp_eq_u32 s12, 11
	s_mov_b32 s0, -1
	s_cbranch_scc0 .LBB34_142
; %bb.141:
	v_and_b32_e32 v4, 0x7fff, v3
	s_mov_b32 s0, 0
	s_mov_b32 s17, -1
	v_cmp_ne_u16_e32 vcc_lo, 0, v4
	v_cndmask_b32_e64 v4, 0, 1, vcc_lo
	global_store_byte v[0:1], v4, off
.LBB34_142:
.LBB34_143:
	s_andn2_b32 vcc_lo, exec_lo, s17
	s_cbranch_vccnz .LBB34_254
.LBB34_144:
	v_add_nc_u32_e32 v2, 0x80, v2
	s_mov_b32 s1, -1
	s_branch .LBB34_255
.LBB34_145:
	s_mov_b32 s14, -1
                                        ; implicit-def: $vgpr3
.LBB34_146:
	s_mov_b32 s12, 0
.LBB34_147:
	s_and_b32 vcc_lo, exec_lo, s12
	s_cbranch_vccz .LBB34_151
; %bb.148:
	s_cmp_eq_u32 s0, 29
	s_cbranch_scc0 .LBB34_150
; %bb.149:
	global_load_dwordx2 v[3:4], v[0:1], off
	s_mov_b32 s1, -1
	s_mov_b32 s14, 0
	s_mov_b32 s12, 0
	s_waitcnt vmcnt(0)
	v_ffbh_u32_e32 v5, v4
	v_min_u32_e32 v5, 32, v5
	v_lshlrev_b64 v[3:4], v5, v[3:4]
	v_min_u32_e32 v3, 1, v3
	v_or_b32_e32 v3, v4, v3
	v_sub_nc_u32_e32 v4, 32, v5
	v_cvt_f32_u32_e32 v3, v3
	v_ldexp_f32 v3, v3, v4
	v_bfe_u32 v4, v3, 16, 1
	v_add3_u32 v3, v3, v4, 0x7fff
	v_lshrrev_b32_e32 v3, 16, v3
	s_branch .LBB34_152
.LBB34_150:
	s_mov_b32 s14, -1
                                        ; implicit-def: $vgpr3
.LBB34_151:
	s_mov_b32 s12, 0
.LBB34_152:
	s_and_b32 vcc_lo, exec_lo, s12
	s_cbranch_vccz .LBB34_170
; %bb.153:
	s_cmp_lt_i32 s0, 27
	s_cbranch_scc1 .LBB34_156
; %bb.154:
	s_cmp_gt_i32 s0, 27
	s_cbranch_scc0 .LBB34_157
; %bb.155:
	global_load_dword v3, v[0:1], off
	s_mov_b32 s1, 0
	s_waitcnt vmcnt(0)
	v_cvt_f32_u32_e32 v3, v3
	v_bfe_u32 v4, v3, 16, 1
	v_add3_u32 v3, v3, v4, 0x7fff
	v_lshrrev_b32_e32 v3, 16, v3
	s_branch .LBB34_158
.LBB34_156:
	s_mov_b32 s1, -1
                                        ; implicit-def: $vgpr3
	s_branch .LBB34_161
.LBB34_157:
	s_mov_b32 s1, -1
                                        ; implicit-def: $vgpr3
.LBB34_158:
	s_andn2_b32 vcc_lo, exec_lo, s1
	s_cbranch_vccnz .LBB34_160
; %bb.159:
	global_load_ushort v3, v[0:1], off
	s_waitcnt vmcnt(0)
	v_cvt_f32_u32_e32 v3, v3
	v_bfe_u32 v4, v3, 16, 1
	v_add3_u32 v3, v3, v4, 0x7fff
	v_lshrrev_b32_e32 v3, 16, v3
.LBB34_160:
	s_mov_b32 s1, 0
.LBB34_161:
	s_andn2_b32 vcc_lo, exec_lo, s1
	s_cbranch_vccnz .LBB34_169
; %bb.162:
	global_load_ubyte v3, v[0:1], off
	s_mov_b32 s1, 0
	s_mov_b32 s12, exec_lo
	s_waitcnt vmcnt(0)
	v_cmpx_lt_i16_e32 0x7f, v3
	s_xor_b32 s12, exec_lo, s12
	s_cbranch_execz .LBB34_182
; %bb.163:
	s_mov_b32 s1, -1
	s_mov_b32 s17, exec_lo
	v_cmpx_eq_u16_e32 0x80, v3
; %bb.164:
	s_xor_b32 s1, exec_lo, -1
; %bb.165:
	s_or_b32 exec_lo, exec_lo, s17
	s_and_b32 s1, s1, exec_lo
	s_or_saveexec_b32 s12, s12
	v_mov_b32_e32 v4, 0x7f800001
	s_xor_b32 exec_lo, exec_lo, s12
	s_cbranch_execnz .LBB34_183
.LBB34_166:
	s_or_b32 exec_lo, exec_lo, s12
	s_and_saveexec_b32 s12, s1
	s_cbranch_execz .LBB34_168
.LBB34_167:
	v_and_b32_e32 v4, 0xffff, v3
	v_lshlrev_b32_e32 v3, 24, v3
	v_and_b32_e32 v5, 7, v4
	v_bfe_u32 v8, v4, 3, 4
	v_and_b32_e32 v3, 0x80000000, v3
	v_ffbh_u32_e32 v6, v5
	v_cmp_eq_u32_e32 vcc_lo, 0, v8
	v_min_u32_e32 v6, 32, v6
	v_subrev_nc_u32_e32 v7, 28, v6
	v_sub_nc_u32_e32 v6, 29, v6
	v_lshlrev_b32_e32 v4, v7, v4
	v_cndmask_b32_e32 v6, v8, v6, vcc_lo
	v_and_b32_e32 v4, 7, v4
	v_cndmask_b32_e32 v4, v5, v4, vcc_lo
	v_lshl_add_u32 v5, v6, 23, 0x3b800000
	v_lshlrev_b32_e32 v4, 20, v4
	v_or3_b32 v4, v3, v5, v4
.LBB34_168:
	s_or_b32 exec_lo, exec_lo, s12
	v_bfe_u32 v3, v4, 16, 1
	v_cmp_o_f32_e32 vcc_lo, v4, v4
	v_add3_u32 v3, v4, v3, 0x7fff
	v_mov_b32_e32 v4, 0x7fc0
	v_cndmask_b32_sdwa v3, v4, v3, vcc_lo dst_sel:DWORD dst_unused:UNUSED_PAD src0_sel:DWORD src1_sel:WORD_1
.LBB34_169:
	s_mov_b32 s1, -1
.LBB34_170:
	s_branch .LBB34_205
.LBB34_171:
	s_cmp_gt_i32 s0, 22
	s_cbranch_scc0 .LBB34_181
; %bb.172:
	s_cmp_lt_i32 s0, 24
	s_cbranch_scc1 .LBB34_184
; %bb.173:
	s_cmp_gt_i32 s0, 24
	s_cbranch_scc0 .LBB34_185
; %bb.174:
	global_load_ubyte v3, v[0:1], off
	s_mov_b32 s1, 0
	s_mov_b32 s12, exec_lo
	s_waitcnt vmcnt(0)
	v_cmpx_lt_i16_e32 0x7f, v3
	s_xor_b32 s12, exec_lo, s12
	s_cbranch_execz .LBB34_197
; %bb.175:
	s_mov_b32 s1, -1
	s_mov_b32 s17, exec_lo
	v_cmpx_eq_u16_e32 0x80, v3
; %bb.176:
	s_xor_b32 s1, exec_lo, -1
; %bb.177:
	s_or_b32 exec_lo, exec_lo, s17
	s_and_b32 s1, s1, exec_lo
	s_or_saveexec_b32 s12, s12
	v_mov_b32_e32 v4, 0x7f800001
	s_xor_b32 exec_lo, exec_lo, s12
	s_cbranch_execnz .LBB34_198
.LBB34_178:
	s_or_b32 exec_lo, exec_lo, s12
	s_and_saveexec_b32 s12, s1
	s_cbranch_execz .LBB34_180
.LBB34_179:
	v_and_b32_e32 v4, 0xffff, v3
	v_lshlrev_b32_e32 v3, 24, v3
	v_and_b32_e32 v5, 3, v4
	v_bfe_u32 v8, v4, 2, 5
	v_and_b32_e32 v3, 0x80000000, v3
	v_ffbh_u32_e32 v6, v5
	v_cmp_eq_u32_e32 vcc_lo, 0, v8
	v_min_u32_e32 v6, 32, v6
	v_subrev_nc_u32_e32 v7, 29, v6
	v_sub_nc_u32_e32 v6, 30, v6
	v_lshlrev_b32_e32 v4, v7, v4
	v_cndmask_b32_e32 v6, v8, v6, vcc_lo
	v_and_b32_e32 v4, 3, v4
	v_cndmask_b32_e32 v4, v5, v4, vcc_lo
	v_lshl_add_u32 v5, v6, 23, 0x37800000
	v_lshlrev_b32_e32 v4, 21, v4
	v_or3_b32 v4, v3, v5, v4
.LBB34_180:
	s_or_b32 exec_lo, exec_lo, s12
	v_bfe_u32 v3, v4, 16, 1
	v_cmp_o_f32_e32 vcc_lo, v4, v4
	s_mov_b32 s1, 0
	v_add3_u32 v3, v4, v3, 0x7fff
	v_mov_b32_e32 v4, 0x7fc0
	v_cndmask_b32_sdwa v3, v4, v3, vcc_lo dst_sel:DWORD dst_unused:UNUSED_PAD src0_sel:DWORD src1_sel:WORD_1
	s_branch .LBB34_186
.LBB34_181:
	s_mov_b32 s12, -1
                                        ; implicit-def: $vgpr3
	s_branch .LBB34_192
.LBB34_182:
	s_or_saveexec_b32 s12, s12
	v_mov_b32_e32 v4, 0x7f800001
	s_xor_b32 exec_lo, exec_lo, s12
	s_cbranch_execz .LBB34_166
.LBB34_183:
	v_cmp_ne_u16_e32 vcc_lo, 0, v3
	v_mov_b32_e32 v4, 0
	s_andn2_b32 s1, s1, exec_lo
	s_and_b32 s17, vcc_lo, exec_lo
	s_or_b32 s1, s1, s17
	s_or_b32 exec_lo, exec_lo, s12
	s_and_saveexec_b32 s12, s1
	s_cbranch_execnz .LBB34_167
	s_branch .LBB34_168
.LBB34_184:
	s_mov_b32 s1, -1
                                        ; implicit-def: $vgpr3
	s_branch .LBB34_189
.LBB34_185:
	s_mov_b32 s1, -1
                                        ; implicit-def: $vgpr3
.LBB34_186:
	s_and_b32 vcc_lo, exec_lo, s1
	s_cbranch_vccz .LBB34_188
; %bb.187:
	global_load_ubyte v3, v[0:1], off
	s_waitcnt vmcnt(0)
	v_lshlrev_b32_e32 v3, 24, v3
	v_and_b32_e32 v4, 0x7f000000, v3
	v_ffbh_u32_e32 v5, v4
	v_add_nc_u32_e32 v7, 0x1000000, v4
	v_cmp_ne_u32_e32 vcc_lo, 0, v4
	v_min_u32_e32 v5, 32, v5
	v_sub_nc_u32_e64 v5, v5, 4 clamp
	v_lshlrev_b32_e32 v6, v5, v4
	v_lshlrev_b32_e32 v5, 23, v5
	v_lshrrev_b32_e32 v6, 4, v6
	v_sub_nc_u32_e32 v5, v6, v5
	v_ashrrev_i32_e32 v6, 8, v7
	v_add_nc_u32_e32 v5, 0x3c000000, v5
	v_and_or_b32 v5, 0x7f800000, v6, v5
	v_cndmask_b32_e32 v4, 0, v5, vcc_lo
	v_and_or_b32 v3, 0x80000000, v3, v4
	v_bfe_u32 v4, v4, 16, 1
	v_cmp_o_f32_e32 vcc_lo, v3, v3
	v_add3_u32 v3, v3, v4, 0x7fff
	v_mov_b32_e32 v4, 0x7fc0
	v_cndmask_b32_sdwa v3, v4, v3, vcc_lo dst_sel:DWORD dst_unused:UNUSED_PAD src0_sel:DWORD src1_sel:WORD_1
.LBB34_188:
	s_mov_b32 s1, 0
.LBB34_189:
	s_andn2_b32 vcc_lo, exec_lo, s1
	s_cbranch_vccnz .LBB34_191
; %bb.190:
	global_load_ubyte v3, v[0:1], off
	s_waitcnt vmcnt(0)
	v_lshlrev_b32_e32 v4, 25, v3
	v_lshlrev_b16 v3, 8, v3
	v_lshrrev_b32_e32 v5, 4, v4
	v_and_or_b32 v6, 0x7f00, v3, 0.5
	v_cmp_gt_u32_e32 vcc_lo, 0x8000000, v4
	v_bfe_i32 v3, v3, 0, 16
	v_or_b32_e32 v5, 0x70000000, v5
	v_add_f32_e32 v6, -0.5, v6
	v_mul_f32_e32 v5, 0x7800000, v5
	v_cndmask_b32_e32 v4, v5, v6, vcc_lo
	v_and_or_b32 v3, 0x80000000, v3, v4
	v_bfe_u32 v4, v4, 16, 1
	v_cmp_o_f32_e32 vcc_lo, v3, v3
	v_add3_u32 v3, v3, v4, 0x7fff
	v_mov_b32_e32 v4, 0x7fc0
	v_cndmask_b32_sdwa v3, v4, v3, vcc_lo dst_sel:DWORD dst_unused:UNUSED_PAD src0_sel:DWORD src1_sel:WORD_1
.LBB34_191:
	s_mov_b32 s12, 0
	s_mov_b32 s1, -1
.LBB34_192:
	s_andn2_b32 vcc_lo, exec_lo, s12
	s_cbranch_vccnz .LBB34_205
; %bb.193:
	s_cmp_gt_i32 s0, 14
	s_cbranch_scc0 .LBB34_196
; %bb.194:
	s_cmp_eq_u32 s0, 15
	s_cbranch_scc0 .LBB34_199
; %bb.195:
	global_load_ushort v3, v[0:1], off
	s_mov_b32 s1, -1
	s_mov_b32 s14, 0
	s_branch .LBB34_200
.LBB34_196:
	s_mov_b32 s12, -1
                                        ; implicit-def: $vgpr3
	s_branch .LBB34_201
.LBB34_197:
	s_or_saveexec_b32 s12, s12
	v_mov_b32_e32 v4, 0x7f800001
	s_xor_b32 exec_lo, exec_lo, s12
	s_cbranch_execz .LBB34_178
.LBB34_198:
	v_cmp_ne_u16_e32 vcc_lo, 0, v3
	v_mov_b32_e32 v4, 0
	s_andn2_b32 s1, s1, exec_lo
	s_and_b32 s17, vcc_lo, exec_lo
	s_or_b32 s1, s1, s17
	s_or_b32 exec_lo, exec_lo, s12
	s_and_saveexec_b32 s12, s1
	s_cbranch_execnz .LBB34_179
	s_branch .LBB34_180
.LBB34_199:
	s_mov_b32 s14, -1
                                        ; implicit-def: $vgpr3
.LBB34_200:
	s_mov_b32 s12, 0
.LBB34_201:
	s_and_b32 vcc_lo, exec_lo, s12
	s_cbranch_vccz .LBB34_205
; %bb.202:
	s_cmp_eq_u32 s0, 11
	s_cbranch_scc0 .LBB34_204
; %bb.203:
	global_load_ubyte v3, v[0:1], off
	s_mov_b32 s14, 0
	s_mov_b32 s1, -1
	s_waitcnt vmcnt(0)
	v_cmp_ne_u16_e32 vcc_lo, 0, v3
	v_cndmask_b32_e64 v3, 0, 1.0, vcc_lo
	v_lshrrev_b32_e32 v3, 16, v3
	s_branch .LBB34_205
.LBB34_204:
	s_mov_b32 s14, -1
                                        ; implicit-def: $vgpr3
.LBB34_205:
	s_branch .LBB34_10
.LBB34_206:
	s_cmp_lt_i32 s0, 5
	s_cbranch_scc1 .LBB34_211
; %bb.207:
	s_cmp_lt_i32 s0, 8
	s_cbranch_scc1 .LBB34_212
; %bb.208:
	;; [unrolled: 3-line block ×3, first 2 shown]
	s_cmp_gt_i32 s0, 9
	s_cbranch_scc0 .LBB34_214
; %bb.210:
	global_load_dwordx2 v[3:4], v[0:1], off
	s_mov_b32 s1, 0
	s_waitcnt vmcnt(0)
	v_cvt_f32_f64_e32 v3, v[3:4]
	v_bfe_u32 v4, v3, 16, 1
	v_cmp_o_f32_e32 vcc_lo, v3, v3
	v_add3_u32 v3, v3, v4, 0x7fff
	v_mov_b32_e32 v4, 0x7fc0
	v_cndmask_b32_sdwa v3, v4, v3, vcc_lo dst_sel:DWORD dst_unused:UNUSED_PAD src0_sel:DWORD src1_sel:WORD_1
	s_branch .LBB34_215
.LBB34_211:
                                        ; implicit-def: $vgpr3
	s_branch .LBB34_233
.LBB34_212:
	s_mov_b32 s1, -1
                                        ; implicit-def: $vgpr3
	s_branch .LBB34_221
.LBB34_213:
	s_mov_b32 s1, -1
                                        ; implicit-def: $vgpr3
	s_branch .LBB34_218
.LBB34_214:
	s_mov_b32 s1, -1
                                        ; implicit-def: $vgpr3
.LBB34_215:
	s_andn2_b32 vcc_lo, exec_lo, s1
	s_cbranch_vccnz .LBB34_217
; %bb.216:
	global_load_dword v3, v[0:1], off
	s_waitcnt vmcnt(0)
	v_bfe_u32 v4, v3, 16, 1
	v_cmp_o_f32_e32 vcc_lo, v3, v3
	v_add3_u32 v3, v3, v4, 0x7fff
	v_mov_b32_e32 v4, 0x7fc0
	v_cndmask_b32_sdwa v3, v4, v3, vcc_lo dst_sel:DWORD dst_unused:UNUSED_PAD src0_sel:DWORD src1_sel:WORD_1
.LBB34_217:
	s_mov_b32 s1, 0
.LBB34_218:
	s_andn2_b32 vcc_lo, exec_lo, s1
	s_cbranch_vccnz .LBB34_220
; %bb.219:
	global_load_dword v3, v[0:1], off
	s_waitcnt vmcnt(0)
	v_cvt_f32_f16_e32 v4, v3
	v_cmp_o_f16_e32 vcc_lo, v3, v3
	v_bfe_u32 v5, v4, 16, 1
	v_add3_u32 v3, v4, v5, 0x7fff
	v_mov_b32_e32 v4, 0x7fc0
	v_cndmask_b32_sdwa v3, v4, v3, vcc_lo dst_sel:DWORD dst_unused:UNUSED_PAD src0_sel:DWORD src1_sel:WORD_1
.LBB34_220:
	s_mov_b32 s1, 0
.LBB34_221:
	s_andn2_b32 vcc_lo, exec_lo, s1
	s_cbranch_vccnz .LBB34_232
; %bb.222:
	s_cmp_lt_i32 s0, 6
	s_cbranch_scc1 .LBB34_225
; %bb.223:
	s_cmp_gt_i32 s0, 6
	s_cbranch_scc0 .LBB34_226
; %bb.224:
	global_load_dwordx2 v[3:4], v[0:1], off
	s_mov_b32 s1, 0
	s_waitcnt vmcnt(0)
	v_cvt_f32_f64_e32 v3, v[3:4]
	v_bfe_u32 v4, v3, 16, 1
	v_cmp_o_f32_e32 vcc_lo, v3, v3
	v_add3_u32 v3, v3, v4, 0x7fff
	v_mov_b32_e32 v4, 0x7fc0
	v_cndmask_b32_sdwa v3, v4, v3, vcc_lo dst_sel:DWORD dst_unused:UNUSED_PAD src0_sel:DWORD src1_sel:WORD_1
	s_branch .LBB34_227
.LBB34_225:
	s_mov_b32 s1, -1
                                        ; implicit-def: $vgpr3
	s_branch .LBB34_230
.LBB34_226:
	s_mov_b32 s1, -1
                                        ; implicit-def: $vgpr3
.LBB34_227:
	s_andn2_b32 vcc_lo, exec_lo, s1
	s_cbranch_vccnz .LBB34_229
; %bb.228:
	global_load_dword v3, v[0:1], off
	s_waitcnt vmcnt(0)
	v_bfe_u32 v4, v3, 16, 1
	v_cmp_o_f32_e32 vcc_lo, v3, v3
	v_add3_u32 v3, v3, v4, 0x7fff
	v_mov_b32_e32 v4, 0x7fc0
	v_cndmask_b32_sdwa v3, v4, v3, vcc_lo dst_sel:DWORD dst_unused:UNUSED_PAD src0_sel:DWORD src1_sel:WORD_1
.LBB34_229:
	s_mov_b32 s1, 0
.LBB34_230:
	s_andn2_b32 vcc_lo, exec_lo, s1
	s_cbranch_vccnz .LBB34_232
; %bb.231:
	global_load_ushort v3, v[0:1], off
	s_waitcnt vmcnt(0)
	v_cvt_f32_f16_e32 v4, v3
	v_cmp_o_f16_e32 vcc_lo, v3, v3
	v_bfe_u32 v5, v4, 16, 1
	v_add3_u32 v3, v4, v5, 0x7fff
	v_mov_b32_e32 v4, 0x7fc0
	v_cndmask_b32_sdwa v3, v4, v3, vcc_lo dst_sel:DWORD dst_unused:UNUSED_PAD src0_sel:DWORD src1_sel:WORD_1
.LBB34_232:
	s_cbranch_execnz .LBB34_252
.LBB34_233:
	s_cmp_lt_i32 s0, 2
	s_cbranch_scc1 .LBB34_237
; %bb.234:
	s_cmp_lt_i32 s0, 3
	s_cbranch_scc1 .LBB34_238
; %bb.235:
	s_cmp_gt_i32 s0, 3
	s_cbranch_scc0 .LBB34_239
; %bb.236:
	global_load_dwordx2 v[3:4], v[0:1], off
	s_mov_b32 s1, 0
	s_waitcnt vmcnt(0)
	v_xor_b32_e32 v5, v3, v4
	v_ffbh_i32_e32 v6, v4
	v_ashrrev_i32_e32 v5, 31, v5
	v_add_nc_u32_e32 v6, -1, v6
	v_add_nc_u32_e32 v5, 32, v5
	v_min_u32_e32 v5, v6, v5
	v_lshlrev_b64 v[3:4], v5, v[3:4]
	v_min_u32_e32 v3, 1, v3
	v_or_b32_e32 v3, v4, v3
	v_sub_nc_u32_e32 v4, 32, v5
	v_cvt_f32_i32_e32 v3, v3
	v_ldexp_f32 v3, v3, v4
	v_bfe_u32 v4, v3, 16, 1
	v_add3_u32 v3, v3, v4, 0x7fff
	v_lshrrev_b32_e32 v3, 16, v3
	s_branch .LBB34_240
.LBB34_237:
	s_mov_b32 s1, -1
                                        ; implicit-def: $vgpr3
	s_branch .LBB34_246
.LBB34_238:
	s_mov_b32 s1, -1
                                        ; implicit-def: $vgpr3
	s_branch .LBB34_243
.LBB34_239:
	s_mov_b32 s1, -1
                                        ; implicit-def: $vgpr3
.LBB34_240:
	s_andn2_b32 vcc_lo, exec_lo, s1
	s_cbranch_vccnz .LBB34_242
; %bb.241:
	global_load_dword v3, v[0:1], off
	s_waitcnt vmcnt(0)
	v_cvt_f32_i32_e32 v3, v3
	v_bfe_u32 v4, v3, 16, 1
	v_add3_u32 v3, v3, v4, 0x7fff
	v_lshrrev_b32_e32 v3, 16, v3
.LBB34_242:
	s_mov_b32 s1, 0
.LBB34_243:
	s_andn2_b32 vcc_lo, exec_lo, s1
	s_cbranch_vccnz .LBB34_245
; %bb.244:
	global_load_sshort v3, v[0:1], off
	s_waitcnt vmcnt(0)
	v_cvt_f32_i32_e32 v3, v3
	v_bfe_u32 v4, v3, 16, 1
	v_add3_u32 v3, v3, v4, 0x7fff
	v_lshrrev_b32_e32 v3, 16, v3
.LBB34_245:
	s_mov_b32 s1, 0
.LBB34_246:
	s_andn2_b32 vcc_lo, exec_lo, s1
	s_cbranch_vccnz .LBB34_252
; %bb.247:
	s_cmp_gt_i32 s0, 0
	s_mov_b32 s0, 0
	s_cbranch_scc0 .LBB34_249
; %bb.248:
	global_load_sbyte v3, v[0:1], off
	s_waitcnt vmcnt(0)
	v_cvt_f32_i32_e32 v3, v3
	v_bfe_u32 v4, v3, 16, 1
	v_add3_u32 v3, v3, v4, 0x7fff
	v_lshrrev_b32_e32 v3, 16, v3
	s_branch .LBB34_250
.LBB34_249:
	s_mov_b32 s0, -1
                                        ; implicit-def: $vgpr3
.LBB34_250:
	s_andn2_b32 vcc_lo, exec_lo, s0
	s_cbranch_vccnz .LBB34_252
; %bb.251:
	global_load_ubyte v0, v[0:1], off
	s_waitcnt vmcnt(0)
	v_cvt_f32_ubyte0_e32 v0, v0
	v_bfe_u32 v1, v0, 16, 1
	v_add3_u32 v0, v0, v1, 0x7fff
	v_lshrrev_b32_e32 v3, 16, v0
.LBB34_252:
	s_branch .LBB34_11
.LBB34_253:
	s_mov_b32 s0, 0
.LBB34_254:
	s_mov_b32 s1, 0
                                        ; implicit-def: $vgpr2
.LBB34_255:
	s_and_b32 s12, s0, exec_lo
	s_and_b32 s14, s14, exec_lo
	s_orn2_b32 s1, s1, exec_lo
.LBB34_256:
	s_or_b32 exec_lo, exec_lo, s15
	s_mov_b32 s17, 0
	s_mov_b32 s0, 0
                                        ; implicit-def: $vgpr0_vgpr1
                                        ; implicit-def: $vgpr4
	s_and_saveexec_b32 s15, s1
	s_cbranch_execz .LBB34_265
; %bb.257:
	s_mov_b32 s0, -1
	s_mov_b32 s16, s14
	s_mov_b32 s17, s12
	s_mov_b32 s18, exec_lo
	v_cmpx_gt_i32_e64 s13, v2
	s_cbranch_execz .LBB34_522
; %bb.258:
	v_mul_lo_u32 v0, v2, s3
	s_and_b32 s0, 0xffff, s6
	s_cmp_lt_i32 s0, 11
	v_ashrrev_i32_e32 v1, 31, v0
	v_add_co_u32 v0, vcc_lo, s10, v0
	v_add_co_ci_u32_e64 v1, null, s11, v1, vcc_lo
	s_cbranch_scc1 .LBB34_268
; %bb.259:
	s_cmp_gt_i32 s0, 25
	s_cbranch_scc0 .LBB34_321
; %bb.260:
	s_cmp_gt_i32 s0, 28
	s_cbranch_scc0 .LBB34_322
; %bb.261:
	s_cmp_gt_i32 s0, 43
	s_cbranch_scc0 .LBB34_324
; %bb.262:
	s_cmp_gt_i32 s0, 45
	s_cbranch_scc0 .LBB34_328
; %bb.263:
	s_cmp_eq_u32 s0, 46
	s_mov_b32 s17, 0
	s_cbranch_scc0 .LBB34_332
; %bb.264:
	global_load_dword v3, v[0:1], off
	s_mov_b32 s1, -1
	s_mov_b32 s16, 0
	s_branch .LBB34_334
.LBB34_265:
	s_or_b32 exec_lo, exec_lo, s15
	s_mov_b32 s13, 0
	s_and_saveexec_b32 s1, s14
	s_cbranch_execnz .LBB34_873
.LBB34_266:
	s_or_b32 exec_lo, exec_lo, s1
	s_and_saveexec_b32 s1, s16
	s_xor_b32 s1, exec_lo, s1
	s_cbranch_execz .LBB34_874
.LBB34_267:
	global_load_ubyte v3, v[0:1], off
	s_or_b32 s0, s0, exec_lo
	s_waitcnt vmcnt(0)
	v_cmp_ne_u16_e32 vcc_lo, 0, v3
	v_cndmask_b32_e64 v3, 0, 1.0, vcc_lo
	v_lshrrev_b32_e32 v4, 16, v3
	s_or_b32 exec_lo, exec_lo, s1
	s_and_saveexec_b32 s1, s17
	s_cbranch_execz .LBB34_920
	s_branch .LBB34_875
.LBB34_268:
	s_mov_b32 s1, 0
	s_mov_b32 s16, s14
                                        ; implicit-def: $vgpr3
	s_cbranch_execnz .LBB34_471
.LBB34_269:
	s_andn2_b32 vcc_lo, exec_lo, s1
	s_cbranch_vccnz .LBB34_519
.LBB34_270:
	s_waitcnt vmcnt(0)
	v_lshlrev_b32_e32 v0, 16, v3
                                        ; implicit-def: $vgpr4
                                        ; implicit-def: $vgpr3
	s_mov_b32 s1, exec_lo
	v_and_b32_e32 v1, 0x7fffffff, v0
	v_cmpx_ngt_f32_e64 0x48000000, |v0|
	s_xor_b32 s17, exec_lo, s1
	s_cbranch_execz .LBB34_272
; %bb.271:
	s_mov_b32 s0, 0x7fffff
	v_mov_b32_e32 v5, 0
	v_and_or_b32 v12, v1, s0, 0x800000
	v_lshrrev_b32_e32 v10, 23, v1
	v_mad_u64_u32 v[3:4], null, 0xfe5163ab, v12, 0
	v_add_nc_u32_e32 v11, 0xffffff88, v10
	v_cmp_lt_u32_e32 vcc_lo, 63, v11
	v_mad_u64_u32 v[6:7], null, 0x3c439041, v12, v[4:5]
	v_cndmask_b32_e64 v13, 0, 0xffffffc0, vcc_lo
	v_mov_b32_e32 v4, v7
	v_add_nc_u32_e32 v13, v13, v11
	v_mad_u64_u32 v[7:8], null, 0xdb629599, v12, v[4:5]
	v_cmp_lt_u32_e64 s0, 31, v13
	v_cndmask_b32_e64 v14, 0, 0xffffffe0, s0
	v_mov_b32_e32 v4, v8
	v_cndmask_b32_e32 v3, v7, v3, vcc_lo
	v_mad_u64_u32 v[8:9], null, 0xf534ddc0, v12, v[4:5]
	v_mov_b32_e32 v4, v9
	v_cndmask_b32_e32 v6, v8, v6, vcc_lo
	v_mad_u64_u32 v[9:10], null, 0xfc2757d1, v12, v[4:5]
	v_cndmask_b32_e64 v3, v6, v3, s0
	v_mov_b32_e32 v4, v10
	v_mad_u64_u32 v[10:11], null, 0x4e441529, v12, v[4:5]
	v_mov_b32_e32 v4, v11
	v_add_nc_u32_e32 v11, v14, v13
	v_cndmask_b32_e32 v13, v10, v8, vcc_lo
	v_mad_u64_u32 v[4:5], null, 0xa2f9836e, v12, v[4:5]
	v_cmp_lt_u32_e64 s1, 31, v11
	v_cndmask_b32_e64 v12, 0, 0xffffffe0, s1
	v_cndmask_b32_e32 v4, v4, v9, vcc_lo
	v_cndmask_b32_e32 v5, v5, v10, vcc_lo
	;; [unrolled: 1-line block ×3, first 2 shown]
	v_add_nc_u32_e32 v10, v12, v11
	v_cndmask_b32_e64 v8, v4, v13, s0
	v_cndmask_b32_e64 v4, v5, v4, s0
	;; [unrolled: 1-line block ×4, first 2 shown]
	v_sub_nc_u32_e32 v11, 32, v10
	v_cmp_eq_u32_e32 vcc_lo, 0, v10
	v_cndmask_b32_e64 v4, v4, v8, s1
	v_cndmask_b32_e64 v8, v8, v5, s1
	;; [unrolled: 1-line block ×4, first 2 shown]
	v_alignbit_b32 v12, v4, v8, v11
	v_alignbit_b32 v7, v8, v5, v11
	;; [unrolled: 1-line block ×3, first 2 shown]
	v_cndmask_b32_e32 v4, v12, v4, vcc_lo
	v_cndmask_b32_e32 v6, v7, v8, vcc_lo
	;; [unrolled: 1-line block ×3, first 2 shown]
	v_bfe_u32 v7, v4, 29, 1
	v_alignbit_b32 v8, v4, v6, 30
	v_alignbit_b32 v6, v6, v5, 30
	;; [unrolled: 1-line block ×3, first 2 shown]
	v_sub_nc_u32_e32 v9, 0, v7
	v_xor_b32_e32 v8, v8, v9
	v_xor_b32_e32 v5, v6, v9
	;; [unrolled: 1-line block ×3, first 2 shown]
	v_lshrrev_b32_e32 v9, 29, v4
	v_lshrrev_b32_e32 v4, 30, v4
	v_ffbh_u32_e32 v10, v8
	v_add_nc_u32_e32 v4, v7, v4
	v_min_u32_e32 v10, 32, v10
	v_sub_nc_u32_e32 v6, 31, v10
	v_lshlrev_b32_e32 v11, 23, v10
	v_alignbit_b32 v8, v8, v5, v6
	v_alignbit_b32 v3, v5, v3, v6
	v_lshlrev_b32_e32 v5, 31, v9
	v_alignbit_b32 v6, v8, v3, 9
	v_or_b32_e32 v9, 0.5, v5
	v_lshrrev_b32_e32 v8, 9, v8
	v_or_b32_e32 v5, 0x33000000, v5
	v_ffbh_u32_e32 v12, v6
	v_sub_nc_u32_e32 v9, v9, v11
	v_min_u32_e32 v11, 32, v12
	v_or_b32_e32 v8, v8, v9
	v_not_b32_e32 v9, v11
	v_mul_f32_e32 v12, 0x3fc90fda, v8
	v_add_lshl_u32 v10, v11, v10, 23
	v_alignbit_b32 v3, v6, v3, v9
	v_fma_f32 v6, 0x3fc90fda, v8, -v12
	v_sub_nc_u32_e32 v5, v5, v10
	v_lshrrev_b32_e32 v3, 9, v3
	v_fmamk_f32 v6, v8, 0x33a22168, v6
	v_or_b32_e32 v3, v5, v3
	v_fmac_f32_e32 v6, 0x3fc90fda, v3
	v_add_f32_e32 v3, v12, v6
.LBB34_272:
	s_andn2_saveexec_b32 s0, s17
; %bb.273:
	v_mul_f32_e64 v3, 0x3f22f983, |v0|
	v_rndne_f32_e32 v4, v3
	v_fma_f32 v3, 0xbfc90fda, v4, |v0|
	v_fmamk_f32 v3, v4, 0xb3a22168, v3
	v_fmamk_f32 v3, v4, 0xa7c234c4, v3
	v_cvt_i32_f32_e32 v4, v4
; %bb.274:
	s_or_b32 exec_lo, exec_lo, s0
	v_mul_f32_e32 v5, v3, v3
	s_mov_b32 s0, 0xb94c1982
	s_mov_b32 s1, 0x37d75334
	v_lshlrev_b32_e32 v8, 30, v4
	v_and_b32_e32 v4, 1, v4
	v_fmaak_f32 v6, s0, v5, 0x3c0881c4
	v_fmaak_f32 v7, s1, v5, 0xbab64f3b
	s_and_b32 s1, s4, 0xff
	v_and_b32_e32 v8, 0x80000000, v8
	v_cmp_eq_u32_e32 vcc_lo, 0, v4
	v_fmaak_f32 v6, v5, v6, 0xbe2aaa9d
	v_fmaak_f32 v7, v5, v7, 0x3d2aabf7
	s_mov_b32 s19, 0
	v_xor_b32_e32 v1, v1, v8
	s_mov_b32 s17, -1
	v_mul_f32_e32 v6, v5, v6
	v_fmaak_f32 v7, v5, v7, 0xbf000004
	s_cmp_lt_i32 s1, 11
	s_mov_b32 s0, s12
	v_fmac_f32_e32 v3, v3, v6
	v_fma_f32 v5, v5, v7, 1.0
	v_cndmask_b32_e32 v3, v5, v3, vcc_lo
	v_cmp_class_f32_e64 vcc_lo, v0, 0x1f8
	v_xor3_b32 v1, v1, v3, v0
	v_cndmask_b32_e32 v3, 0x7fc00000, v1, vcc_lo
	v_mul_lo_u32 v1, v2, s2
	v_bfe_u32 v0, v3, 16, 1
	v_ashrrev_i32_e32 v4, 31, v1
	v_add3_u32 v0, v3, v0, 0x7fff
	v_lshrrev_b32_e32 v5, 16, v0
	v_add_co_u32 v0, vcc_lo, s8, v1
	v_add_co_ci_u32_e64 v1, null, s9, v4, vcc_lo
	v_cmp_o_f32_e32 vcc_lo, v3, v3
	v_cndmask_b32_e32 v3, 0x7fc0, v5, vcc_lo
	s_cbranch_scc1 .LBB34_281
; %bb.275:
	s_and_b32 s17, 0xffff, s1
	s_cmp_gt_i32 s17, 25
	s_cbranch_scc0 .LBB34_323
; %bb.276:
	s_cmp_gt_i32 s17, 28
	s_cbranch_scc0 .LBB34_325
; %bb.277:
	;; [unrolled: 3-line block ×4, first 2 shown]
	s_mov_b32 s20, 0
	s_mov_b32 s0, -1
	s_cmp_eq_u32 s17, 46
	s_cbranch_scc0 .LBB34_338
; %bb.280:
	v_and_b32_e32 v4, 0xffff, v3
	s_mov_b32 s19, -1
	s_mov_b32 s0, 0
	global_store_dword v[0:1], v4, off
	s_branch .LBB34_338
.LBB34_281:
	s_and_b32 vcc_lo, exec_lo, s17
	s_cbranch_vccz .LBB34_407
; %bb.282:
	s_and_b32 s1, 0xffff, s1
	s_mov_b32 s17, -1
	s_cmp_lt_i32 s1, 5
	s_cbranch_scc1 .LBB34_303
; %bb.283:
	s_cmp_lt_i32 s1, 8
	s_cbranch_scc1 .LBB34_293
; %bb.284:
	;; [unrolled: 3-line block ×3, first 2 shown]
	s_cmp_gt_i32 s1, 9
	s_cbranch_scc0 .LBB34_287
; %bb.286:
	v_lshlrev_b32_e32 v4, 16, v3
	v_mov_b32_e32 v6, 0
	s_mov_b32 s17, 0
	v_cvt_f64_f32_e32 v[4:5], v4
	v_mov_b32_e32 v7, v6
	global_store_dwordx4 v[0:1], v[4:7], off
.LBB34_287:
	s_andn2_b32 vcc_lo, exec_lo, s17
	s_cbranch_vccnz .LBB34_289
; %bb.288:
	v_lshlrev_b32_e32 v4, 16, v3
	v_mov_b32_e32 v5, 0
	global_store_dwordx2 v[0:1], v[4:5], off
.LBB34_289:
	s_mov_b32 s17, 0
.LBB34_290:
	s_andn2_b32 vcc_lo, exec_lo, s17
	s_cbranch_vccnz .LBB34_292
; %bb.291:
	v_lshlrev_b32_e32 v4, 16, v3
	v_cvt_f16_f32_e32 v4, v4
	v_and_b32_e32 v4, 0xffff, v4
	global_store_dword v[0:1], v4, off
.LBB34_292:
	s_mov_b32 s17, 0
.LBB34_293:
	s_andn2_b32 vcc_lo, exec_lo, s17
	s_cbranch_vccnz .LBB34_302
; %bb.294:
	s_cmp_lt_i32 s1, 6
	s_mov_b32 s17, -1
	s_cbranch_scc1 .LBB34_300
; %bb.295:
	s_cmp_gt_i32 s1, 6
	s_cbranch_scc0 .LBB34_297
; %bb.296:
	v_lshlrev_b32_e32 v4, 16, v3
	s_mov_b32 s17, 0
	v_cvt_f64_f32_e32 v[4:5], v4
	global_store_dwordx2 v[0:1], v[4:5], off
.LBB34_297:
	s_andn2_b32 vcc_lo, exec_lo, s17
	s_cbranch_vccnz .LBB34_299
; %bb.298:
	v_lshlrev_b32_e32 v4, 16, v3
	global_store_dword v[0:1], v4, off
.LBB34_299:
	s_mov_b32 s17, 0
.LBB34_300:
	s_andn2_b32 vcc_lo, exec_lo, s17
	s_cbranch_vccnz .LBB34_302
; %bb.301:
	v_lshlrev_b32_e32 v4, 16, v3
	v_cvt_f16_f32_e32 v4, v4
	global_store_short v[0:1], v4, off
.LBB34_302:
	s_mov_b32 s17, 0
.LBB34_303:
	s_andn2_b32 vcc_lo, exec_lo, s17
	s_cbranch_vccnz .LBB34_319
; %bb.304:
	s_cmp_lt_i32 s1, 2
	s_mov_b32 s17, -1
	s_cbranch_scc1 .LBB34_314
; %bb.305:
	s_cmp_lt_i32 s1, 3
	s_cbranch_scc1 .LBB34_311
; %bb.306:
	s_cmp_gt_i32 s1, 3
	s_cbranch_scc0 .LBB34_308
; %bb.307:
	v_lshlrev_b32_e32 v4, 16, v3
	s_mov_b32 s17, 0
	v_trunc_f32_e32 v4, v4
	v_mul_f32_e64 v5, 0x2f800000, |v4|
	v_ashrrev_i32_e32 v7, 31, v4
	v_floor_f32_e32 v5, v5
	v_fma_f32 v6, 0xcf800000, v5, |v4|
	v_cvt_u32_f32_e32 v5, v5
	v_cvt_u32_f32_e32 v4, v6
	v_xor_b32_e32 v5, v5, v7
	v_xor_b32_e32 v4, v4, v7
	v_sub_co_u32 v4, vcc_lo, v4, v7
	v_sub_co_ci_u32_e64 v5, null, v5, v7, vcc_lo
	global_store_dwordx2 v[0:1], v[4:5], off
.LBB34_308:
	s_andn2_b32 vcc_lo, exec_lo, s17
	s_cbranch_vccnz .LBB34_310
; %bb.309:
	v_lshlrev_b32_e32 v4, 16, v3
	v_cvt_i32_f32_e32 v4, v4
	global_store_dword v[0:1], v4, off
.LBB34_310:
	s_mov_b32 s17, 0
.LBB34_311:
	s_andn2_b32 vcc_lo, exec_lo, s17
	s_cbranch_vccnz .LBB34_313
; %bb.312:
	v_lshlrev_b32_e32 v4, 16, v3
	v_cvt_i32_f32_e32 v4, v4
	global_store_short v[0:1], v4, off
.LBB34_313:
	s_mov_b32 s17, 0
.LBB34_314:
	s_andn2_b32 vcc_lo, exec_lo, s17
	s_cbranch_vccnz .LBB34_319
; %bb.315:
	v_lshlrev_b32_e32 v3, 16, v3
	s_cmp_gt_i32 s1, 0
	s_mov_b32 s1, -1
	s_cbranch_scc0 .LBB34_317
; %bb.316:
	v_cvt_i32_f32_e32 v4, v3
	s_mov_b32 s1, 0
	global_store_byte v[0:1], v4, off
.LBB34_317:
	s_andn2_b32 vcc_lo, exec_lo, s1
	s_cbranch_vccnz .LBB34_319
; %bb.318:
	v_trunc_f32_e32 v3, v3
	v_mul_f32_e64 v4, 0x2f800000, |v3|
	v_floor_f32_e32 v4, v4
	v_fma_f32 v4, 0xcf800000, v4, |v3|
	v_ashrrev_i32_e32 v3, 31, v3
	v_cvt_u32_f32_e32 v4, v4
	v_xor_b32_e32 v4, v4, v3
	v_sub_nc_u32_e32 v3, v4, v3
	global_store_byte v[0:1], v3, off
.LBB34_319:
	s_branch .LBB34_408
.LBB34_320:
	s_mov_b32 s1, 0
	s_branch .LBB34_520
.LBB34_321:
	s_mov_b32 s17, -1
	s_mov_b32 s1, 0
	s_mov_b32 s16, s14
                                        ; implicit-def: $vgpr3
	s_branch .LBB34_435
.LBB34_322:
	s_mov_b32 s17, -1
	s_mov_b32 s1, 0
	s_mov_b32 s16, s14
                                        ; implicit-def: $vgpr3
	s_branch .LBB34_416
.LBB34_323:
	s_mov_b32 s20, -1
	s_mov_b32 s0, s12
	s_branch .LBB34_365
.LBB34_324:
	s_mov_b32 s17, -1
	s_mov_b32 s1, 0
	s_mov_b32 s16, s14
                                        ; implicit-def: $vgpr3
	s_branch .LBB34_411
.LBB34_325:
	s_mov_b32 s20, -1
	s_mov_b32 s0, s12
	s_branch .LBB34_348
.LBB34_326:
	s_andn2_saveexec_b32 s19, s19
	s_cbranch_execz .LBB34_95
.LBB34_327:
	v_add_f32_e64 v5, 0x46000000, |v6|
	s_andn2_b32 s18, s18, exec_lo
	v_and_b32_e32 v5, 0xff, v5
	v_cmp_ne_u32_e32 vcc_lo, 0, v5
	s_and_b32 s20, vcc_lo, exec_lo
	s_or_b32 s18, s18, s20
	s_or_b32 exec_lo, exec_lo, s19
	v_mov_b32_e32 v7, 0
	s_and_saveexec_b32 s19, s18
	s_cbranch_execnz .LBB34_96
	s_branch .LBB34_97
.LBB34_328:
	s_mov_b32 s17, -1
	s_mov_b32 s1, 0
	s_mov_b32 s16, s14
	s_branch .LBB34_333
.LBB34_329:
	s_mov_b32 s20, -1
	s_mov_b32 s0, s12
	s_branch .LBB34_344
.LBB34_330:
	s_andn2_saveexec_b32 s19, s19
	s_cbranch_execz .LBB34_108
.LBB34_331:
	v_add_f32_e64 v5, 0x42800000, |v6|
	s_andn2_b32 s18, s18, exec_lo
	v_and_b32_e32 v5, 0xff, v5
	v_cmp_ne_u32_e32 vcc_lo, 0, v5
	s_and_b32 s20, vcc_lo, exec_lo
	s_or_b32 s18, s18, s20
	s_or_b32 exec_lo, exec_lo, s19
	v_mov_b32_e32 v7, 0
	s_and_saveexec_b32 s19, s18
	s_cbranch_execnz .LBB34_109
	s_branch .LBB34_110
.LBB34_332:
	s_mov_b32 s16, -1
	s_mov_b32 s1, 0
.LBB34_333:
                                        ; implicit-def: $vgpr3
.LBB34_334:
	s_and_b32 vcc_lo, exec_lo, s17
	s_cbranch_vccz .LBB34_410
; %bb.335:
	s_cmp_eq_u32 s0, 44
	s_cbranch_scc0 .LBB34_409
; %bb.336:
	global_load_ubyte v3, v[0:1], off
	s_mov_b32 s16, 0
	s_mov_b32 s1, -1
	s_waitcnt vmcnt(0)
	v_lshlrev_b32_e32 v4, 23, v3
	v_cmp_ne_u32_e32 vcc_lo, 0xff, v3
	v_cndmask_b32_e32 v4, 0x7f800001, v4, vcc_lo
	v_cmp_ne_u32_e32 vcc_lo, 0, v3
	v_cndmask_b32_e32 v3, 0x400000, v4, vcc_lo
	v_mov_b32_e32 v4, 0x7fc0
	v_cmp_o_f32_e32 vcc_lo, v3, v3
	v_add_nc_u32_e32 v3, 0x7fff, v3
	v_cndmask_b32_sdwa v3, v4, v3, vcc_lo dst_sel:DWORD dst_unused:UNUSED_PAD src0_sel:DWORD src1_sel:WORD_1
	s_branch .LBB34_410
.LBB34_337:
	s_mov_b32 s20, -1
	s_mov_b32 s0, s12
.LBB34_338:
	s_and_b32 vcc_lo, exec_lo, s20
	s_cbranch_vccz .LBB34_343
; %bb.339:
	s_cmp_eq_u32 s17, 44
	s_mov_b32 s0, -1
	s_cbranch_scc0 .LBB34_343
; %bb.340:
	v_and_b32_e32 v4, 0xffff, v3
	v_mov_b32_e32 v5, 0xff
	s_mov_b32 s19, exec_lo
	v_bfe_u32 v6, v4, 7, 8
	v_cmpx_ne_u32_e32 0xff, v6
	s_cbranch_execz .LBB34_342
; %bb.341:
	v_lshlrev_b32_e32 v5, 16, v4
	v_and_b32_e32 v7, 64, v4
	v_lshrrev_b32_e32 v4, 7, v4
	v_and_or_b32 v5, 0x3f0000, v5, v6
	v_cmp_ne_u32_e32 vcc_lo, 0, v7
	v_cmp_ne_u32_e64 s0, 0, v5
	s_and_b32 s0, vcc_lo, s0
	v_cndmask_b32_e64 v5, 0, 1, s0
	v_add_nc_u32_e32 v5, v4, v5
.LBB34_342:
	s_or_b32 exec_lo, exec_lo, s19
	s_mov_b32 s19, -1
	s_mov_b32 s0, 0
	global_store_byte v[0:1], v5, off
.LBB34_343:
	s_mov_b32 s20, 0
.LBB34_344:
	s_and_b32 vcc_lo, exec_lo, s20
	s_cbranch_vccz .LBB34_347
; %bb.345:
	s_cmp_eq_u32 s17, 29
	s_mov_b32 s0, -1
	s_cbranch_scc0 .LBB34_347
; %bb.346:
	v_lshlrev_b32_e32 v4, 16, v3
	s_mov_b32 s19, -1
	s_mov_b32 s0, 0
	s_mov_b32 s20, 0
	v_trunc_f32_e32 v4, v4
	v_mul_f32_e32 v5, 0x2f800000, v4
	v_floor_f32_e32 v5, v5
	v_fmamk_f32 v4, v5, 0xcf800000, v4
	v_cvt_u32_f32_e32 v5, v5
	v_cvt_u32_f32_e32 v4, v4
	global_store_dwordx2 v[0:1], v[4:5], off
	s_branch .LBB34_348
.LBB34_347:
	s_mov_b32 s20, 0
.LBB34_348:
	s_and_b32 vcc_lo, exec_lo, s20
	s_cbranch_vccz .LBB34_364
; %bb.349:
	s_cmp_lt_i32 s17, 27
	s_mov_b32 s19, -1
	s_cbranch_scc1 .LBB34_355
; %bb.350:
	s_cmp_gt_i32 s17, 27
	s_cbranch_scc0 .LBB34_352
; %bb.351:
	v_lshlrev_b32_e32 v4, 16, v3
	s_mov_b32 s19, 0
	v_cvt_u32_f32_e32 v4, v4
	global_store_dword v[0:1], v4, off
.LBB34_352:
	s_andn2_b32 vcc_lo, exec_lo, s19
	s_cbranch_vccnz .LBB34_354
; %bb.353:
	v_lshlrev_b32_e32 v4, 16, v3
	v_cvt_u32_f32_e32 v4, v4
	global_store_short v[0:1], v4, off
.LBB34_354:
	s_mov_b32 s19, 0
.LBB34_355:
	s_andn2_b32 vcc_lo, exec_lo, s19
	s_cbranch_vccnz .LBB34_363
; %bb.356:
	v_lshlrev_b32_e32 v6, 16, v3
	v_mov_b32_e32 v7, 0x80
	s_mov_b32 s19, exec_lo
	v_and_b32_e32 v5, 0x7fffffff, v6
	v_cmpx_gt_u32_e32 0x43800000, v5
	s_cbranch_execz .LBB34_362
; %bb.357:
	v_and_b32_e32 v4, 0xffff, v3
	v_cmp_lt_u32_e32 vcc_lo, 0x3bffffff, v5
	s_mov_b32 s20, 0
                                        ; implicit-def: $vgpr5
	s_and_saveexec_b32 s21, vcc_lo
	s_xor_b32 s21, exec_lo, s21
	s_cbranch_execz .LBB34_535
; %bb.358:
	v_bfe_u32 v5, v4, 4, 1
	s_mov_b32 s20, exec_lo
	v_add3_u32 v5, v6, v5, 0x487ffff
                                        ; implicit-def: $vgpr6
	v_lshrrev_b32_e32 v5, 20, v5
	s_andn2_saveexec_b32 s21, s21
	s_cbranch_execnz .LBB34_536
.LBB34_359:
	s_or_b32 exec_lo, exec_lo, s21
	v_mov_b32_e32 v7, 0
	s_and_saveexec_b32 s21, s20
.LBB34_360:
	v_lshrrev_b32_e32 v4, 8, v4
	v_and_or_b32 v7, 0x80, v4, v5
.LBB34_361:
	s_or_b32 exec_lo, exec_lo, s21
.LBB34_362:
	s_or_b32 exec_lo, exec_lo, s19
	global_store_byte v[0:1], v7, off
.LBB34_363:
	s_mov_b32 s19, -1
.LBB34_364:
	s_mov_b32 s20, 0
.LBB34_365:
	s_and_b32 vcc_lo, exec_lo, s20
	s_cbranch_vccz .LBB34_406
; %bb.366:
	s_cmp_gt_i32 s17, 22
	s_mov_b32 s20, -1
	s_cbranch_scc0 .LBB34_398
; %bb.367:
	s_cmp_lt_i32 s17, 24
	s_mov_b32 s19, -1
	s_cbranch_scc1 .LBB34_387
; %bb.368:
	s_cmp_gt_i32 s17, 24
	s_cbranch_scc0 .LBB34_376
; %bb.369:
	v_lshlrev_b32_e32 v6, 16, v3
	v_mov_b32_e32 v7, 0x80
	s_mov_b32 s19, exec_lo
	v_and_b32_e32 v5, 0x7fffffff, v6
	v_cmpx_gt_u32_e32 0x47800000, v5
	s_cbranch_execz .LBB34_375
; %bb.370:
	v_and_b32_e32 v4, 0xffff, v3
	v_cmp_lt_u32_e32 vcc_lo, 0x37ffffff, v5
	s_mov_b32 s20, 0
                                        ; implicit-def: $vgpr5
	s_and_saveexec_b32 s21, vcc_lo
	s_xor_b32 s21, exec_lo, s21
	s_cbranch_execz .LBB34_538
; %bb.371:
	v_bfe_u32 v5, v4, 5, 1
	s_mov_b32 s20, exec_lo
	v_add3_u32 v5, v6, v5, 0x88fffff
                                        ; implicit-def: $vgpr6
	v_lshrrev_b32_e32 v5, 21, v5
	s_andn2_saveexec_b32 s21, s21
	s_cbranch_execnz .LBB34_539
.LBB34_372:
	s_or_b32 exec_lo, exec_lo, s21
	v_mov_b32_e32 v7, 0
	s_and_saveexec_b32 s21, s20
.LBB34_373:
	v_lshrrev_b32_e32 v4, 8, v4
	v_and_or_b32 v7, 0x80, v4, v5
.LBB34_374:
	s_or_b32 exec_lo, exec_lo, s21
.LBB34_375:
	s_or_b32 exec_lo, exec_lo, s19
	s_mov_b32 s19, 0
	global_store_byte v[0:1], v7, off
.LBB34_376:
	s_and_b32 vcc_lo, exec_lo, s19
	s_cbranch_vccz .LBB34_386
; %bb.377:
	v_lshlrev_b32_e32 v6, 16, v3
	v_and_b32_e32 v4, 0xffff, v3
	s_mov_b32 s19, exec_lo
                                        ; implicit-def: $vgpr5
	v_and_b32_e32 v7, 0x7fffffff, v6
	v_cmpx_gt_u32_e32 0x43f00000, v7
	s_xor_b32 s19, exec_lo, s19
	s_cbranch_execz .LBB34_383
; %bb.378:
	s_mov_b32 s20, exec_lo
                                        ; implicit-def: $vgpr5
	v_cmpx_lt_u32_e32 0x3c7fffff, v7
	s_xor_b32 s20, exec_lo, s20
; %bb.379:
	v_bfe_u32 v5, v4, 4, 1
	v_add3_u32 v5, v6, v5, 0x407ffff
	v_and_b32_e32 v6, 0xff00000, v5
	v_lshrrev_b32_e32 v5, 20, v5
	v_cmp_ne_u32_e32 vcc_lo, 0x7f00000, v6
                                        ; implicit-def: $vgpr6
	v_cndmask_b32_e32 v5, 0x7e, v5, vcc_lo
; %bb.380:
	s_andn2_saveexec_b32 s20, s20
; %bb.381:
	v_add_f32_e64 v5, 0x46800000, |v6|
; %bb.382:
	s_or_b32 exec_lo, exec_lo, s20
                                        ; implicit-def: $vgpr7
.LBB34_383:
	s_andn2_saveexec_b32 s19, s19
; %bb.384:
	v_mov_b32_e32 v5, 0x7f
	v_cmp_lt_u32_e32 vcc_lo, 0x7f800000, v7
	v_cndmask_b32_e32 v5, 0x7e, v5, vcc_lo
; %bb.385:
	s_or_b32 exec_lo, exec_lo, s19
	v_lshrrev_b32_e32 v4, 8, v4
	v_and_or_b32 v4, 0x80, v4, v5
	global_store_byte v[0:1], v4, off
.LBB34_386:
	s_mov_b32 s19, 0
.LBB34_387:
	s_andn2_b32 vcc_lo, exec_lo, s19
	s_cbranch_vccnz .LBB34_397
; %bb.388:
	v_lshlrev_b32_e32 v6, 16, v3
	v_and_b32_e32 v4, 0xffff, v3
	s_mov_b32 s19, exec_lo
                                        ; implicit-def: $vgpr5
	v_and_b32_e32 v7, 0x7fffffff, v6
	v_cmpx_gt_u32_e32 0x47800000, v7
	s_xor_b32 s19, exec_lo, s19
	s_cbranch_execz .LBB34_394
; %bb.389:
	s_mov_b32 s20, exec_lo
                                        ; implicit-def: $vgpr5
	v_cmpx_lt_u32_e32 0x387fffff, v7
	s_xor_b32 s20, exec_lo, s20
; %bb.390:
	v_bfe_u32 v5, v4, 5, 1
	v_add3_u32 v5, v6, v5, 0x80fffff
                                        ; implicit-def: $vgpr6
	v_lshrrev_b32_e32 v5, 21, v5
; %bb.391:
	s_andn2_saveexec_b32 s20, s20
; %bb.392:
	v_add_f32_e64 v5, 0x43000000, |v6|
; %bb.393:
	s_or_b32 exec_lo, exec_lo, s20
                                        ; implicit-def: $vgpr7
.LBB34_394:
	s_andn2_saveexec_b32 s19, s19
; %bb.395:
	v_mov_b32_e32 v5, 0x7f
	v_cmp_lt_u32_e32 vcc_lo, 0x7f800000, v7
	v_cndmask_b32_e32 v5, 0x7c, v5, vcc_lo
; %bb.396:
	s_or_b32 exec_lo, exec_lo, s19
	v_lshrrev_b32_e32 v4, 8, v4
	v_and_or_b32 v4, 0x80, v4, v5
	global_store_byte v[0:1], v4, off
.LBB34_397:
	s_mov_b32 s20, 0
	s_mov_b32 s19, -1
.LBB34_398:
	s_andn2_b32 vcc_lo, exec_lo, s20
	s_cbranch_vccnz .LBB34_406
; %bb.399:
	s_cmp_gt_i32 s17, 14
	s_mov_b32 s20, -1
	s_cbranch_scc0 .LBB34_403
; %bb.400:
	s_cmp_eq_u32 s17, 15
	s_mov_b32 s0, -1
	s_cbranch_scc0 .LBB34_402
; %bb.401:
	s_mov_b32 s19, -1
	s_mov_b32 s0, 0
	global_store_short v[0:1], v3, off
.LBB34_402:
	s_mov_b32 s20, 0
.LBB34_403:
	s_and_b32 vcc_lo, exec_lo, s20
	s_cbranch_vccz .LBB34_406
; %bb.404:
	s_cmp_eq_u32 s17, 11
	s_mov_b32 s0, -1
	s_cbranch_scc0 .LBB34_406
; %bb.405:
	v_and_b32_e32 v4, 0x7fff, v3
	s_mov_b32 s0, 0
	s_mov_b32 s19, -1
	v_cmp_ne_u16_e32 vcc_lo, 0, v4
	v_cndmask_b32_e64 v4, 0, 1, vcc_lo
	global_store_byte v[0:1], v4, off
.LBB34_406:
.LBB34_407:
	s_andn2_b32 vcc_lo, exec_lo, s19
	s_cbranch_vccnz .LBB34_320
.LBB34_408:
	v_add_nc_u32_e32 v2, 0x80, v2
	s_mov_b32 s1, -1
	s_branch .LBB34_521
.LBB34_409:
	s_mov_b32 s16, -1
                                        ; implicit-def: $vgpr3
.LBB34_410:
	s_mov_b32 s17, 0
.LBB34_411:
	s_and_b32 vcc_lo, exec_lo, s17
	s_cbranch_vccz .LBB34_415
; %bb.412:
	s_cmp_eq_u32 s0, 29
	s_cbranch_scc0 .LBB34_414
; %bb.413:
	global_load_dwordx2 v[3:4], v[0:1], off
	s_mov_b32 s1, -1
	s_mov_b32 s16, 0
	s_mov_b32 s17, 0
	s_waitcnt vmcnt(0)
	v_ffbh_u32_e32 v5, v4
	v_min_u32_e32 v5, 32, v5
	v_lshlrev_b64 v[3:4], v5, v[3:4]
	v_min_u32_e32 v3, 1, v3
	v_or_b32_e32 v3, v4, v3
	v_sub_nc_u32_e32 v4, 32, v5
	v_cvt_f32_u32_e32 v3, v3
	v_ldexp_f32 v3, v3, v4
	v_bfe_u32 v4, v3, 16, 1
	v_add3_u32 v3, v3, v4, 0x7fff
	v_lshrrev_b32_e32 v3, 16, v3
	s_branch .LBB34_416
.LBB34_414:
	s_mov_b32 s16, -1
                                        ; implicit-def: $vgpr3
.LBB34_415:
	s_mov_b32 s17, 0
.LBB34_416:
	s_and_b32 vcc_lo, exec_lo, s17
	s_cbranch_vccz .LBB34_434
; %bb.417:
	s_cmp_lt_i32 s0, 27
	s_cbranch_scc1 .LBB34_420
; %bb.418:
	s_cmp_gt_i32 s0, 27
	s_cbranch_scc0 .LBB34_421
; %bb.419:
	global_load_dword v3, v[0:1], off
	s_mov_b32 s1, 0
	s_waitcnt vmcnt(0)
	v_cvt_f32_u32_e32 v3, v3
	v_bfe_u32 v4, v3, 16, 1
	v_add3_u32 v3, v3, v4, 0x7fff
	v_lshrrev_b32_e32 v3, 16, v3
	s_branch .LBB34_422
.LBB34_420:
	s_mov_b32 s1, -1
                                        ; implicit-def: $vgpr3
	s_branch .LBB34_425
.LBB34_421:
	s_mov_b32 s1, -1
                                        ; implicit-def: $vgpr3
.LBB34_422:
	s_andn2_b32 vcc_lo, exec_lo, s1
	s_cbranch_vccnz .LBB34_424
; %bb.423:
	global_load_ushort v3, v[0:1], off
	s_waitcnt vmcnt(0)
	v_cvt_f32_u32_e32 v3, v3
	v_bfe_u32 v4, v3, 16, 1
	v_add3_u32 v3, v3, v4, 0x7fff
	v_lshrrev_b32_e32 v3, 16, v3
.LBB34_424:
	s_mov_b32 s1, 0
.LBB34_425:
	s_andn2_b32 vcc_lo, exec_lo, s1
	s_cbranch_vccnz .LBB34_433
; %bb.426:
	global_load_ubyte v3, v[0:1], off
	s_mov_b32 s1, 0
	s_mov_b32 s17, exec_lo
	s_waitcnt vmcnt(0)
	v_cmpx_lt_i16_e32 0x7f, v3
	s_xor_b32 s17, exec_lo, s17
	s_cbranch_execz .LBB34_447
; %bb.427:
	s_mov_b32 s1, -1
	s_mov_b32 s19, exec_lo
	v_cmpx_eq_u16_e32 0x80, v3
; %bb.428:
	s_xor_b32 s1, exec_lo, -1
; %bb.429:
	s_or_b32 exec_lo, exec_lo, s19
	s_and_b32 s1, s1, exec_lo
	s_or_saveexec_b32 s17, s17
	v_mov_b32_e32 v4, 0x7f800001
	s_xor_b32 exec_lo, exec_lo, s17
	s_cbranch_execnz .LBB34_448
.LBB34_430:
	s_or_b32 exec_lo, exec_lo, s17
	s_and_saveexec_b32 s17, s1
	s_cbranch_execz .LBB34_432
.LBB34_431:
	v_and_b32_e32 v4, 0xffff, v3
	v_lshlrev_b32_e32 v3, 24, v3
	v_and_b32_e32 v5, 7, v4
	v_bfe_u32 v8, v4, 3, 4
	v_and_b32_e32 v3, 0x80000000, v3
	v_ffbh_u32_e32 v6, v5
	v_cmp_eq_u32_e32 vcc_lo, 0, v8
	v_min_u32_e32 v6, 32, v6
	v_subrev_nc_u32_e32 v7, 28, v6
	v_sub_nc_u32_e32 v6, 29, v6
	v_lshlrev_b32_e32 v4, v7, v4
	v_cndmask_b32_e32 v6, v8, v6, vcc_lo
	v_and_b32_e32 v4, 7, v4
	v_cndmask_b32_e32 v4, v5, v4, vcc_lo
	v_lshl_add_u32 v5, v6, 23, 0x3b800000
	v_lshlrev_b32_e32 v4, 20, v4
	v_or3_b32 v4, v3, v5, v4
.LBB34_432:
	s_or_b32 exec_lo, exec_lo, s17
	v_bfe_u32 v3, v4, 16, 1
	v_cmp_o_f32_e32 vcc_lo, v4, v4
	v_add3_u32 v3, v4, v3, 0x7fff
	v_mov_b32_e32 v4, 0x7fc0
	v_cndmask_b32_sdwa v3, v4, v3, vcc_lo dst_sel:DWORD dst_unused:UNUSED_PAD src0_sel:DWORD src1_sel:WORD_1
.LBB34_433:
	s_mov_b32 s1, -1
.LBB34_434:
	s_mov_b32 s17, 0
.LBB34_435:
	s_and_b32 vcc_lo, exec_lo, s17
	s_cbranch_vccz .LBB34_470
; %bb.436:
	s_cmp_gt_i32 s0, 22
	s_cbranch_scc0 .LBB34_446
; %bb.437:
	s_cmp_lt_i32 s0, 24
	s_cbranch_scc1 .LBB34_449
; %bb.438:
	s_cmp_gt_i32 s0, 24
	s_cbranch_scc0 .LBB34_450
; %bb.439:
	global_load_ubyte v3, v[0:1], off
	s_mov_b32 s1, 0
	s_mov_b32 s17, exec_lo
	s_waitcnt vmcnt(0)
	v_cmpx_lt_i16_e32 0x7f, v3
	s_xor_b32 s17, exec_lo, s17
	s_cbranch_execz .LBB34_462
; %bb.440:
	s_mov_b32 s1, -1
	s_mov_b32 s19, exec_lo
	v_cmpx_eq_u16_e32 0x80, v3
; %bb.441:
	s_xor_b32 s1, exec_lo, -1
; %bb.442:
	s_or_b32 exec_lo, exec_lo, s19
	s_and_b32 s1, s1, exec_lo
	s_or_saveexec_b32 s17, s17
	v_mov_b32_e32 v4, 0x7f800001
	s_xor_b32 exec_lo, exec_lo, s17
	s_cbranch_execnz .LBB34_463
.LBB34_443:
	s_or_b32 exec_lo, exec_lo, s17
	s_and_saveexec_b32 s17, s1
	s_cbranch_execz .LBB34_445
.LBB34_444:
	v_and_b32_e32 v4, 0xffff, v3
	v_lshlrev_b32_e32 v3, 24, v3
	v_and_b32_e32 v5, 3, v4
	v_bfe_u32 v8, v4, 2, 5
	v_and_b32_e32 v3, 0x80000000, v3
	v_ffbh_u32_e32 v6, v5
	v_cmp_eq_u32_e32 vcc_lo, 0, v8
	v_min_u32_e32 v6, 32, v6
	v_subrev_nc_u32_e32 v7, 29, v6
	v_sub_nc_u32_e32 v6, 30, v6
	v_lshlrev_b32_e32 v4, v7, v4
	v_cndmask_b32_e32 v6, v8, v6, vcc_lo
	v_and_b32_e32 v4, 3, v4
	v_cndmask_b32_e32 v4, v5, v4, vcc_lo
	v_lshl_add_u32 v5, v6, 23, 0x37800000
	v_lshlrev_b32_e32 v4, 21, v4
	v_or3_b32 v4, v3, v5, v4
.LBB34_445:
	s_or_b32 exec_lo, exec_lo, s17
	v_bfe_u32 v3, v4, 16, 1
	v_cmp_o_f32_e32 vcc_lo, v4, v4
	s_mov_b32 s1, 0
	v_add3_u32 v3, v4, v3, 0x7fff
	v_mov_b32_e32 v4, 0x7fc0
	v_cndmask_b32_sdwa v3, v4, v3, vcc_lo dst_sel:DWORD dst_unused:UNUSED_PAD src0_sel:DWORD src1_sel:WORD_1
	s_branch .LBB34_451
.LBB34_446:
	s_mov_b32 s17, -1
                                        ; implicit-def: $vgpr3
	s_branch .LBB34_457
.LBB34_447:
	s_or_saveexec_b32 s17, s17
	v_mov_b32_e32 v4, 0x7f800001
	s_xor_b32 exec_lo, exec_lo, s17
	s_cbranch_execz .LBB34_430
.LBB34_448:
	v_cmp_ne_u16_e32 vcc_lo, 0, v3
	v_mov_b32_e32 v4, 0
	s_andn2_b32 s1, s1, exec_lo
	s_and_b32 s19, vcc_lo, exec_lo
	s_or_b32 s1, s1, s19
	s_or_b32 exec_lo, exec_lo, s17
	s_and_saveexec_b32 s17, s1
	s_cbranch_execnz .LBB34_431
	s_branch .LBB34_432
.LBB34_449:
	s_mov_b32 s1, -1
                                        ; implicit-def: $vgpr3
	s_branch .LBB34_454
.LBB34_450:
	s_mov_b32 s1, -1
                                        ; implicit-def: $vgpr3
.LBB34_451:
	s_and_b32 vcc_lo, exec_lo, s1
	s_cbranch_vccz .LBB34_453
; %bb.452:
	global_load_ubyte v3, v[0:1], off
	s_waitcnt vmcnt(0)
	v_lshlrev_b32_e32 v3, 24, v3
	v_and_b32_e32 v4, 0x7f000000, v3
	v_ffbh_u32_e32 v5, v4
	v_add_nc_u32_e32 v7, 0x1000000, v4
	v_cmp_ne_u32_e32 vcc_lo, 0, v4
	v_min_u32_e32 v5, 32, v5
	v_sub_nc_u32_e64 v5, v5, 4 clamp
	v_lshlrev_b32_e32 v6, v5, v4
	v_lshlrev_b32_e32 v5, 23, v5
	v_lshrrev_b32_e32 v6, 4, v6
	v_sub_nc_u32_e32 v5, v6, v5
	v_ashrrev_i32_e32 v6, 8, v7
	v_add_nc_u32_e32 v5, 0x3c000000, v5
	v_and_or_b32 v5, 0x7f800000, v6, v5
	v_cndmask_b32_e32 v4, 0, v5, vcc_lo
	v_and_or_b32 v3, 0x80000000, v3, v4
	v_bfe_u32 v4, v4, 16, 1
	v_cmp_o_f32_e32 vcc_lo, v3, v3
	v_add3_u32 v3, v3, v4, 0x7fff
	v_mov_b32_e32 v4, 0x7fc0
	v_cndmask_b32_sdwa v3, v4, v3, vcc_lo dst_sel:DWORD dst_unused:UNUSED_PAD src0_sel:DWORD src1_sel:WORD_1
.LBB34_453:
	s_mov_b32 s1, 0
.LBB34_454:
	s_andn2_b32 vcc_lo, exec_lo, s1
	s_cbranch_vccnz .LBB34_456
; %bb.455:
	global_load_ubyte v3, v[0:1], off
	s_waitcnt vmcnt(0)
	v_lshlrev_b32_e32 v4, 25, v3
	v_lshlrev_b16 v3, 8, v3
	v_lshrrev_b32_e32 v5, 4, v4
	v_and_or_b32 v6, 0x7f00, v3, 0.5
	v_cmp_gt_u32_e32 vcc_lo, 0x8000000, v4
	v_bfe_i32 v3, v3, 0, 16
	v_or_b32_e32 v5, 0x70000000, v5
	v_add_f32_e32 v6, -0.5, v6
	v_mul_f32_e32 v5, 0x7800000, v5
	v_cndmask_b32_e32 v4, v5, v6, vcc_lo
	v_and_or_b32 v3, 0x80000000, v3, v4
	v_bfe_u32 v4, v4, 16, 1
	v_cmp_o_f32_e32 vcc_lo, v3, v3
	v_add3_u32 v3, v3, v4, 0x7fff
	v_mov_b32_e32 v4, 0x7fc0
	v_cndmask_b32_sdwa v3, v4, v3, vcc_lo dst_sel:DWORD dst_unused:UNUSED_PAD src0_sel:DWORD src1_sel:WORD_1
.LBB34_456:
	s_mov_b32 s17, 0
	s_mov_b32 s1, -1
.LBB34_457:
	s_andn2_b32 vcc_lo, exec_lo, s17
	s_cbranch_vccnz .LBB34_470
; %bb.458:
	s_cmp_gt_i32 s0, 14
	s_cbranch_scc0 .LBB34_461
; %bb.459:
	s_cmp_eq_u32 s0, 15
	s_cbranch_scc0 .LBB34_464
; %bb.460:
	global_load_ushort v3, v[0:1], off
	s_mov_b32 s1, -1
	s_mov_b32 s16, 0
	s_branch .LBB34_465
.LBB34_461:
	s_mov_b32 s17, -1
                                        ; implicit-def: $vgpr3
	s_branch .LBB34_466
.LBB34_462:
	s_or_saveexec_b32 s17, s17
	v_mov_b32_e32 v4, 0x7f800001
	s_xor_b32 exec_lo, exec_lo, s17
	s_cbranch_execz .LBB34_443
.LBB34_463:
	v_cmp_ne_u16_e32 vcc_lo, 0, v3
	v_mov_b32_e32 v4, 0
	s_andn2_b32 s1, s1, exec_lo
	s_and_b32 s19, vcc_lo, exec_lo
	s_or_b32 s1, s1, s19
	s_or_b32 exec_lo, exec_lo, s17
	s_and_saveexec_b32 s17, s1
	s_cbranch_execnz .LBB34_444
	s_branch .LBB34_445
.LBB34_464:
	s_mov_b32 s16, -1
                                        ; implicit-def: $vgpr3
.LBB34_465:
	s_mov_b32 s17, 0
.LBB34_466:
	s_and_b32 vcc_lo, exec_lo, s17
	s_cbranch_vccz .LBB34_470
; %bb.467:
	s_cmp_eq_u32 s0, 11
	s_cbranch_scc0 .LBB34_469
; %bb.468:
	global_load_ubyte v3, v[0:1], off
	s_mov_b32 s16, 0
	s_mov_b32 s1, -1
	s_waitcnt vmcnt(0)
	v_cmp_ne_u16_e32 vcc_lo, 0, v3
	v_cndmask_b32_e64 v3, 0, 1.0, vcc_lo
	v_lshrrev_b32_e32 v3, 16, v3
	s_branch .LBB34_470
.LBB34_469:
	s_mov_b32 s16, -1
                                        ; implicit-def: $vgpr3
.LBB34_470:
	s_branch .LBB34_269
.LBB34_471:
	s_cmp_lt_i32 s0, 5
	s_cbranch_scc1 .LBB34_476
; %bb.472:
	s_cmp_lt_i32 s0, 8
	s_cbranch_scc1 .LBB34_477
; %bb.473:
	;; [unrolled: 3-line block ×3, first 2 shown]
	s_cmp_gt_i32 s0, 9
	s_cbranch_scc0 .LBB34_479
; %bb.475:
	global_load_dwordx2 v[3:4], v[0:1], off
	s_mov_b32 s1, 0
	s_waitcnt vmcnt(0)
	v_cvt_f32_f64_e32 v3, v[3:4]
	v_bfe_u32 v4, v3, 16, 1
	v_cmp_o_f32_e32 vcc_lo, v3, v3
	v_add3_u32 v3, v3, v4, 0x7fff
	v_mov_b32_e32 v4, 0x7fc0
	v_cndmask_b32_sdwa v3, v4, v3, vcc_lo dst_sel:DWORD dst_unused:UNUSED_PAD src0_sel:DWORD src1_sel:WORD_1
	s_branch .LBB34_480
.LBB34_476:
	s_mov_b32 s1, -1
                                        ; implicit-def: $vgpr3
	s_branch .LBB34_498
.LBB34_477:
	s_mov_b32 s1, -1
                                        ; implicit-def: $vgpr3
	s_branch .LBB34_486
.LBB34_478:
	s_mov_b32 s1, -1
                                        ; implicit-def: $vgpr3
	s_branch .LBB34_483
.LBB34_479:
	s_mov_b32 s1, -1
                                        ; implicit-def: $vgpr3
.LBB34_480:
	s_andn2_b32 vcc_lo, exec_lo, s1
	s_cbranch_vccnz .LBB34_482
; %bb.481:
	global_load_dword v3, v[0:1], off
	s_waitcnt vmcnt(0)
	v_bfe_u32 v4, v3, 16, 1
	v_cmp_o_f32_e32 vcc_lo, v3, v3
	v_add3_u32 v3, v3, v4, 0x7fff
	v_mov_b32_e32 v4, 0x7fc0
	v_cndmask_b32_sdwa v3, v4, v3, vcc_lo dst_sel:DWORD dst_unused:UNUSED_PAD src0_sel:DWORD src1_sel:WORD_1
.LBB34_482:
	s_mov_b32 s1, 0
.LBB34_483:
	s_andn2_b32 vcc_lo, exec_lo, s1
	s_cbranch_vccnz .LBB34_485
; %bb.484:
	global_load_dword v3, v[0:1], off
	s_waitcnt vmcnt(0)
	v_cvt_f32_f16_e32 v4, v3
	v_cmp_o_f16_e32 vcc_lo, v3, v3
	v_bfe_u32 v5, v4, 16, 1
	v_add3_u32 v3, v4, v5, 0x7fff
	v_mov_b32_e32 v4, 0x7fc0
	v_cndmask_b32_sdwa v3, v4, v3, vcc_lo dst_sel:DWORD dst_unused:UNUSED_PAD src0_sel:DWORD src1_sel:WORD_1
.LBB34_485:
	s_mov_b32 s1, 0
.LBB34_486:
	s_andn2_b32 vcc_lo, exec_lo, s1
	s_cbranch_vccnz .LBB34_497
; %bb.487:
	s_cmp_lt_i32 s0, 6
	s_cbranch_scc1 .LBB34_490
; %bb.488:
	s_cmp_gt_i32 s0, 6
	s_cbranch_scc0 .LBB34_491
; %bb.489:
	global_load_dwordx2 v[3:4], v[0:1], off
	s_mov_b32 s1, 0
	s_waitcnt vmcnt(0)
	v_cvt_f32_f64_e32 v3, v[3:4]
	v_bfe_u32 v4, v3, 16, 1
	v_cmp_o_f32_e32 vcc_lo, v3, v3
	v_add3_u32 v3, v3, v4, 0x7fff
	v_mov_b32_e32 v4, 0x7fc0
	v_cndmask_b32_sdwa v3, v4, v3, vcc_lo dst_sel:DWORD dst_unused:UNUSED_PAD src0_sel:DWORD src1_sel:WORD_1
	s_branch .LBB34_492
.LBB34_490:
	s_mov_b32 s1, -1
                                        ; implicit-def: $vgpr3
	s_branch .LBB34_495
.LBB34_491:
	s_mov_b32 s1, -1
                                        ; implicit-def: $vgpr3
.LBB34_492:
	s_andn2_b32 vcc_lo, exec_lo, s1
	s_cbranch_vccnz .LBB34_494
; %bb.493:
	global_load_dword v3, v[0:1], off
	s_waitcnt vmcnt(0)
	v_bfe_u32 v4, v3, 16, 1
	v_cmp_o_f32_e32 vcc_lo, v3, v3
	v_add3_u32 v3, v3, v4, 0x7fff
	v_mov_b32_e32 v4, 0x7fc0
	v_cndmask_b32_sdwa v3, v4, v3, vcc_lo dst_sel:DWORD dst_unused:UNUSED_PAD src0_sel:DWORD src1_sel:WORD_1
.LBB34_494:
	s_mov_b32 s1, 0
.LBB34_495:
	s_andn2_b32 vcc_lo, exec_lo, s1
	s_cbranch_vccnz .LBB34_497
; %bb.496:
	global_load_ushort v3, v[0:1], off
	s_waitcnt vmcnt(0)
	v_cvt_f32_f16_e32 v4, v3
	v_cmp_o_f16_e32 vcc_lo, v3, v3
	v_bfe_u32 v5, v4, 16, 1
	v_add3_u32 v3, v4, v5, 0x7fff
	v_mov_b32_e32 v4, 0x7fc0
	v_cndmask_b32_sdwa v3, v4, v3, vcc_lo dst_sel:DWORD dst_unused:UNUSED_PAD src0_sel:DWORD src1_sel:WORD_1
.LBB34_497:
	s_mov_b32 s1, 0
.LBB34_498:
	s_andn2_b32 vcc_lo, exec_lo, s1
	s_cbranch_vccnz .LBB34_518
; %bb.499:
	s_cmp_lt_i32 s0, 2
	s_cbranch_scc1 .LBB34_503
; %bb.500:
	s_cmp_lt_i32 s0, 3
	s_cbranch_scc1 .LBB34_504
; %bb.501:
	s_cmp_gt_i32 s0, 3
	s_cbranch_scc0 .LBB34_505
; %bb.502:
	global_load_dwordx2 v[3:4], v[0:1], off
	s_mov_b32 s1, 0
	s_waitcnt vmcnt(0)
	v_xor_b32_e32 v5, v3, v4
	v_ffbh_i32_e32 v6, v4
	v_ashrrev_i32_e32 v5, 31, v5
	v_add_nc_u32_e32 v6, -1, v6
	v_add_nc_u32_e32 v5, 32, v5
	v_min_u32_e32 v5, v6, v5
	v_lshlrev_b64 v[3:4], v5, v[3:4]
	v_min_u32_e32 v3, 1, v3
	v_or_b32_e32 v3, v4, v3
	v_sub_nc_u32_e32 v4, 32, v5
	v_cvt_f32_i32_e32 v3, v3
	v_ldexp_f32 v3, v3, v4
	v_bfe_u32 v4, v3, 16, 1
	v_add3_u32 v3, v3, v4, 0x7fff
	v_lshrrev_b32_e32 v3, 16, v3
	s_branch .LBB34_506
.LBB34_503:
	s_mov_b32 s1, -1
                                        ; implicit-def: $vgpr3
	s_branch .LBB34_512
.LBB34_504:
	s_mov_b32 s1, -1
                                        ; implicit-def: $vgpr3
	s_branch .LBB34_509
.LBB34_505:
	s_mov_b32 s1, -1
                                        ; implicit-def: $vgpr3
.LBB34_506:
	s_andn2_b32 vcc_lo, exec_lo, s1
	s_cbranch_vccnz .LBB34_508
; %bb.507:
	global_load_dword v3, v[0:1], off
	s_waitcnt vmcnt(0)
	v_cvt_f32_i32_e32 v3, v3
	v_bfe_u32 v4, v3, 16, 1
	v_add3_u32 v3, v3, v4, 0x7fff
	v_lshrrev_b32_e32 v3, 16, v3
.LBB34_508:
	s_mov_b32 s1, 0
.LBB34_509:
	s_andn2_b32 vcc_lo, exec_lo, s1
	s_cbranch_vccnz .LBB34_511
; %bb.510:
	global_load_sshort v3, v[0:1], off
	s_waitcnt vmcnt(0)
	v_cvt_f32_i32_e32 v3, v3
	v_bfe_u32 v4, v3, 16, 1
	v_add3_u32 v3, v3, v4, 0x7fff
	v_lshrrev_b32_e32 v3, 16, v3
.LBB34_511:
	s_mov_b32 s1, 0
.LBB34_512:
	s_andn2_b32 vcc_lo, exec_lo, s1
	s_cbranch_vccnz .LBB34_518
; %bb.513:
	s_cmp_gt_i32 s0, 0
	s_mov_b32 s0, 0
	s_cbranch_scc0 .LBB34_515
; %bb.514:
	global_load_sbyte v3, v[0:1], off
	s_waitcnt vmcnt(0)
	v_cvt_f32_i32_e32 v3, v3
	v_bfe_u32 v4, v3, 16, 1
	v_add3_u32 v3, v3, v4, 0x7fff
	v_lshrrev_b32_e32 v3, 16, v3
	s_branch .LBB34_516
.LBB34_515:
	s_mov_b32 s0, -1
                                        ; implicit-def: $vgpr3
.LBB34_516:
	s_andn2_b32 vcc_lo, exec_lo, s0
	s_cbranch_vccnz .LBB34_518
; %bb.517:
	global_load_ubyte v0, v[0:1], off
	s_waitcnt vmcnt(0)
	v_cvt_f32_ubyte0_e32 v0, v0
	v_bfe_u32 v1, v0, 16, 1
	v_add3_u32 v0, v0, v1, 0x7fff
	v_lshrrev_b32_e32 v3, 16, v0
.LBB34_518:
	s_branch .LBB34_270
.LBB34_519:
	s_mov_b32 s1, 0
	s_mov_b32 s0, s12
.LBB34_520:
                                        ; implicit-def: $vgpr2
.LBB34_521:
	s_andn2_b32 s17, s12, exec_lo
	s_and_b32 s0, s0, exec_lo
	s_andn2_b32 s19, s14, exec_lo
	s_and_b32 s16, s16, exec_lo
	s_or_b32 s17, s17, s0
	s_or_b32 s16, s19, s16
	s_orn2_b32 s0, s1, exec_lo
.LBB34_522:
	s_or_b32 exec_lo, exec_lo, s18
	s_mov_b32 s1, 0
	s_mov_b32 s19, 0
	;; [unrolled: 1-line block ×3, first 2 shown]
                                        ; implicit-def: $vgpr0_vgpr1
                                        ; implicit-def: $vgpr4
	s_and_saveexec_b32 s18, s0
	s_cbranch_execz .LBB34_872
; %bb.523:
	s_mov_b32 s20, -1
	s_mov_b32 s0, s16
	s_mov_b32 s1, s17
	s_mov_b32 s19, exec_lo
	v_cmpx_gt_i32_e64 s13, v2
	s_cbranch_execz .LBB34_786
; %bb.524:
	v_mul_lo_u32 v0, v2, s3
	s_and_b32 s0, 0xffff, s6
	s_cmp_lt_i32 s0, 11
	v_ashrrev_i32_e32 v1, 31, v0
	v_add_co_u32 v0, vcc_lo, s10, v0
	v_add_co_ci_u32_e64 v1, null, s11, v1, vcc_lo
	s_cbranch_scc1 .LBB34_531
; %bb.525:
	s_cmp_gt_i32 s0, 25
	s_cbranch_scc0 .LBB34_532
; %bb.526:
	s_cmp_gt_i32 s0, 28
	s_cbranch_scc0 .LBB34_533
	;; [unrolled: 3-line block ×4, first 2 shown]
; %bb.529:
	s_cmp_eq_u32 s0, 46
	s_mov_b32 s21, 0
	s_cbranch_scc0 .LBB34_540
; %bb.530:
	global_load_dword v3, v[0:1], off
	s_mov_b32 s1, -1
	s_mov_b32 s20, 0
	s_branch .LBB34_542
.LBB34_531:
	s_mov_b32 s21, -1
	s_mov_b32 s1, 0
	s_mov_b32 s20, s16
                                        ; implicit-def: $vgpr3
	s_branch .LBB34_607
.LBB34_532:
	s_mov_b32 s21, -1
	s_mov_b32 s1, 0
	s_mov_b32 s20, s16
                                        ; implicit-def: $vgpr3
	s_branch .LBB34_571
.LBB34_533:
	s_mov_b32 s21, -1
	s_mov_b32 s1, 0
	s_mov_b32 s20, s16
                                        ; implicit-def: $vgpr3
	s_branch .LBB34_552
.LBB34_534:
	s_mov_b32 s21, -1
	s_mov_b32 s1, 0
	s_mov_b32 s20, s16
                                        ; implicit-def: $vgpr3
	s_branch .LBB34_547
.LBB34_535:
	s_andn2_saveexec_b32 s21, s21
	s_cbranch_execz .LBB34_359
.LBB34_536:
	v_add_f32_e64 v5, 0x46000000, |v6|
	s_andn2_b32 s20, s20, exec_lo
	v_and_b32_e32 v5, 0xff, v5
	v_cmp_ne_u32_e32 vcc_lo, 0, v5
	s_and_b32 s22, vcc_lo, exec_lo
	s_or_b32 s20, s20, s22
	s_or_b32 exec_lo, exec_lo, s21
	v_mov_b32_e32 v7, 0
	s_and_saveexec_b32 s21, s20
	s_cbranch_execnz .LBB34_360
	s_branch .LBB34_361
.LBB34_537:
	s_mov_b32 s21, -1
	s_mov_b32 s1, 0
	s_mov_b32 s20, s16
	s_branch .LBB34_541
.LBB34_538:
	s_andn2_saveexec_b32 s21, s21
	s_cbranch_execz .LBB34_372
.LBB34_539:
	v_add_f32_e64 v5, 0x42800000, |v6|
	s_andn2_b32 s20, s20, exec_lo
	v_and_b32_e32 v5, 0xff, v5
	v_cmp_ne_u32_e32 vcc_lo, 0, v5
	s_and_b32 s22, vcc_lo, exec_lo
	s_or_b32 s20, s20, s22
	s_or_b32 exec_lo, exec_lo, s21
	v_mov_b32_e32 v7, 0
	s_and_saveexec_b32 s21, s20
	s_cbranch_execnz .LBB34_373
	s_branch .LBB34_374
.LBB34_540:
	s_mov_b32 s1, 0
.LBB34_541:
                                        ; implicit-def: $vgpr3
.LBB34_542:
	s_and_b32 vcc_lo, exec_lo, s21
	s_cbranch_vccz .LBB34_546
; %bb.543:
	s_cmp_eq_u32 s0, 44
	s_cbranch_scc0 .LBB34_545
; %bb.544:
	global_load_ubyte v3, v[0:1], off
	s_mov_b32 s20, 0
	s_mov_b32 s1, -1
	s_waitcnt vmcnt(0)
	v_lshlrev_b32_e32 v4, 23, v3
	v_cmp_ne_u32_e32 vcc_lo, 0xff, v3
	v_cndmask_b32_e32 v4, 0x7f800001, v4, vcc_lo
	v_cmp_ne_u32_e32 vcc_lo, 0, v3
	v_cndmask_b32_e32 v3, 0x400000, v4, vcc_lo
	v_mov_b32_e32 v4, 0x7fc0
	v_cmp_o_f32_e32 vcc_lo, v3, v3
	v_add_nc_u32_e32 v3, 0x7fff, v3
	v_cndmask_b32_sdwa v3, v4, v3, vcc_lo dst_sel:DWORD dst_unused:UNUSED_PAD src0_sel:DWORD src1_sel:WORD_1
	s_branch .LBB34_546
.LBB34_545:
	s_mov_b32 s20, -1
                                        ; implicit-def: $vgpr3
.LBB34_546:
	s_mov_b32 s21, 0
.LBB34_547:
	s_and_b32 vcc_lo, exec_lo, s21
	s_cbranch_vccz .LBB34_551
; %bb.548:
	s_cmp_eq_u32 s0, 29
	s_cbranch_scc0 .LBB34_550
; %bb.549:
	global_load_dwordx2 v[3:4], v[0:1], off
	s_mov_b32 s1, -1
	s_mov_b32 s20, 0
	s_mov_b32 s21, 0
	s_waitcnt vmcnt(0)
	v_ffbh_u32_e32 v5, v4
	v_min_u32_e32 v5, 32, v5
	v_lshlrev_b64 v[3:4], v5, v[3:4]
	v_min_u32_e32 v3, 1, v3
	v_or_b32_e32 v3, v4, v3
	v_sub_nc_u32_e32 v4, 32, v5
	v_cvt_f32_u32_e32 v3, v3
	v_ldexp_f32 v3, v3, v4
	v_bfe_u32 v4, v3, 16, 1
	v_add3_u32 v3, v3, v4, 0x7fff
	v_lshrrev_b32_e32 v3, 16, v3
	s_branch .LBB34_552
.LBB34_550:
	s_mov_b32 s20, -1
                                        ; implicit-def: $vgpr3
.LBB34_551:
	s_mov_b32 s21, 0
.LBB34_552:
	s_and_b32 vcc_lo, exec_lo, s21
	s_cbranch_vccz .LBB34_570
; %bb.553:
	s_cmp_lt_i32 s0, 27
	s_cbranch_scc1 .LBB34_556
; %bb.554:
	s_cmp_gt_i32 s0, 27
	s_cbranch_scc0 .LBB34_557
; %bb.555:
	global_load_dword v3, v[0:1], off
	s_mov_b32 s1, 0
	s_waitcnt vmcnt(0)
	v_cvt_f32_u32_e32 v3, v3
	v_bfe_u32 v4, v3, 16, 1
	v_add3_u32 v3, v3, v4, 0x7fff
	v_lshrrev_b32_e32 v3, 16, v3
	s_branch .LBB34_558
.LBB34_556:
	s_mov_b32 s1, -1
                                        ; implicit-def: $vgpr3
	s_branch .LBB34_561
.LBB34_557:
	s_mov_b32 s1, -1
                                        ; implicit-def: $vgpr3
.LBB34_558:
	s_andn2_b32 vcc_lo, exec_lo, s1
	s_cbranch_vccnz .LBB34_560
; %bb.559:
	global_load_ushort v3, v[0:1], off
	s_waitcnt vmcnt(0)
	v_cvt_f32_u32_e32 v3, v3
	v_bfe_u32 v4, v3, 16, 1
	v_add3_u32 v3, v3, v4, 0x7fff
	v_lshrrev_b32_e32 v3, 16, v3
.LBB34_560:
	s_mov_b32 s1, 0
.LBB34_561:
	s_andn2_b32 vcc_lo, exec_lo, s1
	s_cbranch_vccnz .LBB34_569
; %bb.562:
	global_load_ubyte v3, v[0:1], off
	s_mov_b32 s1, 0
	s_mov_b32 s21, exec_lo
	s_waitcnt vmcnt(0)
	v_cmpx_lt_i16_e32 0x7f, v3
	s_xor_b32 s21, exec_lo, s21
	s_cbranch_execz .LBB34_583
; %bb.563:
	s_mov_b32 s1, -1
	s_mov_b32 s22, exec_lo
	v_cmpx_eq_u16_e32 0x80, v3
; %bb.564:
	s_xor_b32 s1, exec_lo, -1
; %bb.565:
	s_or_b32 exec_lo, exec_lo, s22
	s_and_b32 s1, s1, exec_lo
	s_or_saveexec_b32 s21, s21
	v_mov_b32_e32 v4, 0x7f800001
	s_xor_b32 exec_lo, exec_lo, s21
	s_cbranch_execnz .LBB34_584
.LBB34_566:
	s_or_b32 exec_lo, exec_lo, s21
	s_and_saveexec_b32 s21, s1
	s_cbranch_execz .LBB34_568
.LBB34_567:
	v_and_b32_e32 v4, 0xffff, v3
	v_lshlrev_b32_e32 v3, 24, v3
	v_and_b32_e32 v5, 7, v4
	v_bfe_u32 v8, v4, 3, 4
	v_and_b32_e32 v3, 0x80000000, v3
	v_ffbh_u32_e32 v6, v5
	v_cmp_eq_u32_e32 vcc_lo, 0, v8
	v_min_u32_e32 v6, 32, v6
	v_subrev_nc_u32_e32 v7, 28, v6
	v_sub_nc_u32_e32 v6, 29, v6
	v_lshlrev_b32_e32 v4, v7, v4
	v_cndmask_b32_e32 v6, v8, v6, vcc_lo
	v_and_b32_e32 v4, 7, v4
	v_cndmask_b32_e32 v4, v5, v4, vcc_lo
	v_lshl_add_u32 v5, v6, 23, 0x3b800000
	v_lshlrev_b32_e32 v4, 20, v4
	v_or3_b32 v4, v3, v5, v4
.LBB34_568:
	s_or_b32 exec_lo, exec_lo, s21
	v_bfe_u32 v3, v4, 16, 1
	v_cmp_o_f32_e32 vcc_lo, v4, v4
	v_add3_u32 v3, v4, v3, 0x7fff
	v_mov_b32_e32 v4, 0x7fc0
	v_cndmask_b32_sdwa v3, v4, v3, vcc_lo dst_sel:DWORD dst_unused:UNUSED_PAD src0_sel:DWORD src1_sel:WORD_1
.LBB34_569:
	s_mov_b32 s1, -1
.LBB34_570:
	s_mov_b32 s21, 0
.LBB34_571:
	s_and_b32 vcc_lo, exec_lo, s21
	s_cbranch_vccz .LBB34_606
; %bb.572:
	s_cmp_gt_i32 s0, 22
	s_cbranch_scc0 .LBB34_582
; %bb.573:
	s_cmp_lt_i32 s0, 24
	s_cbranch_scc1 .LBB34_585
; %bb.574:
	s_cmp_gt_i32 s0, 24
	s_cbranch_scc0 .LBB34_586
; %bb.575:
	global_load_ubyte v3, v[0:1], off
	s_mov_b32 s1, 0
	s_mov_b32 s21, exec_lo
	s_waitcnt vmcnt(0)
	v_cmpx_lt_i16_e32 0x7f, v3
	s_xor_b32 s21, exec_lo, s21
	s_cbranch_execz .LBB34_598
; %bb.576:
	s_mov_b32 s1, -1
	s_mov_b32 s22, exec_lo
	v_cmpx_eq_u16_e32 0x80, v3
; %bb.577:
	s_xor_b32 s1, exec_lo, -1
; %bb.578:
	s_or_b32 exec_lo, exec_lo, s22
	s_and_b32 s1, s1, exec_lo
	s_or_saveexec_b32 s21, s21
	v_mov_b32_e32 v4, 0x7f800001
	s_xor_b32 exec_lo, exec_lo, s21
	s_cbranch_execnz .LBB34_599
.LBB34_579:
	s_or_b32 exec_lo, exec_lo, s21
	s_and_saveexec_b32 s21, s1
	s_cbranch_execz .LBB34_581
.LBB34_580:
	v_and_b32_e32 v4, 0xffff, v3
	v_lshlrev_b32_e32 v3, 24, v3
	v_and_b32_e32 v5, 3, v4
	v_bfe_u32 v8, v4, 2, 5
	v_and_b32_e32 v3, 0x80000000, v3
	v_ffbh_u32_e32 v6, v5
	v_cmp_eq_u32_e32 vcc_lo, 0, v8
	v_min_u32_e32 v6, 32, v6
	v_subrev_nc_u32_e32 v7, 29, v6
	v_sub_nc_u32_e32 v6, 30, v6
	v_lshlrev_b32_e32 v4, v7, v4
	v_cndmask_b32_e32 v6, v8, v6, vcc_lo
	v_and_b32_e32 v4, 3, v4
	v_cndmask_b32_e32 v4, v5, v4, vcc_lo
	v_lshl_add_u32 v5, v6, 23, 0x37800000
	v_lshlrev_b32_e32 v4, 21, v4
	v_or3_b32 v4, v3, v5, v4
.LBB34_581:
	s_or_b32 exec_lo, exec_lo, s21
	v_bfe_u32 v3, v4, 16, 1
	v_cmp_o_f32_e32 vcc_lo, v4, v4
	s_mov_b32 s1, 0
	v_add3_u32 v3, v4, v3, 0x7fff
	v_mov_b32_e32 v4, 0x7fc0
	v_cndmask_b32_sdwa v3, v4, v3, vcc_lo dst_sel:DWORD dst_unused:UNUSED_PAD src0_sel:DWORD src1_sel:WORD_1
	s_branch .LBB34_587
.LBB34_582:
	s_mov_b32 s21, -1
                                        ; implicit-def: $vgpr3
	s_branch .LBB34_593
.LBB34_583:
	s_or_saveexec_b32 s21, s21
	v_mov_b32_e32 v4, 0x7f800001
	s_xor_b32 exec_lo, exec_lo, s21
	s_cbranch_execz .LBB34_566
.LBB34_584:
	v_cmp_ne_u16_e32 vcc_lo, 0, v3
	v_mov_b32_e32 v4, 0
	s_andn2_b32 s1, s1, exec_lo
	s_and_b32 s22, vcc_lo, exec_lo
	s_or_b32 s1, s1, s22
	s_or_b32 exec_lo, exec_lo, s21
	s_and_saveexec_b32 s21, s1
	s_cbranch_execnz .LBB34_567
	s_branch .LBB34_568
.LBB34_585:
	s_mov_b32 s1, -1
                                        ; implicit-def: $vgpr3
	s_branch .LBB34_590
.LBB34_586:
	s_mov_b32 s1, -1
                                        ; implicit-def: $vgpr3
.LBB34_587:
	s_and_b32 vcc_lo, exec_lo, s1
	s_cbranch_vccz .LBB34_589
; %bb.588:
	global_load_ubyte v3, v[0:1], off
	s_waitcnt vmcnt(0)
	v_lshlrev_b32_e32 v3, 24, v3
	v_and_b32_e32 v4, 0x7f000000, v3
	v_ffbh_u32_e32 v5, v4
	v_add_nc_u32_e32 v7, 0x1000000, v4
	v_cmp_ne_u32_e32 vcc_lo, 0, v4
	v_min_u32_e32 v5, 32, v5
	v_sub_nc_u32_e64 v5, v5, 4 clamp
	v_lshlrev_b32_e32 v6, v5, v4
	v_lshlrev_b32_e32 v5, 23, v5
	v_lshrrev_b32_e32 v6, 4, v6
	v_sub_nc_u32_e32 v5, v6, v5
	v_ashrrev_i32_e32 v6, 8, v7
	v_add_nc_u32_e32 v5, 0x3c000000, v5
	v_and_or_b32 v5, 0x7f800000, v6, v5
	v_cndmask_b32_e32 v4, 0, v5, vcc_lo
	v_and_or_b32 v3, 0x80000000, v3, v4
	v_bfe_u32 v4, v4, 16, 1
	v_cmp_o_f32_e32 vcc_lo, v3, v3
	v_add3_u32 v3, v3, v4, 0x7fff
	v_mov_b32_e32 v4, 0x7fc0
	v_cndmask_b32_sdwa v3, v4, v3, vcc_lo dst_sel:DWORD dst_unused:UNUSED_PAD src0_sel:DWORD src1_sel:WORD_1
.LBB34_589:
	s_mov_b32 s1, 0
.LBB34_590:
	s_andn2_b32 vcc_lo, exec_lo, s1
	s_cbranch_vccnz .LBB34_592
; %bb.591:
	global_load_ubyte v3, v[0:1], off
	s_waitcnt vmcnt(0)
	v_lshlrev_b32_e32 v4, 25, v3
	v_lshlrev_b16 v3, 8, v3
	v_lshrrev_b32_e32 v5, 4, v4
	v_and_or_b32 v6, 0x7f00, v3, 0.5
	v_cmp_gt_u32_e32 vcc_lo, 0x8000000, v4
	v_bfe_i32 v3, v3, 0, 16
	v_or_b32_e32 v5, 0x70000000, v5
	v_add_f32_e32 v6, -0.5, v6
	v_mul_f32_e32 v5, 0x7800000, v5
	v_cndmask_b32_e32 v4, v5, v6, vcc_lo
	v_and_or_b32 v3, 0x80000000, v3, v4
	v_bfe_u32 v4, v4, 16, 1
	v_cmp_o_f32_e32 vcc_lo, v3, v3
	v_add3_u32 v3, v3, v4, 0x7fff
	v_mov_b32_e32 v4, 0x7fc0
	v_cndmask_b32_sdwa v3, v4, v3, vcc_lo dst_sel:DWORD dst_unused:UNUSED_PAD src0_sel:DWORD src1_sel:WORD_1
.LBB34_592:
	s_mov_b32 s21, 0
	s_mov_b32 s1, -1
.LBB34_593:
	s_andn2_b32 vcc_lo, exec_lo, s21
	s_cbranch_vccnz .LBB34_606
; %bb.594:
	s_cmp_gt_i32 s0, 14
	s_cbranch_scc0 .LBB34_597
; %bb.595:
	s_cmp_eq_u32 s0, 15
	s_cbranch_scc0 .LBB34_600
; %bb.596:
	global_load_ushort v3, v[0:1], off
	s_mov_b32 s1, -1
	s_mov_b32 s20, 0
	s_branch .LBB34_601
.LBB34_597:
	s_mov_b32 s21, -1
                                        ; implicit-def: $vgpr3
	s_branch .LBB34_602
.LBB34_598:
	s_or_saveexec_b32 s21, s21
	v_mov_b32_e32 v4, 0x7f800001
	s_xor_b32 exec_lo, exec_lo, s21
	s_cbranch_execz .LBB34_579
.LBB34_599:
	v_cmp_ne_u16_e32 vcc_lo, 0, v3
	v_mov_b32_e32 v4, 0
	s_andn2_b32 s1, s1, exec_lo
	s_and_b32 s22, vcc_lo, exec_lo
	s_or_b32 s1, s1, s22
	s_or_b32 exec_lo, exec_lo, s21
	s_and_saveexec_b32 s21, s1
	s_cbranch_execnz .LBB34_580
	s_branch .LBB34_581
.LBB34_600:
	s_mov_b32 s20, -1
                                        ; implicit-def: $vgpr3
.LBB34_601:
	s_mov_b32 s21, 0
.LBB34_602:
	s_and_b32 vcc_lo, exec_lo, s21
	s_cbranch_vccz .LBB34_606
; %bb.603:
	s_cmp_eq_u32 s0, 11
	s_cbranch_scc0 .LBB34_605
; %bb.604:
	global_load_ubyte v3, v[0:1], off
	s_mov_b32 s20, 0
	s_mov_b32 s1, -1
	s_waitcnt vmcnt(0)
	v_cmp_ne_u16_e32 vcc_lo, 0, v3
	v_cndmask_b32_e64 v3, 0, 1.0, vcc_lo
	v_lshrrev_b32_e32 v3, 16, v3
	s_branch .LBB34_606
.LBB34_605:
	s_mov_b32 s20, -1
                                        ; implicit-def: $vgpr3
.LBB34_606:
	s_mov_b32 s21, 0
.LBB34_607:
	s_and_b32 vcc_lo, exec_lo, s21
	s_cbranch_vccz .LBB34_656
; %bb.608:
	s_cmp_lt_i32 s0, 5
	s_cbranch_scc1 .LBB34_613
; %bb.609:
	s_cmp_lt_i32 s0, 8
	s_cbranch_scc1 .LBB34_614
	;; [unrolled: 3-line block ×3, first 2 shown]
; %bb.611:
	s_cmp_gt_i32 s0, 9
	s_cbranch_scc0 .LBB34_616
; %bb.612:
	global_load_dwordx2 v[3:4], v[0:1], off
	s_mov_b32 s1, 0
	s_waitcnt vmcnt(0)
	v_cvt_f32_f64_e32 v3, v[3:4]
	v_bfe_u32 v4, v3, 16, 1
	v_cmp_o_f32_e32 vcc_lo, v3, v3
	v_add3_u32 v3, v3, v4, 0x7fff
	v_mov_b32_e32 v4, 0x7fc0
	v_cndmask_b32_sdwa v3, v4, v3, vcc_lo dst_sel:DWORD dst_unused:UNUSED_PAD src0_sel:DWORD src1_sel:WORD_1
	s_branch .LBB34_617
.LBB34_613:
	s_mov_b32 s1, -1
                                        ; implicit-def: $vgpr3
	s_branch .LBB34_635
.LBB34_614:
	s_mov_b32 s1, -1
                                        ; implicit-def: $vgpr3
	s_branch .LBB34_623
.LBB34_615:
	s_mov_b32 s1, -1
                                        ; implicit-def: $vgpr3
	s_branch .LBB34_620
.LBB34_616:
	s_mov_b32 s1, -1
                                        ; implicit-def: $vgpr3
.LBB34_617:
	s_andn2_b32 vcc_lo, exec_lo, s1
	s_cbranch_vccnz .LBB34_619
; %bb.618:
	global_load_dword v3, v[0:1], off
	s_waitcnt vmcnt(0)
	v_bfe_u32 v4, v3, 16, 1
	v_cmp_o_f32_e32 vcc_lo, v3, v3
	v_add3_u32 v3, v3, v4, 0x7fff
	v_mov_b32_e32 v4, 0x7fc0
	v_cndmask_b32_sdwa v3, v4, v3, vcc_lo dst_sel:DWORD dst_unused:UNUSED_PAD src0_sel:DWORD src1_sel:WORD_1
.LBB34_619:
	s_mov_b32 s1, 0
.LBB34_620:
	s_andn2_b32 vcc_lo, exec_lo, s1
	s_cbranch_vccnz .LBB34_622
; %bb.621:
	global_load_dword v3, v[0:1], off
	s_waitcnt vmcnt(0)
	v_cvt_f32_f16_e32 v4, v3
	v_cmp_o_f16_e32 vcc_lo, v3, v3
	v_bfe_u32 v5, v4, 16, 1
	v_add3_u32 v3, v4, v5, 0x7fff
	v_mov_b32_e32 v4, 0x7fc0
	v_cndmask_b32_sdwa v3, v4, v3, vcc_lo dst_sel:DWORD dst_unused:UNUSED_PAD src0_sel:DWORD src1_sel:WORD_1
.LBB34_622:
	s_mov_b32 s1, 0
.LBB34_623:
	s_andn2_b32 vcc_lo, exec_lo, s1
	s_cbranch_vccnz .LBB34_634
; %bb.624:
	s_cmp_lt_i32 s0, 6
	s_cbranch_scc1 .LBB34_627
; %bb.625:
	s_cmp_gt_i32 s0, 6
	s_cbranch_scc0 .LBB34_628
; %bb.626:
	global_load_dwordx2 v[3:4], v[0:1], off
	s_mov_b32 s1, 0
	s_waitcnt vmcnt(0)
	v_cvt_f32_f64_e32 v3, v[3:4]
	v_bfe_u32 v4, v3, 16, 1
	v_cmp_o_f32_e32 vcc_lo, v3, v3
	v_add3_u32 v3, v3, v4, 0x7fff
	v_mov_b32_e32 v4, 0x7fc0
	v_cndmask_b32_sdwa v3, v4, v3, vcc_lo dst_sel:DWORD dst_unused:UNUSED_PAD src0_sel:DWORD src1_sel:WORD_1
	s_branch .LBB34_629
.LBB34_627:
	s_mov_b32 s1, -1
                                        ; implicit-def: $vgpr3
	s_branch .LBB34_632
.LBB34_628:
	s_mov_b32 s1, -1
                                        ; implicit-def: $vgpr3
.LBB34_629:
	s_andn2_b32 vcc_lo, exec_lo, s1
	s_cbranch_vccnz .LBB34_631
; %bb.630:
	global_load_dword v3, v[0:1], off
	s_waitcnt vmcnt(0)
	v_bfe_u32 v4, v3, 16, 1
	v_cmp_o_f32_e32 vcc_lo, v3, v3
	v_add3_u32 v3, v3, v4, 0x7fff
	v_mov_b32_e32 v4, 0x7fc0
	v_cndmask_b32_sdwa v3, v4, v3, vcc_lo dst_sel:DWORD dst_unused:UNUSED_PAD src0_sel:DWORD src1_sel:WORD_1
.LBB34_631:
	s_mov_b32 s1, 0
.LBB34_632:
	s_andn2_b32 vcc_lo, exec_lo, s1
	s_cbranch_vccnz .LBB34_634
; %bb.633:
	global_load_ushort v3, v[0:1], off
	s_waitcnt vmcnt(0)
	v_cvt_f32_f16_e32 v4, v3
	v_cmp_o_f16_e32 vcc_lo, v3, v3
	v_bfe_u32 v5, v4, 16, 1
	v_add3_u32 v3, v4, v5, 0x7fff
	v_mov_b32_e32 v4, 0x7fc0
	v_cndmask_b32_sdwa v3, v4, v3, vcc_lo dst_sel:DWORD dst_unused:UNUSED_PAD src0_sel:DWORD src1_sel:WORD_1
.LBB34_634:
	s_mov_b32 s1, 0
.LBB34_635:
	s_andn2_b32 vcc_lo, exec_lo, s1
	s_cbranch_vccnz .LBB34_655
; %bb.636:
	s_cmp_lt_i32 s0, 2
	s_cbranch_scc1 .LBB34_640
; %bb.637:
	s_cmp_lt_i32 s0, 3
	s_cbranch_scc1 .LBB34_641
; %bb.638:
	s_cmp_gt_i32 s0, 3
	s_cbranch_scc0 .LBB34_642
; %bb.639:
	global_load_dwordx2 v[3:4], v[0:1], off
	s_mov_b32 s1, 0
	s_waitcnt vmcnt(0)
	v_xor_b32_e32 v5, v3, v4
	v_ffbh_i32_e32 v6, v4
	v_ashrrev_i32_e32 v5, 31, v5
	v_add_nc_u32_e32 v6, -1, v6
	v_add_nc_u32_e32 v5, 32, v5
	v_min_u32_e32 v5, v6, v5
	v_lshlrev_b64 v[3:4], v5, v[3:4]
	v_min_u32_e32 v3, 1, v3
	v_or_b32_e32 v3, v4, v3
	v_sub_nc_u32_e32 v4, 32, v5
	v_cvt_f32_i32_e32 v3, v3
	v_ldexp_f32 v3, v3, v4
	v_bfe_u32 v4, v3, 16, 1
	v_add3_u32 v3, v3, v4, 0x7fff
	v_lshrrev_b32_e32 v3, 16, v3
	s_branch .LBB34_643
.LBB34_640:
	s_mov_b32 s1, -1
                                        ; implicit-def: $vgpr3
	s_branch .LBB34_649
.LBB34_641:
	s_mov_b32 s1, -1
                                        ; implicit-def: $vgpr3
	s_branch .LBB34_646
.LBB34_642:
	s_mov_b32 s1, -1
                                        ; implicit-def: $vgpr3
.LBB34_643:
	s_andn2_b32 vcc_lo, exec_lo, s1
	s_cbranch_vccnz .LBB34_645
; %bb.644:
	global_load_dword v3, v[0:1], off
	s_waitcnt vmcnt(0)
	v_cvt_f32_i32_e32 v3, v3
	v_bfe_u32 v4, v3, 16, 1
	v_add3_u32 v3, v3, v4, 0x7fff
	v_lshrrev_b32_e32 v3, 16, v3
.LBB34_645:
	s_mov_b32 s1, 0
.LBB34_646:
	s_andn2_b32 vcc_lo, exec_lo, s1
	s_cbranch_vccnz .LBB34_648
; %bb.647:
	global_load_sshort v3, v[0:1], off
	s_waitcnt vmcnt(0)
	v_cvt_f32_i32_e32 v3, v3
	v_bfe_u32 v4, v3, 16, 1
	v_add3_u32 v3, v3, v4, 0x7fff
	v_lshrrev_b32_e32 v3, 16, v3
.LBB34_648:
	s_mov_b32 s1, 0
.LBB34_649:
	s_andn2_b32 vcc_lo, exec_lo, s1
	s_cbranch_vccnz .LBB34_655
; %bb.650:
	s_cmp_gt_i32 s0, 0
	s_mov_b32 s0, 0
	s_cbranch_scc0 .LBB34_652
; %bb.651:
	global_load_sbyte v3, v[0:1], off
	s_waitcnt vmcnt(0)
	v_cvt_f32_i32_e32 v3, v3
	v_bfe_u32 v4, v3, 16, 1
	v_add3_u32 v3, v3, v4, 0x7fff
	v_lshrrev_b32_e32 v3, 16, v3
	s_branch .LBB34_653
.LBB34_652:
	s_mov_b32 s0, -1
                                        ; implicit-def: $vgpr3
.LBB34_653:
	s_andn2_b32 vcc_lo, exec_lo, s0
	s_cbranch_vccnz .LBB34_655
; %bb.654:
	global_load_ubyte v0, v[0:1], off
	s_waitcnt vmcnt(0)
	v_cvt_f32_ubyte0_e32 v0, v0
	v_bfe_u32 v1, v0, 16, 1
	v_add3_u32 v0, v0, v1, 0x7fff
	v_lshrrev_b32_e32 v3, 16, v0
.LBB34_655:
	s_mov_b32 s1, -1
.LBB34_656:
	s_andn2_b32 vcc_lo, exec_lo, s1
	s_cbranch_vccnz .LBB34_668
; %bb.657:
	s_waitcnt vmcnt(0)
	v_lshlrev_b32_e32 v0, 16, v3
                                        ; implicit-def: $vgpr4
                                        ; implicit-def: $vgpr3
	s_mov_b32 s1, exec_lo
	v_and_b32_e32 v1, 0x7fffffff, v0
	v_cmpx_ngt_f32_e64 0x48000000, |v0|
	s_xor_b32 s21, exec_lo, s1
	s_cbranch_execz .LBB34_659
; %bb.658:
	s_mov_b32 s0, 0x7fffff
	v_mov_b32_e32 v5, 0
	v_and_or_b32 v12, v1, s0, 0x800000
	v_lshrrev_b32_e32 v10, 23, v1
	v_mad_u64_u32 v[3:4], null, 0xfe5163ab, v12, 0
	v_add_nc_u32_e32 v11, 0xffffff88, v10
	v_cmp_lt_u32_e32 vcc_lo, 63, v11
	v_mad_u64_u32 v[6:7], null, 0x3c439041, v12, v[4:5]
	v_cndmask_b32_e64 v13, 0, 0xffffffc0, vcc_lo
	v_mov_b32_e32 v4, v7
	v_add_nc_u32_e32 v13, v13, v11
	v_mad_u64_u32 v[7:8], null, 0xdb629599, v12, v[4:5]
	v_cmp_lt_u32_e64 s0, 31, v13
	v_cndmask_b32_e64 v14, 0, 0xffffffe0, s0
	v_mov_b32_e32 v4, v8
	v_cndmask_b32_e32 v3, v7, v3, vcc_lo
	v_mad_u64_u32 v[8:9], null, 0xf534ddc0, v12, v[4:5]
	v_mov_b32_e32 v4, v9
	v_cndmask_b32_e32 v6, v8, v6, vcc_lo
	v_mad_u64_u32 v[9:10], null, 0xfc2757d1, v12, v[4:5]
	v_cndmask_b32_e64 v3, v6, v3, s0
	v_mov_b32_e32 v4, v10
	v_mad_u64_u32 v[10:11], null, 0x4e441529, v12, v[4:5]
	v_mov_b32_e32 v4, v11
	v_add_nc_u32_e32 v11, v14, v13
	v_cndmask_b32_e32 v13, v10, v8, vcc_lo
	v_mad_u64_u32 v[4:5], null, 0xa2f9836e, v12, v[4:5]
	v_cmp_lt_u32_e64 s1, 31, v11
	v_cndmask_b32_e64 v12, 0, 0xffffffe0, s1
	v_cndmask_b32_e32 v4, v4, v9, vcc_lo
	v_cndmask_b32_e32 v5, v5, v10, vcc_lo
	;; [unrolled: 1-line block ×3, first 2 shown]
	v_add_nc_u32_e32 v10, v12, v11
	v_cndmask_b32_e64 v8, v4, v13, s0
	v_cndmask_b32_e64 v4, v5, v4, s0
	;; [unrolled: 1-line block ×4, first 2 shown]
	v_sub_nc_u32_e32 v11, 32, v10
	v_cmp_eq_u32_e32 vcc_lo, 0, v10
	v_cndmask_b32_e64 v4, v4, v8, s1
	v_cndmask_b32_e64 v8, v8, v5, s1
	;; [unrolled: 1-line block ×4, first 2 shown]
	v_alignbit_b32 v12, v4, v8, v11
	v_alignbit_b32 v7, v8, v5, v11
	;; [unrolled: 1-line block ×3, first 2 shown]
	v_cndmask_b32_e32 v4, v12, v4, vcc_lo
	v_cndmask_b32_e32 v6, v7, v8, vcc_lo
	;; [unrolled: 1-line block ×3, first 2 shown]
	v_bfe_u32 v7, v4, 29, 1
	v_alignbit_b32 v8, v4, v6, 30
	v_alignbit_b32 v6, v6, v5, 30
	;; [unrolled: 1-line block ×3, first 2 shown]
	v_sub_nc_u32_e32 v9, 0, v7
	v_xor_b32_e32 v8, v8, v9
	v_xor_b32_e32 v5, v6, v9
	;; [unrolled: 1-line block ×3, first 2 shown]
	v_lshrrev_b32_e32 v9, 29, v4
	v_lshrrev_b32_e32 v4, 30, v4
	v_ffbh_u32_e32 v10, v8
	v_add_nc_u32_e32 v4, v7, v4
	v_min_u32_e32 v10, 32, v10
	v_sub_nc_u32_e32 v6, 31, v10
	v_lshlrev_b32_e32 v11, 23, v10
	v_alignbit_b32 v8, v8, v5, v6
	v_alignbit_b32 v3, v5, v3, v6
	v_lshlrev_b32_e32 v5, 31, v9
	v_alignbit_b32 v6, v8, v3, 9
	v_or_b32_e32 v9, 0.5, v5
	v_lshrrev_b32_e32 v8, 9, v8
	v_or_b32_e32 v5, 0x33000000, v5
	v_ffbh_u32_e32 v12, v6
	v_sub_nc_u32_e32 v9, v9, v11
	v_min_u32_e32 v11, 32, v12
	v_or_b32_e32 v8, v8, v9
	v_not_b32_e32 v9, v11
	v_mul_f32_e32 v12, 0x3fc90fda, v8
	v_add_lshl_u32 v10, v11, v10, 23
	v_alignbit_b32 v3, v6, v3, v9
	v_fma_f32 v6, 0x3fc90fda, v8, -v12
	v_sub_nc_u32_e32 v5, v5, v10
	v_lshrrev_b32_e32 v3, 9, v3
	v_fmamk_f32 v6, v8, 0x33a22168, v6
	v_or_b32_e32 v3, v5, v3
	v_fmac_f32_e32 v6, 0x3fc90fda, v3
	v_add_f32_e32 v3, v12, v6
.LBB34_659:
	s_andn2_saveexec_b32 s0, s21
; %bb.660:
	v_mul_f32_e64 v3, 0x3f22f983, |v0|
	v_rndne_f32_e32 v4, v3
	v_fma_f32 v3, 0xbfc90fda, v4, |v0|
	v_fmamk_f32 v3, v4, 0xb3a22168, v3
	v_fmamk_f32 v3, v4, 0xa7c234c4, v3
	v_cvt_i32_f32_e32 v4, v4
; %bb.661:
	s_or_b32 exec_lo, exec_lo, s0
	v_mul_f32_e32 v5, v3, v3
	s_mov_b32 s0, 0xb94c1982
	s_mov_b32 s1, 0x37d75334
	v_lshlrev_b32_e32 v8, 30, v4
	v_and_b32_e32 v4, 1, v4
	v_fmaak_f32 v6, s0, v5, 0x3c0881c4
	v_fmaak_f32 v7, s1, v5, 0xbab64f3b
	s_and_b32 s1, s4, 0xff
	v_and_b32_e32 v8, 0x80000000, v8
	v_cmp_eq_u32_e32 vcc_lo, 0, v4
	v_fmaak_f32 v6, v5, v6, 0xbe2aaa9d
	v_fmaak_f32 v7, v5, v7, 0x3d2aabf7
	s_mov_b32 s22, 0
	v_xor_b32_e32 v1, v1, v8
	s_mov_b32 s21, -1
	v_mul_f32_e32 v6, v5, v6
	v_fmaak_f32 v7, v5, v7, 0xbf000004
	s_cmp_lt_i32 s1, 11
	s_mov_b32 s0, s17
	v_fmac_f32_e32 v3, v3, v6
	v_fma_f32 v5, v5, v7, 1.0
	v_cndmask_b32_e32 v3, v5, v3, vcc_lo
	v_cmp_class_f32_e64 vcc_lo, v0, 0x1f8
	v_xor3_b32 v1, v1, v3, v0
	v_cndmask_b32_e32 v3, 0x7fc00000, v1, vcc_lo
	v_mul_lo_u32 v1, v2, s2
	v_bfe_u32 v0, v3, 16, 1
	v_ashrrev_i32_e32 v4, 31, v1
	v_add3_u32 v0, v3, v0, 0x7fff
	v_lshrrev_b32_e32 v5, 16, v0
	v_add_co_u32 v0, vcc_lo, s8, v1
	v_add_co_ci_u32_e64 v1, null, s9, v4, vcc_lo
	v_cmp_o_f32_e32 vcc_lo, v3, v3
	v_cndmask_b32_e32 v3, 0x7fc0, v5, vcc_lo
	s_cbranch_scc1 .LBB34_669
; %bb.662:
	s_and_b32 s21, 0xffff, s1
	s_cmp_gt_i32 s21, 25
	s_cbranch_scc0 .LBB34_710
; %bb.663:
	s_cmp_gt_i32 s21, 28
	s_cbranch_scc0 .LBB34_711
; %bb.664:
	;; [unrolled: 3-line block ×4, first 2 shown]
	s_mov_b32 s23, 0
	s_mov_b32 s0, -1
	s_cmp_eq_u32 s21, 46
	s_cbranch_scc0 .LBB34_714
; %bb.667:
	v_and_b32_e32 v4, 0xffff, v3
	s_mov_b32 s22, -1
	s_mov_b32 s0, 0
	global_store_dword v[0:1], v4, off
	s_branch .LBB34_714
.LBB34_668:
	s_mov_b32 s21, 0
	s_mov_b32 s0, s17
	s_branch .LBB34_709
.LBB34_669:
	s_and_b32 vcc_lo, exec_lo, s21
	s_cbranch_vccz .LBB34_783
; %bb.670:
	s_and_b32 s1, 0xffff, s1
	s_mov_b32 s21, -1
	s_cmp_lt_i32 s1, 5
	s_cbranch_scc1 .LBB34_691
; %bb.671:
	s_cmp_lt_i32 s1, 8
	s_cbranch_scc1 .LBB34_681
; %bb.672:
	s_cmp_lt_i32 s1, 9
	s_cbranch_scc1 .LBB34_678
; %bb.673:
	s_cmp_gt_i32 s1, 9
	s_cbranch_scc0 .LBB34_675
; %bb.674:
	v_lshlrev_b32_e32 v4, 16, v3
	v_mov_b32_e32 v6, 0
	s_mov_b32 s21, 0
	v_cvt_f64_f32_e32 v[4:5], v4
	v_mov_b32_e32 v7, v6
	global_store_dwordx4 v[0:1], v[4:7], off
.LBB34_675:
	s_andn2_b32 vcc_lo, exec_lo, s21
	s_cbranch_vccnz .LBB34_677
; %bb.676:
	v_lshlrev_b32_e32 v4, 16, v3
	v_mov_b32_e32 v5, 0
	global_store_dwordx2 v[0:1], v[4:5], off
.LBB34_677:
	s_mov_b32 s21, 0
.LBB34_678:
	s_andn2_b32 vcc_lo, exec_lo, s21
	s_cbranch_vccnz .LBB34_680
; %bb.679:
	v_lshlrev_b32_e32 v4, 16, v3
	v_cvt_f16_f32_e32 v4, v4
	v_and_b32_e32 v4, 0xffff, v4
	global_store_dword v[0:1], v4, off
.LBB34_680:
	s_mov_b32 s21, 0
.LBB34_681:
	s_andn2_b32 vcc_lo, exec_lo, s21
	s_cbranch_vccnz .LBB34_690
; %bb.682:
	s_cmp_lt_i32 s1, 6
	s_mov_b32 s21, -1
	s_cbranch_scc1 .LBB34_688
; %bb.683:
	s_cmp_gt_i32 s1, 6
	s_cbranch_scc0 .LBB34_685
; %bb.684:
	v_lshlrev_b32_e32 v4, 16, v3
	s_mov_b32 s21, 0
	v_cvt_f64_f32_e32 v[4:5], v4
	global_store_dwordx2 v[0:1], v[4:5], off
.LBB34_685:
	s_andn2_b32 vcc_lo, exec_lo, s21
	s_cbranch_vccnz .LBB34_687
; %bb.686:
	v_lshlrev_b32_e32 v4, 16, v3
	global_store_dword v[0:1], v4, off
.LBB34_687:
	s_mov_b32 s21, 0
.LBB34_688:
	s_andn2_b32 vcc_lo, exec_lo, s21
	s_cbranch_vccnz .LBB34_690
; %bb.689:
	v_lshlrev_b32_e32 v4, 16, v3
	v_cvt_f16_f32_e32 v4, v4
	global_store_short v[0:1], v4, off
.LBB34_690:
	s_mov_b32 s21, 0
.LBB34_691:
	s_andn2_b32 vcc_lo, exec_lo, s21
	s_cbranch_vccnz .LBB34_707
; %bb.692:
	s_cmp_lt_i32 s1, 2
	s_mov_b32 s21, -1
	s_cbranch_scc1 .LBB34_702
; %bb.693:
	s_cmp_lt_i32 s1, 3
	s_cbranch_scc1 .LBB34_699
; %bb.694:
	s_cmp_gt_i32 s1, 3
	s_cbranch_scc0 .LBB34_696
; %bb.695:
	v_lshlrev_b32_e32 v4, 16, v3
	s_mov_b32 s21, 0
	v_trunc_f32_e32 v4, v4
	v_mul_f32_e64 v5, 0x2f800000, |v4|
	v_ashrrev_i32_e32 v7, 31, v4
	v_floor_f32_e32 v5, v5
	v_fma_f32 v6, 0xcf800000, v5, |v4|
	v_cvt_u32_f32_e32 v5, v5
	v_cvt_u32_f32_e32 v4, v6
	v_xor_b32_e32 v5, v5, v7
	v_xor_b32_e32 v4, v4, v7
	v_sub_co_u32 v4, vcc_lo, v4, v7
	v_sub_co_ci_u32_e64 v5, null, v5, v7, vcc_lo
	global_store_dwordx2 v[0:1], v[4:5], off
.LBB34_696:
	s_andn2_b32 vcc_lo, exec_lo, s21
	s_cbranch_vccnz .LBB34_698
; %bb.697:
	v_lshlrev_b32_e32 v4, 16, v3
	v_cvt_i32_f32_e32 v4, v4
	global_store_dword v[0:1], v4, off
.LBB34_698:
	s_mov_b32 s21, 0
.LBB34_699:
	s_andn2_b32 vcc_lo, exec_lo, s21
	s_cbranch_vccnz .LBB34_701
; %bb.700:
	v_lshlrev_b32_e32 v4, 16, v3
	v_cvt_i32_f32_e32 v4, v4
	global_store_short v[0:1], v4, off
.LBB34_701:
	s_mov_b32 s21, 0
.LBB34_702:
	s_andn2_b32 vcc_lo, exec_lo, s21
	s_cbranch_vccnz .LBB34_707
; %bb.703:
	v_lshlrev_b32_e32 v3, 16, v3
	s_cmp_gt_i32 s1, 0
	s_mov_b32 s1, -1
	s_cbranch_scc0 .LBB34_705
; %bb.704:
	v_cvt_i32_f32_e32 v4, v3
	s_mov_b32 s1, 0
	global_store_byte v[0:1], v4, off
.LBB34_705:
	s_andn2_b32 vcc_lo, exec_lo, s1
	s_cbranch_vccnz .LBB34_707
; %bb.706:
	v_trunc_f32_e32 v3, v3
	v_mul_f32_e64 v4, 0x2f800000, |v3|
	v_floor_f32_e32 v4, v4
	v_fma_f32 v4, 0xcf800000, v4, |v3|
	v_ashrrev_i32_e32 v3, 31, v3
	v_cvt_u32_f32_e32 v4, v4
	v_xor_b32_e32 v4, v4, v3
	v_sub_nc_u32_e32 v3, v4, v3
	global_store_byte v[0:1], v3, off
.LBB34_707:
	s_branch .LBB34_784
.LBB34_708:
	s_mov_b32 s21, 0
.LBB34_709:
                                        ; implicit-def: $vgpr2
	s_branch .LBB34_785
.LBB34_710:
	s_mov_b32 s23, -1
	s_mov_b32 s0, s17
	s_branch .LBB34_741
.LBB34_711:
	s_mov_b32 s23, -1
	s_mov_b32 s0, s17
	s_branch .LBB34_724
.LBB34_712:
	s_mov_b32 s23, -1
	s_mov_b32 s0, s17
	s_branch .LBB34_720
.LBB34_713:
	s_mov_b32 s23, -1
	s_mov_b32 s0, s17
.LBB34_714:
	s_and_b32 vcc_lo, exec_lo, s23
	s_cbranch_vccz .LBB34_719
; %bb.715:
	s_cmp_eq_u32 s21, 44
	s_mov_b32 s0, -1
	s_cbranch_scc0 .LBB34_719
; %bb.716:
	v_and_b32_e32 v4, 0xffff, v3
	v_mov_b32_e32 v5, 0xff
	s_mov_b32 s22, exec_lo
	v_bfe_u32 v6, v4, 7, 8
	v_cmpx_ne_u32_e32 0xff, v6
	s_cbranch_execz .LBB34_718
; %bb.717:
	v_lshlrev_b32_e32 v5, 16, v4
	v_and_b32_e32 v7, 64, v4
	v_lshrrev_b32_e32 v4, 7, v4
	v_and_or_b32 v5, 0x3f0000, v5, v6
	v_cmp_ne_u32_e32 vcc_lo, 0, v7
	v_cmp_ne_u32_e64 s0, 0, v5
	s_and_b32 s0, vcc_lo, s0
	v_cndmask_b32_e64 v5, 0, 1, s0
	v_add_nc_u32_e32 v5, v4, v5
.LBB34_718:
	s_or_b32 exec_lo, exec_lo, s22
	s_mov_b32 s22, -1
	s_mov_b32 s0, 0
	global_store_byte v[0:1], v5, off
.LBB34_719:
	s_mov_b32 s23, 0
.LBB34_720:
	s_and_b32 vcc_lo, exec_lo, s23
	s_cbranch_vccz .LBB34_723
; %bb.721:
	s_cmp_eq_u32 s21, 29
	s_mov_b32 s0, -1
	s_cbranch_scc0 .LBB34_723
; %bb.722:
	v_lshlrev_b32_e32 v4, 16, v3
	s_mov_b32 s22, -1
	s_mov_b32 s0, 0
	s_mov_b32 s23, 0
	v_trunc_f32_e32 v4, v4
	v_mul_f32_e32 v5, 0x2f800000, v4
	v_floor_f32_e32 v5, v5
	v_fmamk_f32 v4, v5, 0xcf800000, v4
	v_cvt_u32_f32_e32 v5, v5
	v_cvt_u32_f32_e32 v4, v4
	global_store_dwordx2 v[0:1], v[4:5], off
	s_branch .LBB34_724
.LBB34_723:
	s_mov_b32 s23, 0
.LBB34_724:
	s_and_b32 vcc_lo, exec_lo, s23
	s_cbranch_vccz .LBB34_740
; %bb.725:
	s_cmp_lt_i32 s21, 27
	s_mov_b32 s22, -1
	s_cbranch_scc1 .LBB34_731
; %bb.726:
	s_cmp_gt_i32 s21, 27
	s_cbranch_scc0 .LBB34_728
; %bb.727:
	v_lshlrev_b32_e32 v4, 16, v3
	s_mov_b32 s22, 0
	v_cvt_u32_f32_e32 v4, v4
	global_store_dword v[0:1], v4, off
.LBB34_728:
	s_andn2_b32 vcc_lo, exec_lo, s22
	s_cbranch_vccnz .LBB34_730
; %bb.729:
	v_lshlrev_b32_e32 v4, 16, v3
	v_cvt_u32_f32_e32 v4, v4
	global_store_short v[0:1], v4, off
.LBB34_730:
	s_mov_b32 s22, 0
.LBB34_731:
	s_andn2_b32 vcc_lo, exec_lo, s22
	s_cbranch_vccnz .LBB34_739
; %bb.732:
	v_lshlrev_b32_e32 v6, 16, v3
	v_mov_b32_e32 v7, 0x80
	s_mov_b32 s22, exec_lo
	v_and_b32_e32 v5, 0x7fffffff, v6
	v_cmpx_gt_u32_e32 0x43800000, v5
	s_cbranch_execz .LBB34_738
; %bb.733:
	v_and_b32_e32 v4, 0xffff, v3
	v_cmp_lt_u32_e32 vcc_lo, 0x3bffffff, v5
	s_mov_b32 s23, 0
                                        ; implicit-def: $vgpr5
	s_and_saveexec_b32 s24, vcc_lo
	s_xor_b32 s24, exec_lo, s24
	s_cbranch_execz .LBB34_799
; %bb.734:
	v_bfe_u32 v5, v4, 4, 1
	s_mov_b32 s23, exec_lo
	v_add3_u32 v5, v6, v5, 0x487ffff
                                        ; implicit-def: $vgpr6
	v_lshrrev_b32_e32 v5, 20, v5
	s_andn2_saveexec_b32 s24, s24
	s_cbranch_execnz .LBB34_800
.LBB34_735:
	s_or_b32 exec_lo, exec_lo, s24
	v_mov_b32_e32 v7, 0
	s_and_saveexec_b32 s24, s23
.LBB34_736:
	v_lshrrev_b32_e32 v4, 8, v4
	v_and_or_b32 v7, 0x80, v4, v5
.LBB34_737:
	s_or_b32 exec_lo, exec_lo, s24
.LBB34_738:
	s_or_b32 exec_lo, exec_lo, s22
	global_store_byte v[0:1], v7, off
.LBB34_739:
	s_mov_b32 s22, -1
.LBB34_740:
	s_mov_b32 s23, 0
.LBB34_741:
	s_and_b32 vcc_lo, exec_lo, s23
	s_cbranch_vccz .LBB34_782
; %bb.742:
	s_cmp_gt_i32 s21, 22
	s_mov_b32 s23, -1
	s_cbranch_scc0 .LBB34_774
; %bb.743:
	s_cmp_lt_i32 s21, 24
	s_mov_b32 s22, -1
	s_cbranch_scc1 .LBB34_763
; %bb.744:
	s_cmp_gt_i32 s21, 24
	s_cbranch_scc0 .LBB34_752
; %bb.745:
	v_lshlrev_b32_e32 v6, 16, v3
	v_mov_b32_e32 v7, 0x80
	s_mov_b32 s22, exec_lo
	v_and_b32_e32 v5, 0x7fffffff, v6
	v_cmpx_gt_u32_e32 0x47800000, v5
	s_cbranch_execz .LBB34_751
; %bb.746:
	v_and_b32_e32 v4, 0xffff, v3
	v_cmp_lt_u32_e32 vcc_lo, 0x37ffffff, v5
	s_mov_b32 s23, 0
                                        ; implicit-def: $vgpr5
	s_and_saveexec_b32 s24, vcc_lo
	s_xor_b32 s24, exec_lo, s24
	s_cbranch_execz .LBB34_802
; %bb.747:
	v_bfe_u32 v5, v4, 5, 1
	s_mov_b32 s23, exec_lo
	v_add3_u32 v5, v6, v5, 0x88fffff
                                        ; implicit-def: $vgpr6
	v_lshrrev_b32_e32 v5, 21, v5
	s_andn2_saveexec_b32 s24, s24
	s_cbranch_execnz .LBB34_803
.LBB34_748:
	s_or_b32 exec_lo, exec_lo, s24
	v_mov_b32_e32 v7, 0
	s_and_saveexec_b32 s24, s23
.LBB34_749:
	v_lshrrev_b32_e32 v4, 8, v4
	v_and_or_b32 v7, 0x80, v4, v5
.LBB34_750:
	s_or_b32 exec_lo, exec_lo, s24
.LBB34_751:
	s_or_b32 exec_lo, exec_lo, s22
	s_mov_b32 s22, 0
	global_store_byte v[0:1], v7, off
.LBB34_752:
	s_and_b32 vcc_lo, exec_lo, s22
	s_cbranch_vccz .LBB34_762
; %bb.753:
	v_lshlrev_b32_e32 v6, 16, v3
	v_and_b32_e32 v4, 0xffff, v3
	s_mov_b32 s22, exec_lo
                                        ; implicit-def: $vgpr5
	v_and_b32_e32 v7, 0x7fffffff, v6
	v_cmpx_gt_u32_e32 0x43f00000, v7
	s_xor_b32 s22, exec_lo, s22
	s_cbranch_execz .LBB34_759
; %bb.754:
	s_mov_b32 s23, exec_lo
                                        ; implicit-def: $vgpr5
	v_cmpx_lt_u32_e32 0x3c7fffff, v7
	s_xor_b32 s23, exec_lo, s23
; %bb.755:
	v_bfe_u32 v5, v4, 4, 1
	v_add3_u32 v5, v6, v5, 0x407ffff
	v_and_b32_e32 v6, 0xff00000, v5
	v_lshrrev_b32_e32 v5, 20, v5
	v_cmp_ne_u32_e32 vcc_lo, 0x7f00000, v6
                                        ; implicit-def: $vgpr6
	v_cndmask_b32_e32 v5, 0x7e, v5, vcc_lo
; %bb.756:
	s_andn2_saveexec_b32 s23, s23
; %bb.757:
	v_add_f32_e64 v5, 0x46800000, |v6|
; %bb.758:
	s_or_b32 exec_lo, exec_lo, s23
                                        ; implicit-def: $vgpr7
.LBB34_759:
	s_andn2_saveexec_b32 s22, s22
; %bb.760:
	v_mov_b32_e32 v5, 0x7f
	v_cmp_lt_u32_e32 vcc_lo, 0x7f800000, v7
	v_cndmask_b32_e32 v5, 0x7e, v5, vcc_lo
; %bb.761:
	s_or_b32 exec_lo, exec_lo, s22
	v_lshrrev_b32_e32 v4, 8, v4
	v_and_or_b32 v4, 0x80, v4, v5
	global_store_byte v[0:1], v4, off
.LBB34_762:
	s_mov_b32 s22, 0
.LBB34_763:
	s_andn2_b32 vcc_lo, exec_lo, s22
	s_cbranch_vccnz .LBB34_773
; %bb.764:
	v_lshlrev_b32_e32 v6, 16, v3
	v_and_b32_e32 v4, 0xffff, v3
	s_mov_b32 s22, exec_lo
                                        ; implicit-def: $vgpr5
	v_and_b32_e32 v7, 0x7fffffff, v6
	v_cmpx_gt_u32_e32 0x47800000, v7
	s_xor_b32 s22, exec_lo, s22
	s_cbranch_execz .LBB34_770
; %bb.765:
	s_mov_b32 s23, exec_lo
                                        ; implicit-def: $vgpr5
	v_cmpx_lt_u32_e32 0x387fffff, v7
	s_xor_b32 s23, exec_lo, s23
; %bb.766:
	v_bfe_u32 v5, v4, 5, 1
	v_add3_u32 v5, v6, v5, 0x80fffff
                                        ; implicit-def: $vgpr6
	v_lshrrev_b32_e32 v5, 21, v5
; %bb.767:
	s_andn2_saveexec_b32 s23, s23
; %bb.768:
	v_add_f32_e64 v5, 0x43000000, |v6|
; %bb.769:
	s_or_b32 exec_lo, exec_lo, s23
                                        ; implicit-def: $vgpr7
.LBB34_770:
	s_andn2_saveexec_b32 s22, s22
; %bb.771:
	v_mov_b32_e32 v5, 0x7f
	v_cmp_lt_u32_e32 vcc_lo, 0x7f800000, v7
	v_cndmask_b32_e32 v5, 0x7c, v5, vcc_lo
; %bb.772:
	s_or_b32 exec_lo, exec_lo, s22
	v_lshrrev_b32_e32 v4, 8, v4
	v_and_or_b32 v4, 0x80, v4, v5
	global_store_byte v[0:1], v4, off
.LBB34_773:
	s_mov_b32 s23, 0
	s_mov_b32 s22, -1
.LBB34_774:
	s_andn2_b32 vcc_lo, exec_lo, s23
	s_cbranch_vccnz .LBB34_782
; %bb.775:
	s_cmp_gt_i32 s21, 14
	s_mov_b32 s23, -1
	s_cbranch_scc0 .LBB34_779
; %bb.776:
	s_cmp_eq_u32 s21, 15
	s_mov_b32 s0, -1
	s_cbranch_scc0 .LBB34_778
; %bb.777:
	s_mov_b32 s22, -1
	s_mov_b32 s0, 0
	global_store_short v[0:1], v3, off
.LBB34_778:
	s_mov_b32 s23, 0
.LBB34_779:
	s_and_b32 vcc_lo, exec_lo, s23
	s_cbranch_vccz .LBB34_782
; %bb.780:
	s_cmp_eq_u32 s21, 11
	s_mov_b32 s0, -1
	s_cbranch_scc0 .LBB34_782
; %bb.781:
	v_and_b32_e32 v4, 0x7fff, v3
	s_mov_b32 s0, 0
	s_mov_b32 s22, -1
	v_cmp_ne_u16_e32 vcc_lo, 0, v4
	v_cndmask_b32_e64 v4, 0, 1, vcc_lo
	global_store_byte v[0:1], v4, off
.LBB34_782:
.LBB34_783:
	s_andn2_b32 vcc_lo, exec_lo, s22
	s_cbranch_vccnz .LBB34_708
.LBB34_784:
	v_add_nc_u32_e32 v2, 0x80, v2
	s_mov_b32 s21, -1
.LBB34_785:
	s_andn2_b32 s1, s17, exec_lo
	s_and_b32 s0, s0, exec_lo
	s_andn2_b32 s22, s16, exec_lo
	s_and_b32 s20, s20, exec_lo
	s_or_b32 s1, s1, s0
	s_or_b32 s0, s22, s20
	s_orn2_b32 s20, s21, exec_lo
.LBB34_786:
	s_or_b32 exec_lo, exec_lo, s19
	s_mov_b32 s21, 0
	s_mov_b32 s22, 0
	;; [unrolled: 1-line block ×3, first 2 shown]
                                        ; implicit-def: $vgpr0_vgpr1
                                        ; implicit-def: $vgpr4
	s_and_saveexec_b32 s19, s20
	s_cbranch_execz .LBB34_871
; %bb.787:
	v_cmp_gt_i32_e32 vcc_lo, s13, v2
	s_mov_b32 s20, 0
	s_mov_b32 s21, s0
	;; [unrolled: 1-line block ×3, first 2 shown]
                                        ; implicit-def: $vgpr0_vgpr1
                                        ; implicit-def: $vgpr4
	s_and_saveexec_b32 s13, vcc_lo
	s_cbranch_execz .LBB34_870
; %bb.788:
	v_mul_lo_u32 v0, v2, s3
	s_and_b32 s20, 0xffff, s6
	s_cmp_lt_i32 s20, 11
	v_ashrrev_i32_e32 v1, 31, v0
	v_add_co_u32 v0, vcc_lo, s10, v0
	v_add_co_ci_u32_e64 v1, null, s11, v1, vcc_lo
	s_cbranch_scc1 .LBB34_795
; %bb.789:
	s_cmp_gt_i32 s20, 25
	s_cbranch_scc0 .LBB34_796
; %bb.790:
	s_cmp_gt_i32 s20, 28
	s_cbranch_scc0 .LBB34_797
	;; [unrolled: 3-line block ×4, first 2 shown]
; %bb.793:
	s_cmp_eq_u32 s20, 46
	s_cbranch_scc0 .LBB34_804
; %bb.794:
	global_load_dword v4, v[0:1], off
	s_mov_b32 s21, 0
	s_mov_b32 s23, -1
	s_branch .LBB34_806
.LBB34_795:
	s_mov_b32 s20, -1
	s_mov_b32 s21, s0
                                        ; implicit-def: $vgpr4
	s_branch .LBB34_869
.LBB34_796:
	s_mov_b32 s24, -1
	s_mov_b32 s21, s0
                                        ; implicit-def: $vgpr4
	s_branch .LBB34_835
.LBB34_797:
	s_mov_b32 s24, -1
	s_mov_b32 s21, s0
                                        ; implicit-def: $vgpr4
	s_branch .LBB34_816
.LBB34_798:
	s_mov_b32 s24, -1
	s_mov_b32 s21, s0
                                        ; implicit-def: $vgpr4
	s_branch .LBB34_811
.LBB34_799:
	s_andn2_saveexec_b32 s24, s24
	s_cbranch_execz .LBB34_735
.LBB34_800:
	v_add_f32_e64 v5, 0x46000000, |v6|
	s_andn2_b32 s23, s23, exec_lo
	v_and_b32_e32 v5, 0xff, v5
	v_cmp_ne_u32_e32 vcc_lo, 0, v5
	s_and_b32 s25, vcc_lo, exec_lo
	s_or_b32 s23, s23, s25
	s_or_b32 exec_lo, exec_lo, s24
	v_mov_b32_e32 v7, 0
	s_and_saveexec_b32 s24, s23
	s_cbranch_execnz .LBB34_736
	s_branch .LBB34_737
.LBB34_801:
	s_mov_b32 s24, -1
	s_mov_b32 s21, s0
	s_branch .LBB34_805
.LBB34_802:
	s_andn2_saveexec_b32 s24, s24
	s_cbranch_execz .LBB34_748
.LBB34_803:
	v_add_f32_e64 v5, 0x42800000, |v6|
	s_andn2_b32 s23, s23, exec_lo
	v_and_b32_e32 v5, 0xff, v5
	v_cmp_ne_u32_e32 vcc_lo, 0, v5
	s_and_b32 s25, vcc_lo, exec_lo
	s_or_b32 s23, s23, s25
	s_or_b32 exec_lo, exec_lo, s24
	v_mov_b32_e32 v7, 0
	s_and_saveexec_b32 s24, s23
	s_cbranch_execnz .LBB34_749
	s_branch .LBB34_750
.LBB34_804:
	s_mov_b32 s21, -1
.LBB34_805:
                                        ; implicit-def: $vgpr4
.LBB34_806:
	s_and_b32 vcc_lo, exec_lo, s24
	s_cbranch_vccz .LBB34_810
; %bb.807:
	s_cmp_eq_u32 s20, 44
	s_cbranch_scc0 .LBB34_809
; %bb.808:
	global_load_ubyte v3, v[0:1], off
	s_mov_b32 s21, 0
	s_mov_b32 s23, -1
	s_waitcnt vmcnt(0)
	v_lshlrev_b32_e32 v4, 23, v3
	v_cmp_ne_u32_e32 vcc_lo, 0xff, v3
	v_cndmask_b32_e32 v4, 0x7f800001, v4, vcc_lo
	v_cmp_ne_u32_e32 vcc_lo, 0, v3
	v_cndmask_b32_e32 v3, 0x400000, v4, vcc_lo
	v_mov_b32_e32 v4, 0x7fc0
	v_cmp_o_f32_e32 vcc_lo, v3, v3
	v_add_nc_u32_e32 v3, 0x7fff, v3
	v_cndmask_b32_sdwa v4, v4, v3, vcc_lo dst_sel:DWORD dst_unused:UNUSED_PAD src0_sel:DWORD src1_sel:WORD_1
	s_branch .LBB34_810
.LBB34_809:
	s_mov_b32 s21, -1
                                        ; implicit-def: $vgpr4
.LBB34_810:
	s_mov_b32 s24, 0
.LBB34_811:
	s_and_b32 vcc_lo, exec_lo, s24
	s_cbranch_vccz .LBB34_815
; %bb.812:
	s_cmp_eq_u32 s20, 29
	s_cbranch_scc0 .LBB34_814
; %bb.813:
	global_load_dwordx2 v[3:4], v[0:1], off
	s_mov_b32 s21, 0
	s_mov_b32 s23, -1
	s_mov_b32 s24, 0
	s_waitcnt vmcnt(0)
	v_ffbh_u32_e32 v5, v4
	v_min_u32_e32 v5, 32, v5
	v_lshlrev_b64 v[3:4], v5, v[3:4]
	v_min_u32_e32 v3, 1, v3
	v_or_b32_e32 v3, v4, v3
	v_sub_nc_u32_e32 v4, 32, v5
	v_cvt_f32_u32_e32 v3, v3
	v_ldexp_f32 v3, v3, v4
	v_bfe_u32 v4, v3, 16, 1
	v_add3_u32 v3, v3, v4, 0x7fff
	v_lshrrev_b32_e32 v4, 16, v3
	s_branch .LBB34_816
.LBB34_814:
	s_mov_b32 s21, -1
                                        ; implicit-def: $vgpr4
.LBB34_815:
	s_mov_b32 s24, 0
.LBB34_816:
	s_and_b32 vcc_lo, exec_lo, s24
	s_cbranch_vccz .LBB34_834
; %bb.817:
	s_cmp_lt_i32 s20, 27
	s_cbranch_scc1 .LBB34_820
; %bb.818:
	s_cmp_gt_i32 s20, 27
	s_cbranch_scc0 .LBB34_821
; %bb.819:
	global_load_dword v3, v[0:1], off
	s_mov_b32 s23, 0
	s_waitcnt vmcnt(0)
	v_cvt_f32_u32_e32 v3, v3
	v_bfe_u32 v4, v3, 16, 1
	v_add3_u32 v3, v3, v4, 0x7fff
	v_lshrrev_b32_e32 v4, 16, v3
	s_branch .LBB34_822
.LBB34_820:
	s_mov_b32 s23, -1
                                        ; implicit-def: $vgpr4
	s_branch .LBB34_825
.LBB34_821:
	s_mov_b32 s23, -1
                                        ; implicit-def: $vgpr4
.LBB34_822:
	s_andn2_b32 vcc_lo, exec_lo, s23
	s_cbranch_vccnz .LBB34_824
; %bb.823:
	global_load_ushort v3, v[0:1], off
	s_waitcnt vmcnt(0)
	v_cvt_f32_u32_e32 v3, v3
	v_bfe_u32 v4, v3, 16, 1
	v_add3_u32 v3, v3, v4, 0x7fff
	v_lshrrev_b32_e32 v4, 16, v3
.LBB34_824:
	s_mov_b32 s23, 0
.LBB34_825:
	s_andn2_b32 vcc_lo, exec_lo, s23
	s_cbranch_vccnz .LBB34_833
; %bb.826:
	global_load_ubyte v3, v[0:1], off
	s_mov_b32 s23, 0
	s_mov_b32 s24, exec_lo
	s_waitcnt vmcnt(0)
	v_cmpx_lt_i16_e32 0x7f, v3
	s_xor_b32 s24, exec_lo, s24
	s_cbranch_execz .LBB34_847
; %bb.827:
	s_mov_b32 s23, -1
	s_mov_b32 s25, exec_lo
	v_cmpx_eq_u16_e32 0x80, v3
; %bb.828:
	s_xor_b32 s23, exec_lo, -1
; %bb.829:
	s_or_b32 exec_lo, exec_lo, s25
	s_and_b32 s23, s23, exec_lo
	s_or_saveexec_b32 s24, s24
	v_mov_b32_e32 v4, 0x7f800001
	s_xor_b32 exec_lo, exec_lo, s24
	s_cbranch_execnz .LBB34_848
.LBB34_830:
	s_or_b32 exec_lo, exec_lo, s24
	s_and_saveexec_b32 s24, s23
	s_cbranch_execz .LBB34_832
.LBB34_831:
	v_and_b32_e32 v4, 0xffff, v3
	v_lshlrev_b32_e32 v3, 24, v3
	v_and_b32_e32 v5, 7, v4
	v_bfe_u32 v8, v4, 3, 4
	v_and_b32_e32 v3, 0x80000000, v3
	v_ffbh_u32_e32 v6, v5
	v_cmp_eq_u32_e32 vcc_lo, 0, v8
	v_min_u32_e32 v6, 32, v6
	v_subrev_nc_u32_e32 v7, 28, v6
	v_sub_nc_u32_e32 v6, 29, v6
	v_lshlrev_b32_e32 v4, v7, v4
	v_cndmask_b32_e32 v6, v8, v6, vcc_lo
	v_and_b32_e32 v4, 7, v4
	v_cndmask_b32_e32 v4, v5, v4, vcc_lo
	v_lshl_add_u32 v5, v6, 23, 0x3b800000
	v_lshlrev_b32_e32 v4, 20, v4
	v_or3_b32 v4, v3, v5, v4
.LBB34_832:
	s_or_b32 exec_lo, exec_lo, s24
	v_bfe_u32 v3, v4, 16, 1
	v_cmp_o_f32_e32 vcc_lo, v4, v4
	v_add3_u32 v3, v4, v3, 0x7fff
	v_mov_b32_e32 v4, 0x7fc0
	v_cndmask_b32_sdwa v4, v4, v3, vcc_lo dst_sel:DWORD dst_unused:UNUSED_PAD src0_sel:DWORD src1_sel:WORD_1
.LBB34_833:
	s_mov_b32 s23, -1
.LBB34_834:
	s_mov_b32 s24, 0
.LBB34_835:
	s_and_b32 vcc_lo, exec_lo, s24
	s_cbranch_vccz .LBB34_868
; %bb.836:
	s_cmp_gt_i32 s20, 22
	s_cbranch_scc0 .LBB34_846
; %bb.837:
	s_cmp_lt_i32 s20, 24
	s_cbranch_scc1 .LBB34_849
; %bb.838:
	s_cmp_gt_i32 s20, 24
	s_cbranch_scc0 .LBB34_850
; %bb.839:
	global_load_ubyte v3, v[0:1], off
	s_mov_b32 s23, exec_lo
	s_waitcnt vmcnt(0)
	v_cmpx_lt_i16_e32 0x7f, v3
	s_xor_b32 s23, exec_lo, s23
	s_cbranch_execz .LBB34_862
; %bb.840:
	s_mov_b32 s22, -1
	s_mov_b32 s24, exec_lo
	v_cmpx_eq_u16_e32 0x80, v3
; %bb.841:
	s_xor_b32 s22, exec_lo, -1
; %bb.842:
	s_or_b32 exec_lo, exec_lo, s24
	s_and_b32 s22, s22, exec_lo
	s_or_saveexec_b32 s23, s23
	v_mov_b32_e32 v4, 0x7f800001
	s_xor_b32 exec_lo, exec_lo, s23
	s_cbranch_execnz .LBB34_863
.LBB34_843:
	s_or_b32 exec_lo, exec_lo, s23
	s_and_saveexec_b32 s23, s22
	s_cbranch_execz .LBB34_845
.LBB34_844:
	v_and_b32_e32 v4, 0xffff, v3
	v_lshlrev_b32_e32 v3, 24, v3
	v_and_b32_e32 v5, 3, v4
	v_bfe_u32 v8, v4, 2, 5
	v_and_b32_e32 v3, 0x80000000, v3
	v_ffbh_u32_e32 v6, v5
	v_cmp_eq_u32_e32 vcc_lo, 0, v8
	v_min_u32_e32 v6, 32, v6
	v_subrev_nc_u32_e32 v7, 29, v6
	v_sub_nc_u32_e32 v6, 30, v6
	v_lshlrev_b32_e32 v4, v7, v4
	v_cndmask_b32_e32 v6, v8, v6, vcc_lo
	v_and_b32_e32 v4, 3, v4
	v_cndmask_b32_e32 v4, v5, v4, vcc_lo
	v_lshl_add_u32 v5, v6, 23, 0x37800000
	v_lshlrev_b32_e32 v4, 21, v4
	v_or3_b32 v4, v3, v5, v4
.LBB34_845:
	s_or_b32 exec_lo, exec_lo, s23
	v_bfe_u32 v3, v4, 16, 1
	v_cmp_o_f32_e32 vcc_lo, v4, v4
	s_mov_b32 s22, 0
	v_add3_u32 v3, v4, v3, 0x7fff
	v_mov_b32_e32 v4, 0x7fc0
	v_cndmask_b32_sdwa v4, v4, v3, vcc_lo dst_sel:DWORD dst_unused:UNUSED_PAD src0_sel:DWORD src1_sel:WORD_1
	s_branch .LBB34_851
.LBB34_846:
	s_mov_b32 s22, -1
                                        ; implicit-def: $vgpr4
	s_branch .LBB34_857
.LBB34_847:
	s_or_saveexec_b32 s24, s24
	v_mov_b32_e32 v4, 0x7f800001
	s_xor_b32 exec_lo, exec_lo, s24
	s_cbranch_execz .LBB34_830
.LBB34_848:
	v_cmp_ne_u16_e32 vcc_lo, 0, v3
	v_mov_b32_e32 v4, 0
	s_andn2_b32 s23, s23, exec_lo
	s_and_b32 s25, vcc_lo, exec_lo
	s_or_b32 s23, s23, s25
	s_or_b32 exec_lo, exec_lo, s24
	s_and_saveexec_b32 s24, s23
	s_cbranch_execnz .LBB34_831
	s_branch .LBB34_832
.LBB34_849:
	s_mov_b32 s22, -1
                                        ; implicit-def: $vgpr4
	s_branch .LBB34_854
.LBB34_850:
	s_mov_b32 s22, -1
                                        ; implicit-def: $vgpr4
.LBB34_851:
	s_and_b32 vcc_lo, exec_lo, s22
	s_cbranch_vccz .LBB34_853
; %bb.852:
	global_load_ubyte v3, v[0:1], off
	s_waitcnt vmcnt(0)
	v_lshlrev_b32_e32 v3, 24, v3
	v_and_b32_e32 v4, 0x7f000000, v3
	v_ffbh_u32_e32 v5, v4
	v_add_nc_u32_e32 v7, 0x1000000, v4
	v_cmp_ne_u32_e32 vcc_lo, 0, v4
	v_min_u32_e32 v5, 32, v5
	v_sub_nc_u32_e64 v5, v5, 4 clamp
	v_lshlrev_b32_e32 v6, v5, v4
	v_lshlrev_b32_e32 v5, 23, v5
	v_lshrrev_b32_e32 v6, 4, v6
	v_sub_nc_u32_e32 v5, v6, v5
	v_ashrrev_i32_e32 v6, 8, v7
	v_add_nc_u32_e32 v5, 0x3c000000, v5
	v_and_or_b32 v5, 0x7f800000, v6, v5
	v_cndmask_b32_e32 v4, 0, v5, vcc_lo
	v_and_or_b32 v3, 0x80000000, v3, v4
	v_bfe_u32 v4, v4, 16, 1
	v_cmp_o_f32_e32 vcc_lo, v3, v3
	v_add3_u32 v3, v3, v4, 0x7fff
	v_mov_b32_e32 v4, 0x7fc0
	v_cndmask_b32_sdwa v4, v4, v3, vcc_lo dst_sel:DWORD dst_unused:UNUSED_PAD src0_sel:DWORD src1_sel:WORD_1
.LBB34_853:
	s_mov_b32 s22, 0
.LBB34_854:
	s_andn2_b32 vcc_lo, exec_lo, s22
	s_cbranch_vccnz .LBB34_856
; %bb.855:
	global_load_ubyte v3, v[0:1], off
	s_waitcnt vmcnt(0)
	v_lshlrev_b32_e32 v4, 25, v3
	v_lshlrev_b16 v3, 8, v3
	v_lshrrev_b32_e32 v5, 4, v4
	v_and_or_b32 v6, 0x7f00, v3, 0.5
	v_cmp_gt_u32_e32 vcc_lo, 0x8000000, v4
	v_bfe_i32 v3, v3, 0, 16
	v_or_b32_e32 v5, 0x70000000, v5
	v_add_f32_e32 v6, -0.5, v6
	v_mul_f32_e32 v5, 0x7800000, v5
	v_cndmask_b32_e32 v4, v5, v6, vcc_lo
	v_and_or_b32 v3, 0x80000000, v3, v4
	v_bfe_u32 v4, v4, 16, 1
	v_cmp_o_f32_e32 vcc_lo, v3, v3
	v_add3_u32 v3, v3, v4, 0x7fff
	v_mov_b32_e32 v4, 0x7fc0
	v_cndmask_b32_sdwa v4, v4, v3, vcc_lo dst_sel:DWORD dst_unused:UNUSED_PAD src0_sel:DWORD src1_sel:WORD_1
.LBB34_856:
	s_mov_b32 s22, 0
	s_mov_b32 s23, -1
.LBB34_857:
	s_andn2_b32 vcc_lo, exec_lo, s22
	s_mov_b32 s22, 0
	s_cbranch_vccnz .LBB34_868
; %bb.858:
	s_cmp_gt_i32 s20, 14
	s_cbranch_scc0 .LBB34_861
; %bb.859:
	s_cmp_eq_u32 s20, 15
	s_cbranch_scc0 .LBB34_864
; %bb.860:
	global_load_ushort v4, v[0:1], off
	s_mov_b32 s21, 0
	s_mov_b32 s23, -1
	s_branch .LBB34_866
.LBB34_861:
	s_mov_b32 s22, -1
	s_branch .LBB34_865
.LBB34_862:
	s_or_saveexec_b32 s23, s23
	v_mov_b32_e32 v4, 0x7f800001
	s_xor_b32 exec_lo, exec_lo, s23
	s_cbranch_execz .LBB34_843
.LBB34_863:
	v_cmp_ne_u16_e32 vcc_lo, 0, v3
	v_mov_b32_e32 v4, 0
	s_andn2_b32 s22, s22, exec_lo
	s_and_b32 s24, vcc_lo, exec_lo
	s_or_b32 s22, s22, s24
	s_or_b32 exec_lo, exec_lo, s23
	s_and_saveexec_b32 s23, s22
	s_cbranch_execnz .LBB34_844
	s_branch .LBB34_845
.LBB34_864:
	s_mov_b32 s21, -1
.LBB34_865:
                                        ; implicit-def: $vgpr4
.LBB34_866:
	s_and_b32 vcc_lo, exec_lo, s22
	s_mov_b32 s22, 0
	s_cbranch_vccz .LBB34_868
; %bb.867:
	s_cmp_lg_u32 s20, 11
	s_mov_b32 s22, -1
	s_cselect_b32 s20, -1, 0
	s_andn2_b32 s21, s21, exec_lo
	s_and_b32 s20, s20, exec_lo
	s_or_b32 s21, s21, s20
.LBB34_868:
	s_mov_b32 s20, 0
.LBB34_869:
	s_andn2_b32 s25, s0, exec_lo
	s_and_b32 s21, s21, exec_lo
	s_and_b32 s23, s23, exec_lo
	;; [unrolled: 1-line block ×4, first 2 shown]
	s_or_b32 s21, s25, s21
.LBB34_870:
	s_or_b32 exec_lo, exec_lo, s13
	s_andn2_b32 s0, s0, exec_lo
	s_and_b32 s13, s21, exec_lo
	s_and_b32 s23, s23, exec_lo
	;; [unrolled: 1-line block ×4, first 2 shown]
	s_or_b32 s0, s0, s13
.LBB34_871:
	s_or_b32 exec_lo, exec_lo, s19
	s_andn2_b32 s13, s17, exec_lo
	s_and_b32 s1, s1, exec_lo
	s_and_b32 s0, s0, exec_lo
	s_or_b32 s17, s13, s1
	s_andn2_b32 s13, s16, exec_lo
	s_and_b32 s20, s23, exec_lo
	s_and_b32 s19, s22, exec_lo
	;; [unrolled: 1-line block ×3, first 2 shown]
	s_or_b32 s16, s13, s0
.LBB34_872:
	s_or_b32 exec_lo, exec_lo, s18
	s_andn2_b32 s0, s12, exec_lo
	s_and_b32 s12, s17, exec_lo
	s_andn2_b32 s13, s14, exec_lo
	s_and_b32 s14, s16, exec_lo
	s_or_b32 s12, s0, s12
	s_and_b32 s0, s20, exec_lo
	s_and_b32 s17, s19, exec_lo
	;; [unrolled: 1-line block ×3, first 2 shown]
	s_or_b32 s14, s13, s14
	s_or_b32 exec_lo, exec_lo, s15
	s_mov_b32 s13, 0
	s_and_saveexec_b32 s1, s14
	s_cbranch_execz .LBB34_266
.LBB34_873:
	s_mov_b32 s13, exec_lo
	s_andn2_b32 s16, s16, exec_lo
	s_trap 2
	s_or_b32 exec_lo, exec_lo, s1
	s_and_saveexec_b32 s1, s16
	s_xor_b32 s1, exec_lo, s1
	s_cbranch_execnz .LBB34_267
.LBB34_874:
	s_or_b32 exec_lo, exec_lo, s1
	s_and_saveexec_b32 s1, s17
	s_cbranch_execz .LBB34_920
.LBB34_875:
	s_sext_i32_i16 s14, s6
	s_cmp_lt_i32 s14, 5
	s_cbranch_scc1 .LBB34_880
; %bb.876:
	s_cmp_lt_i32 s14, 8
	s_cbranch_scc1 .LBB34_881
; %bb.877:
	;; [unrolled: 3-line block ×3, first 2 shown]
	s_cmp_gt_i32 s14, 9
	s_cbranch_scc0 .LBB34_883
; %bb.879:
	global_load_dwordx2 v[3:4], v[0:1], off
	s_mov_b32 s14, 0
	s_waitcnt vmcnt(0)
	v_cvt_f32_f64_e32 v3, v[3:4]
	v_bfe_u32 v4, v3, 16, 1
	v_cmp_o_f32_e32 vcc_lo, v3, v3
	v_add3_u32 v3, v3, v4, 0x7fff
	v_mov_b32_e32 v4, 0x7fc0
	v_cndmask_b32_sdwa v4, v4, v3, vcc_lo dst_sel:DWORD dst_unused:UNUSED_PAD src0_sel:DWORD src1_sel:WORD_1
	s_branch .LBB34_884
.LBB34_880:
                                        ; implicit-def: $vgpr4
	s_branch .LBB34_901
.LBB34_881:
                                        ; implicit-def: $vgpr4
	s_branch .LBB34_890
.LBB34_882:
	s_mov_b32 s14, -1
                                        ; implicit-def: $vgpr4
	s_branch .LBB34_887
.LBB34_883:
	s_mov_b32 s14, -1
                                        ; implicit-def: $vgpr4
.LBB34_884:
	s_andn2_b32 vcc_lo, exec_lo, s14
	s_cbranch_vccnz .LBB34_886
; %bb.885:
	global_load_dword v3, v[0:1], off
	s_waitcnt vmcnt(0)
	v_bfe_u32 v4, v3, 16, 1
	v_cmp_o_f32_e32 vcc_lo, v3, v3
	v_add3_u32 v3, v3, v4, 0x7fff
	v_mov_b32_e32 v4, 0x7fc0
	v_cndmask_b32_sdwa v4, v4, v3, vcc_lo dst_sel:DWORD dst_unused:UNUSED_PAD src0_sel:DWORD src1_sel:WORD_1
.LBB34_886:
	s_mov_b32 s14, 0
.LBB34_887:
	s_andn2_b32 vcc_lo, exec_lo, s14
	s_cbranch_vccnz .LBB34_889
; %bb.888:
	global_load_dword v3, v[0:1], off
	s_waitcnt vmcnt(0)
	v_cvt_f32_f16_e32 v4, v3
	v_cmp_o_f16_e32 vcc_lo, v3, v3
	v_bfe_u32 v5, v4, 16, 1
	v_add3_u32 v3, v4, v5, 0x7fff
	v_mov_b32_e32 v4, 0x7fc0
	v_cndmask_b32_sdwa v4, v4, v3, vcc_lo dst_sel:DWORD dst_unused:UNUSED_PAD src0_sel:DWORD src1_sel:WORD_1
.LBB34_889:
	s_cbranch_execnz .LBB34_900
.LBB34_890:
	s_sext_i32_i16 s14, s6
	s_cmp_lt_i32 s14, 6
	s_cbranch_scc1 .LBB34_893
; %bb.891:
	s_cmp_gt_i32 s14, 6
	s_cbranch_scc0 .LBB34_894
; %bb.892:
	global_load_dwordx2 v[3:4], v[0:1], off
	s_mov_b32 s14, 0
	s_waitcnt vmcnt(0)
	v_cvt_f32_f64_e32 v3, v[3:4]
	v_bfe_u32 v4, v3, 16, 1
	v_cmp_o_f32_e32 vcc_lo, v3, v3
	v_add3_u32 v3, v3, v4, 0x7fff
	v_mov_b32_e32 v4, 0x7fc0
	v_cndmask_b32_sdwa v4, v4, v3, vcc_lo dst_sel:DWORD dst_unused:UNUSED_PAD src0_sel:DWORD src1_sel:WORD_1
	s_branch .LBB34_895
.LBB34_893:
	s_mov_b32 s14, -1
                                        ; implicit-def: $vgpr4
	s_branch .LBB34_898
.LBB34_894:
	s_mov_b32 s14, -1
                                        ; implicit-def: $vgpr4
.LBB34_895:
	s_andn2_b32 vcc_lo, exec_lo, s14
	s_cbranch_vccnz .LBB34_897
; %bb.896:
	global_load_dword v3, v[0:1], off
	s_waitcnt vmcnt(0)
	v_bfe_u32 v4, v3, 16, 1
	v_cmp_o_f32_e32 vcc_lo, v3, v3
	v_add3_u32 v3, v3, v4, 0x7fff
	v_mov_b32_e32 v4, 0x7fc0
	v_cndmask_b32_sdwa v4, v4, v3, vcc_lo dst_sel:DWORD dst_unused:UNUSED_PAD src0_sel:DWORD src1_sel:WORD_1
.LBB34_897:
	s_mov_b32 s14, 0
.LBB34_898:
	s_andn2_b32 vcc_lo, exec_lo, s14
	s_cbranch_vccnz .LBB34_900
; %bb.899:
	global_load_ushort v3, v[0:1], off
	s_waitcnt vmcnt(0)
	v_cvt_f32_f16_e32 v4, v3
	v_cmp_o_f16_e32 vcc_lo, v3, v3
	v_bfe_u32 v5, v4, 16, 1
	v_add3_u32 v3, v4, v5, 0x7fff
	v_mov_b32_e32 v4, 0x7fc0
	v_cndmask_b32_sdwa v4, v4, v3, vcc_lo dst_sel:DWORD dst_unused:UNUSED_PAD src0_sel:DWORD src1_sel:WORD_1
.LBB34_900:
	s_cbranch_execnz .LBB34_919
.LBB34_901:
	s_sext_i32_i16 s14, s6
	s_cmp_lt_i32 s14, 2
	s_cbranch_scc1 .LBB34_905
; %bb.902:
	s_cmp_lt_i32 s14, 3
	s_cbranch_scc1 .LBB34_906
; %bb.903:
	s_cmp_gt_i32 s14, 3
	s_cbranch_scc0 .LBB34_907
; %bb.904:
	global_load_dwordx2 v[3:4], v[0:1], off
	s_mov_b32 s14, 0
	s_waitcnt vmcnt(0)
	v_xor_b32_e32 v5, v3, v4
	v_ffbh_i32_e32 v6, v4
	v_ashrrev_i32_e32 v5, 31, v5
	v_add_nc_u32_e32 v6, -1, v6
	v_add_nc_u32_e32 v5, 32, v5
	v_min_u32_e32 v5, v6, v5
	v_lshlrev_b64 v[3:4], v5, v[3:4]
	v_min_u32_e32 v3, 1, v3
	v_or_b32_e32 v3, v4, v3
	v_sub_nc_u32_e32 v4, 32, v5
	v_cvt_f32_i32_e32 v3, v3
	v_ldexp_f32 v3, v3, v4
	v_bfe_u32 v4, v3, 16, 1
	v_add3_u32 v3, v3, v4, 0x7fff
	v_lshrrev_b32_e32 v4, 16, v3
	s_branch .LBB34_908
.LBB34_905:
                                        ; implicit-def: $vgpr4
	s_branch .LBB34_914
.LBB34_906:
	s_mov_b32 s14, -1
                                        ; implicit-def: $vgpr4
	s_branch .LBB34_911
.LBB34_907:
	s_mov_b32 s14, -1
                                        ; implicit-def: $vgpr4
.LBB34_908:
	s_andn2_b32 vcc_lo, exec_lo, s14
	s_cbranch_vccnz .LBB34_910
; %bb.909:
	global_load_dword v3, v[0:1], off
	s_waitcnt vmcnt(0)
	v_cvt_f32_i32_e32 v3, v3
	v_bfe_u32 v4, v3, 16, 1
	v_add3_u32 v3, v3, v4, 0x7fff
	v_lshrrev_b32_e32 v4, 16, v3
.LBB34_910:
	s_mov_b32 s14, 0
.LBB34_911:
	s_andn2_b32 vcc_lo, exec_lo, s14
	s_cbranch_vccnz .LBB34_913
; %bb.912:
	global_load_sshort v3, v[0:1], off
	s_waitcnt vmcnt(0)
	v_cvt_f32_i32_e32 v3, v3
	v_bfe_u32 v4, v3, 16, 1
	v_add3_u32 v3, v3, v4, 0x7fff
	v_lshrrev_b32_e32 v4, 16, v3
.LBB34_913:
	s_cbranch_execnz .LBB34_919
.LBB34_914:
	s_sext_i32_i16 s14, s6
	s_cmp_gt_i32 s14, 0
	s_mov_b32 s14, 0
	s_cbranch_scc0 .LBB34_916
; %bb.915:
	global_load_sbyte v3, v[0:1], off
	s_waitcnt vmcnt(0)
	v_cvt_f32_i32_e32 v3, v3
	v_bfe_u32 v4, v3, 16, 1
	v_add3_u32 v3, v3, v4, 0x7fff
	v_lshrrev_b32_e32 v4, 16, v3
	s_branch .LBB34_917
.LBB34_916:
	s_mov_b32 s14, -1
                                        ; implicit-def: $vgpr4
.LBB34_917:
	s_andn2_b32 vcc_lo, exec_lo, s14
	s_cbranch_vccnz .LBB34_919
; %bb.918:
	global_load_ubyte v0, v[0:1], off
	s_waitcnt vmcnt(0)
	v_cvt_f32_ubyte0_e32 v0, v0
	v_bfe_u32 v1, v0, 16, 1
	v_add3_u32 v0, v0, v1, 0x7fff
	v_lshrrev_b32_e32 v4, 16, v0
.LBB34_919:
	s_or_b32 s0, s0, exec_lo
.LBB34_920:
	s_or_b32 exec_lo, exec_lo, s1
	s_mov_b32 s16, 0
	s_mov_b32 s15, 0
                                        ; implicit-def: $sgpr1
                                        ; implicit-def: $vgpr0_vgpr1
                                        ; implicit-def: $vgpr3
	s_and_saveexec_b32 s14, s0
	s_cbranch_execz .LBB34_999
; %bb.921:
	s_waitcnt vmcnt(0)
	v_lshlrev_b32_e32 v0, 16, v4
                                        ; implicit-def: $vgpr4
                                        ; implicit-def: $vgpr3
	s_mov_b32 s1, exec_lo
	v_and_b32_e32 v1, 0x7fffffff, v0
	v_cmpx_ngt_f32_e64 0x48000000, |v0|
	s_xor_b32 s15, exec_lo, s1
	s_cbranch_execz .LBB34_923
; %bb.922:
	s_mov_b32 s0, 0x7fffff
	v_mov_b32_e32 v5, 0
	v_and_or_b32 v12, v1, s0, 0x800000
	v_lshrrev_b32_e32 v10, 23, v1
	v_mad_u64_u32 v[3:4], null, 0xfe5163ab, v12, 0
	v_add_nc_u32_e32 v11, 0xffffff88, v10
	v_cmp_lt_u32_e32 vcc_lo, 63, v11
	v_mad_u64_u32 v[6:7], null, 0x3c439041, v12, v[4:5]
	v_cndmask_b32_e64 v13, 0, 0xffffffc0, vcc_lo
	v_mov_b32_e32 v4, v7
	v_add_nc_u32_e32 v13, v13, v11
	v_mad_u64_u32 v[7:8], null, 0xdb629599, v12, v[4:5]
	v_cmp_lt_u32_e64 s0, 31, v13
	v_cndmask_b32_e64 v14, 0, 0xffffffe0, s0
	v_mov_b32_e32 v4, v8
	v_cndmask_b32_e32 v3, v7, v3, vcc_lo
	v_mad_u64_u32 v[8:9], null, 0xf534ddc0, v12, v[4:5]
	v_mov_b32_e32 v4, v9
	v_cndmask_b32_e32 v6, v8, v6, vcc_lo
	v_mad_u64_u32 v[9:10], null, 0xfc2757d1, v12, v[4:5]
	v_cndmask_b32_e64 v3, v6, v3, s0
	v_mov_b32_e32 v4, v10
	v_mad_u64_u32 v[10:11], null, 0x4e441529, v12, v[4:5]
	v_mov_b32_e32 v4, v11
	v_add_nc_u32_e32 v11, v14, v13
	v_cndmask_b32_e32 v13, v10, v8, vcc_lo
	v_mad_u64_u32 v[4:5], null, 0xa2f9836e, v12, v[4:5]
	v_cmp_lt_u32_e64 s1, 31, v11
	v_cndmask_b32_e64 v12, 0, 0xffffffe0, s1
	v_cndmask_b32_e32 v4, v4, v9, vcc_lo
	v_cndmask_b32_e32 v5, v5, v10, vcc_lo
	;; [unrolled: 1-line block ×3, first 2 shown]
	v_add_nc_u32_e32 v10, v12, v11
	v_cndmask_b32_e64 v8, v4, v13, s0
	v_cndmask_b32_e64 v4, v5, v4, s0
	;; [unrolled: 1-line block ×4, first 2 shown]
	v_sub_nc_u32_e32 v11, 32, v10
	v_cmp_eq_u32_e32 vcc_lo, 0, v10
	v_cndmask_b32_e64 v4, v4, v8, s1
	v_cndmask_b32_e64 v8, v8, v5, s1
	v_cndmask_b32_e64 v5, v5, v9, s1
	v_cndmask_b32_e64 v3, v9, v3, s1
	v_alignbit_b32 v12, v4, v8, v11
	v_alignbit_b32 v7, v8, v5, v11
	;; [unrolled: 1-line block ×3, first 2 shown]
	v_cndmask_b32_e32 v4, v12, v4, vcc_lo
	v_cndmask_b32_e32 v6, v7, v8, vcc_lo
	;; [unrolled: 1-line block ×3, first 2 shown]
	v_bfe_u32 v7, v4, 29, 1
	v_alignbit_b32 v8, v4, v6, 30
	v_alignbit_b32 v6, v6, v5, 30
	;; [unrolled: 1-line block ×3, first 2 shown]
	v_sub_nc_u32_e32 v9, 0, v7
	v_xor_b32_e32 v8, v8, v9
	v_xor_b32_e32 v5, v6, v9
	;; [unrolled: 1-line block ×3, first 2 shown]
	v_lshrrev_b32_e32 v9, 29, v4
	v_lshrrev_b32_e32 v4, 30, v4
	v_ffbh_u32_e32 v10, v8
	v_add_nc_u32_e32 v4, v7, v4
	v_min_u32_e32 v10, 32, v10
	v_sub_nc_u32_e32 v6, 31, v10
	v_lshlrev_b32_e32 v11, 23, v10
	v_alignbit_b32 v8, v8, v5, v6
	v_alignbit_b32 v3, v5, v3, v6
	v_lshlrev_b32_e32 v5, 31, v9
	v_alignbit_b32 v6, v8, v3, 9
	v_or_b32_e32 v9, 0.5, v5
	v_lshrrev_b32_e32 v8, 9, v8
	v_or_b32_e32 v5, 0x33000000, v5
	v_ffbh_u32_e32 v12, v6
	v_sub_nc_u32_e32 v9, v9, v11
	v_min_u32_e32 v11, 32, v12
	v_or_b32_e32 v8, v8, v9
	v_not_b32_e32 v9, v11
	v_mul_f32_e32 v12, 0x3fc90fda, v8
	v_add_lshl_u32 v10, v11, v10, 23
	v_alignbit_b32 v3, v6, v3, v9
	v_fma_f32 v6, 0x3fc90fda, v8, -v12
	v_sub_nc_u32_e32 v5, v5, v10
	v_lshrrev_b32_e32 v3, 9, v3
	v_fmamk_f32 v6, v8, 0x33a22168, v6
	v_or_b32_e32 v3, v5, v3
	v_fmac_f32_e32 v6, 0x3fc90fda, v3
	v_add_f32_e32 v3, v12, v6
.LBB34_923:
	s_andn2_saveexec_b32 s0, s15
; %bb.924:
	v_mul_f32_e64 v3, 0x3f22f983, |v0|
	v_rndne_f32_e32 v4, v3
	v_fma_f32 v3, 0xbfc90fda, v4, |v0|
	v_fmamk_f32 v3, v4, 0xb3a22168, v3
	v_fmamk_f32 v3, v4, 0xa7c234c4, v3
	v_cvt_i32_f32_e32 v4, v4
; %bb.925:
	s_or_b32 exec_lo, exec_lo, s0
	v_mul_f32_e32 v5, v3, v3
	s_mov_b32 s0, 0xb94c1982
	s_mov_b32 s1, 0x37d75334
	v_lshlrev_b32_e32 v8, 30, v4
	v_and_b32_e32 v4, 1, v4
	v_fmaak_f32 v6, s0, v5, 0x3c0881c4
	v_fmaak_f32 v7, s1, v5, 0xbab64f3b
	s_and_b32 s1, s4, 0xff
	v_and_b32_e32 v8, 0x80000000, v8
	v_cmp_eq_u32_e32 vcc_lo, 0, v4
	v_fmaak_f32 v6, v5, v6, 0xbe2aaa9d
	v_fmaak_f32 v7, v5, v7, 0x3d2aabf7
	s_mov_b32 s17, 0
	v_xor_b32_e32 v1, v1, v8
	s_mov_b32 s16, -1
	v_mul_f32_e32 v6, v5, v6
	v_fmaak_f32 v7, v5, v7, 0xbf000004
	s_cmp_lt_i32 s1, 11
	s_mov_b32 s0, s12
	v_fmac_f32_e32 v3, v3, v6
	v_fma_f32 v5, v5, v7, 1.0
	v_cndmask_b32_e32 v3, v5, v3, vcc_lo
	v_cmp_class_f32_e64 vcc_lo, v0, 0x1f8
	v_xor3_b32 v1, v1, v3, v0
	v_cndmask_b32_e32 v3, 0x7fc00000, v1, vcc_lo
	v_mul_lo_u32 v1, v2, s2
	v_bfe_u32 v0, v3, 16, 1
	v_ashrrev_i32_e32 v2, 31, v1
	v_add3_u32 v0, v3, v0, 0x7fff
	v_lshrrev_b32_e32 v4, 16, v0
	v_add_co_u32 v0, vcc_lo, s8, v1
	v_add_co_ci_u32_e64 v1, null, s9, v2, vcc_lo
	v_cmp_o_f32_e32 vcc_lo, v3, v3
	v_cndmask_b32_e32 v3, 0x7fc0, v4, vcc_lo
	s_cbranch_scc1 .LBB34_1003
; %bb.926:
	s_and_b32 s15, 0xffff, s1
	s_mov_b32 s0, s12
	s_cmp_gt_i32 s15, 25
	s_cbranch_scc0 .LBB34_959
; %bb.927:
	s_cmp_gt_i32 s15, 28
	s_mov_b32 s0, s12
	s_cbranch_scc0 .LBB34_943
; %bb.928:
	s_cmp_gt_i32 s15, 43
	s_mov_b32 s0, s12
	;; [unrolled: 4-line block ×3, first 2 shown]
	s_cbranch_scc0 .LBB34_933
; %bb.930:
	s_cmp_eq_u32 s15, 46
	s_mov_b32 s0, -1
	s_cbranch_scc0 .LBB34_932
; %bb.931:
	v_and_b32_e32 v2, 0xffff, v3
	s_mov_b32 s0, 0
	global_store_dword v[0:1], v2, off
.LBB34_932:
	s_mov_b32 s16, 0
.LBB34_933:
	s_and_b32 vcc_lo, exec_lo, s16
	s_cbranch_vccz .LBB34_938
; %bb.934:
	s_cmp_eq_u32 s15, 44
	s_mov_b32 s0, -1
	s_cbranch_scc0 .LBB34_938
; %bb.935:
	v_and_b32_e32 v2, 0xffff, v3
	v_mov_b32_e32 v4, 0xff
	s_mov_b32 s16, exec_lo
	v_bfe_u32 v5, v2, 7, 8
	v_cmpx_ne_u32_e32 0xff, v5
	s_cbranch_execz .LBB34_937
; %bb.936:
	v_lshlrev_b32_e32 v4, 16, v2
	v_and_b32_e32 v6, 64, v2
	v_lshrrev_b32_e32 v2, 7, v2
	v_and_or_b32 v4, 0x3f0000, v4, v5
	v_cmp_ne_u32_e32 vcc_lo, 0, v6
	v_cmp_ne_u32_e64 s0, 0, v4
	s_and_b32 s0, vcc_lo, s0
	v_cndmask_b32_e64 v4, 0, 1, s0
	v_add_nc_u32_e32 v4, v2, v4
.LBB34_937:
	s_or_b32 exec_lo, exec_lo, s16
	s_mov_b32 s0, 0
	global_store_byte v[0:1], v4, off
.LBB34_938:
	s_mov_b32 s16, 0
.LBB34_939:
	s_and_b32 vcc_lo, exec_lo, s16
	s_cbranch_vccz .LBB34_942
; %bb.940:
	s_cmp_eq_u32 s15, 29
	s_mov_b32 s0, -1
	s_cbranch_scc0 .LBB34_942
; %bb.941:
	v_lshlrev_b32_e32 v2, 16, v3
	s_mov_b32 s0, 0
	v_trunc_f32_e32 v2, v2
	v_mul_f32_e32 v4, 0x2f800000, v2
	v_floor_f32_e32 v4, v4
	v_fmamk_f32 v2, v4, 0xcf800000, v2
	v_cvt_u32_f32_e32 v5, v4
	v_cvt_u32_f32_e32 v4, v2
	global_store_dwordx2 v[0:1], v[4:5], off
.LBB34_942:
	s_mov_b32 s16, 0
.LBB34_943:
	s_and_b32 vcc_lo, exec_lo, s16
	s_cbranch_vccz .LBB34_958
; %bb.944:
	s_cmp_lt_i32 s15, 27
	s_mov_b32 s16, -1
	s_cbranch_scc1 .LBB34_950
; %bb.945:
	s_cmp_gt_i32 s15, 27
	s_cbranch_scc0 .LBB34_947
; %bb.946:
	v_lshlrev_b32_e32 v2, 16, v3
	s_mov_b32 s16, 0
	v_cvt_u32_f32_e32 v2, v2
	global_store_dword v[0:1], v2, off
.LBB34_947:
	s_andn2_b32 vcc_lo, exec_lo, s16
	s_cbranch_vccnz .LBB34_949
; %bb.948:
	v_lshlrev_b32_e32 v2, 16, v3
	v_cvt_u32_f32_e32 v2, v2
	global_store_short v[0:1], v2, off
.LBB34_949:
	s_mov_b32 s16, 0
.LBB34_950:
	s_andn2_b32 vcc_lo, exec_lo, s16
	s_cbranch_vccnz .LBB34_958
; %bb.951:
	v_lshlrev_b32_e32 v5, 16, v3
	v_mov_b32_e32 v6, 0x80
	s_mov_b32 s16, exec_lo
	v_and_b32_e32 v4, 0x7fffffff, v5
	v_cmpx_gt_u32_e32 0x43800000, v4
	s_cbranch_execz .LBB34_957
; %bb.952:
	v_and_b32_e32 v2, 0xffff, v3
	v_cmp_lt_u32_e32 vcc_lo, 0x3bffffff, v4
                                        ; implicit-def: $vgpr4
	s_and_saveexec_b32 s18, vcc_lo
	s_xor_b32 s18, exec_lo, s18
	s_cbranch_execz .LBB34_1058
; %bb.953:
	v_bfe_u32 v4, v2, 4, 1
	s_mov_b32 s17, exec_lo
	v_add3_u32 v4, v5, v4, 0x487ffff
                                        ; implicit-def: $vgpr5
	v_lshrrev_b32_e32 v4, 20, v4
	s_andn2_saveexec_b32 s18, s18
	s_cbranch_execnz .LBB34_1059
.LBB34_954:
	s_or_b32 exec_lo, exec_lo, s18
	v_mov_b32_e32 v6, 0
	s_and_saveexec_b32 s18, s17
.LBB34_955:
	v_lshrrev_b32_e32 v2, 8, v2
	v_and_or_b32 v6, 0x80, v2, v4
.LBB34_956:
	s_or_b32 exec_lo, exec_lo, s18
.LBB34_957:
	s_or_b32 exec_lo, exec_lo, s16
	global_store_byte v[0:1], v6, off
.LBB34_958:
	s_mov_b32 s16, 0
.LBB34_959:
	s_and_b32 vcc_lo, exec_lo, s16
	s_mov_b32 s16, 0
	s_cbranch_vccz .LBB34_1002
; %bb.960:
	s_cmp_gt_i32 s15, 22
	s_mov_b32 s17, -1
	s_cbranch_scc0 .LBB34_992
; %bb.961:
	s_cmp_lt_i32 s15, 24
	s_cbranch_scc1 .LBB34_981
; %bb.962:
	s_cmp_gt_i32 s15, 24
	s_cbranch_scc0 .LBB34_970
; %bb.963:
	v_lshlrev_b32_e32 v5, 16, v3
	v_mov_b32_e32 v6, 0x80
	s_mov_b32 s17, exec_lo
	v_and_b32_e32 v4, 0x7fffffff, v5
	v_cmpx_gt_u32_e32 0x47800000, v4
	s_cbranch_execz .LBB34_969
; %bb.964:
	v_and_b32_e32 v2, 0xffff, v3
	v_cmp_lt_u32_e32 vcc_lo, 0x37ffffff, v4
	s_mov_b32 s18, 0
                                        ; implicit-def: $vgpr4
	s_and_saveexec_b32 s19, vcc_lo
	s_xor_b32 s19, exec_lo, s19
	s_cbranch_execz .LBB34_1188
; %bb.965:
	v_bfe_u32 v4, v2, 5, 1
	s_mov_b32 s18, exec_lo
	v_add3_u32 v4, v5, v4, 0x88fffff
                                        ; implicit-def: $vgpr5
	v_lshrrev_b32_e32 v4, 21, v4
	s_andn2_saveexec_b32 s19, s19
	s_cbranch_execnz .LBB34_1189
.LBB34_966:
	s_or_b32 exec_lo, exec_lo, s19
	v_mov_b32_e32 v6, 0
	s_and_saveexec_b32 s19, s18
.LBB34_967:
	v_lshrrev_b32_e32 v2, 8, v2
	v_and_or_b32 v6, 0x80, v2, v4
.LBB34_968:
	s_or_b32 exec_lo, exec_lo, s19
.LBB34_969:
	s_or_b32 exec_lo, exec_lo, s17
	s_mov_b32 s17, 0
	global_store_byte v[0:1], v6, off
.LBB34_970:
	s_and_b32 vcc_lo, exec_lo, s17
	s_cbranch_vccz .LBB34_980
; %bb.971:
	v_lshlrev_b32_e32 v5, 16, v3
	v_and_b32_e32 v2, 0xffff, v3
	s_mov_b32 s17, exec_lo
                                        ; implicit-def: $vgpr4
	v_and_b32_e32 v6, 0x7fffffff, v5
	v_cmpx_gt_u32_e32 0x43f00000, v6
	s_xor_b32 s17, exec_lo, s17
	s_cbranch_execz .LBB34_977
; %bb.972:
	s_mov_b32 s18, exec_lo
                                        ; implicit-def: $vgpr4
	v_cmpx_lt_u32_e32 0x3c7fffff, v6
	s_xor_b32 s18, exec_lo, s18
; %bb.973:
	v_bfe_u32 v4, v2, 4, 1
	v_add3_u32 v4, v5, v4, 0x407ffff
	v_and_b32_e32 v5, 0xff00000, v4
	v_lshrrev_b32_e32 v4, 20, v4
	v_cmp_ne_u32_e32 vcc_lo, 0x7f00000, v5
                                        ; implicit-def: $vgpr5
	v_cndmask_b32_e32 v4, 0x7e, v4, vcc_lo
; %bb.974:
	s_andn2_saveexec_b32 s18, s18
; %bb.975:
	v_add_f32_e64 v4, 0x46800000, |v5|
; %bb.976:
	s_or_b32 exec_lo, exec_lo, s18
                                        ; implicit-def: $vgpr6
.LBB34_977:
	s_andn2_saveexec_b32 s17, s17
; %bb.978:
	v_mov_b32_e32 v4, 0x7f
	v_cmp_lt_u32_e32 vcc_lo, 0x7f800000, v6
	v_cndmask_b32_e32 v4, 0x7e, v4, vcc_lo
; %bb.979:
	s_or_b32 exec_lo, exec_lo, s17
	v_lshrrev_b32_e32 v2, 8, v2
	v_and_or_b32 v2, 0x80, v2, v4
	global_store_byte v[0:1], v2, off
.LBB34_980:
	s_mov_b32 s17, 0
.LBB34_981:
	s_andn2_b32 vcc_lo, exec_lo, s17
	s_cbranch_vccnz .LBB34_991
; %bb.982:
	v_lshlrev_b32_e32 v5, 16, v3
	v_and_b32_e32 v2, 0xffff, v3
	s_mov_b32 s17, exec_lo
                                        ; implicit-def: $vgpr4
	v_and_b32_e32 v6, 0x7fffffff, v5
	v_cmpx_gt_u32_e32 0x47800000, v6
	s_xor_b32 s17, exec_lo, s17
	s_cbranch_execz .LBB34_988
; %bb.983:
	s_mov_b32 s18, exec_lo
                                        ; implicit-def: $vgpr4
	v_cmpx_lt_u32_e32 0x387fffff, v6
	s_xor_b32 s18, exec_lo, s18
; %bb.984:
	v_bfe_u32 v4, v2, 5, 1
	v_add3_u32 v4, v5, v4, 0x80fffff
                                        ; implicit-def: $vgpr5
	v_lshrrev_b32_e32 v4, 21, v4
; %bb.985:
	s_andn2_saveexec_b32 s18, s18
; %bb.986:
	v_add_f32_e64 v4, 0x43000000, |v5|
; %bb.987:
	s_or_b32 exec_lo, exec_lo, s18
                                        ; implicit-def: $vgpr6
.LBB34_988:
	s_andn2_saveexec_b32 s17, s17
; %bb.989:
	v_mov_b32_e32 v4, 0x7f
	v_cmp_lt_u32_e32 vcc_lo, 0x7f800000, v6
	v_cndmask_b32_e32 v4, 0x7c, v4, vcc_lo
; %bb.990:
	s_or_b32 exec_lo, exec_lo, s17
	v_lshrrev_b32_e32 v2, 8, v2
	v_and_or_b32 v2, 0x80, v2, v4
	global_store_byte v[0:1], v2, off
.LBB34_991:
	s_mov_b32 s17, 0
.LBB34_992:
	s_andn2_b32 vcc_lo, exec_lo, s17
	s_mov_b32 s17, 0
	s_cbranch_vccnz .LBB34_1003
; %bb.993:
	s_cmp_gt_i32 s15, 14
	s_mov_b32 s17, -1
	s_cbranch_scc0 .LBB34_997
; %bb.994:
	s_cmp_eq_u32 s15, 15
	s_mov_b32 s0, -1
	s_cbranch_scc0 .LBB34_996
; %bb.995:
	s_mov_b32 s0, 0
	global_store_short v[0:1], v3, off
.LBB34_996:
	s_mov_b32 s17, 0
.LBB34_997:
	s_and_b32 vcc_lo, exec_lo, s17
	s_mov_b32 s17, 0
	s_cbranch_vccz .LBB34_1003
; %bb.998:
	s_cmp_lg_u32 s15, 11
	s_mov_b32 s17, -1
	s_cselect_b32 s15, -1, 0
	s_andn2_b32 s0, s0, exec_lo
	s_and_b32 s15, s15, exec_lo
	s_or_b32 s0, s0, s15
	s_branch .LBB34_1003
.LBB34_999:
	s_or_b32 exec_lo, exec_lo, s14
	s_and_saveexec_b32 s0, s12
	s_cbranch_execnz .LBB34_1004
.LBB34_1000:
	s_or_b32 exec_lo, exec_lo, s0
	s_and_saveexec_b32 s0, s16
	s_xor_b32 s0, exec_lo, s0
	s_cbranch_execz .LBB34_1005
.LBB34_1001:
	s_waitcnt vmcnt(0)
	v_and_b32_e32 v2, 0x7fff, v3
	v_cmp_ne_u16_e32 vcc_lo, 0, v2
	v_cndmask_b32_e64 v2, 0, 1, vcc_lo
	global_store_byte v[0:1], v2, off
	s_or_b32 exec_lo, exec_lo, s0
	s_and_saveexec_b32 s0, s15
	s_xor_b32 s0, exec_lo, s0
	s_cbranch_execz .LBB34_1043
	s_branch .LBB34_1006
.LBB34_1002:
	s_mov_b32 s17, 0
.LBB34_1003:
	s_andn2_b32 s12, s12, exec_lo
	s_and_b32 s0, s0, exec_lo
	s_and_b32 s15, s16, exec_lo
	;; [unrolled: 1-line block ×3, first 2 shown]
	s_or_b32 s12, s12, s0
	s_or_b32 exec_lo, exec_lo, s14
	s_and_saveexec_b32 s0, s12
	s_cbranch_execz .LBB34_1000
.LBB34_1004:
	s_or_b32 s13, s13, exec_lo
	s_andn2_b32 s16, s16, exec_lo
	s_trap 2
	s_or_b32 exec_lo, exec_lo, s0
	s_and_saveexec_b32 s0, s16
	s_xor_b32 s0, exec_lo, s0
	s_cbranch_execnz .LBB34_1001
.LBB34_1005:
	s_or_b32 exec_lo, exec_lo, s0
	s_and_saveexec_b32 s0, s15
	s_xor_b32 s0, exec_lo, s0
	s_cbranch_execz .LBB34_1043
.LBB34_1006:
	s_sext_i32_i16 s14, s1
	s_mov_b32 s12, -1
	s_cmp_lt_i32 s14, 5
	s_cbranch_scc1 .LBB34_1027
; %bb.1007:
	s_cmp_lt_i32 s14, 8
	s_cbranch_scc1 .LBB34_1017
; %bb.1008:
	;; [unrolled: 3-line block ×3, first 2 shown]
	s_cmp_gt_i32 s14, 9
	s_cbranch_scc0 .LBB34_1011
; %bb.1010:
	s_waitcnt vmcnt(0)
	v_lshlrev_b32_e32 v2, 16, v3
	v_mov_b32_e32 v6, 0
	s_mov_b32 s12, 0
	v_cvt_f64_f32_e32 v[4:5], v2
	v_mov_b32_e32 v7, v6
	global_store_dwordx4 v[0:1], v[4:7], off
.LBB34_1011:
	s_andn2_b32 vcc_lo, exec_lo, s12
	s_cbranch_vccnz .LBB34_1013
; %bb.1012:
	s_waitcnt vmcnt(0)
	v_lshlrev_b32_e32 v4, 16, v3
	v_mov_b32_e32 v5, 0
	global_store_dwordx2 v[0:1], v[4:5], off
.LBB34_1013:
	s_mov_b32 s12, 0
.LBB34_1014:
	s_andn2_b32 vcc_lo, exec_lo, s12
	s_cbranch_vccnz .LBB34_1016
; %bb.1015:
	s_waitcnt vmcnt(0)
	v_lshlrev_b32_e32 v2, 16, v3
	v_cvt_f16_f32_e32 v2, v2
	v_and_b32_e32 v2, 0xffff, v2
	global_store_dword v[0:1], v2, off
.LBB34_1016:
	s_mov_b32 s12, 0
.LBB34_1017:
	s_andn2_b32 vcc_lo, exec_lo, s12
	s_cbranch_vccnz .LBB34_1026
; %bb.1018:
	s_sext_i32_i16 s14, s1
	s_mov_b32 s12, -1
	s_cmp_lt_i32 s14, 6
	s_cbranch_scc1 .LBB34_1024
; %bb.1019:
	s_cmp_gt_i32 s14, 6
	s_cbranch_scc0 .LBB34_1021
; %bb.1020:
	s_waitcnt vmcnt(0)
	v_lshlrev_b32_e32 v2, 16, v3
	s_mov_b32 s12, 0
	v_cvt_f64_f32_e32 v[4:5], v2
	global_store_dwordx2 v[0:1], v[4:5], off
.LBB34_1021:
	s_andn2_b32 vcc_lo, exec_lo, s12
	s_cbranch_vccnz .LBB34_1023
; %bb.1022:
	s_waitcnt vmcnt(0)
	v_lshlrev_b32_e32 v2, 16, v3
	global_store_dword v[0:1], v2, off
.LBB34_1023:
	s_mov_b32 s12, 0
.LBB34_1024:
	s_andn2_b32 vcc_lo, exec_lo, s12
	s_cbranch_vccnz .LBB34_1026
; %bb.1025:
	s_waitcnt vmcnt(0)
	v_lshlrev_b32_e32 v2, 16, v3
	v_cvt_f16_f32_e32 v2, v2
	global_store_short v[0:1], v2, off
.LBB34_1026:
	s_mov_b32 s12, 0
.LBB34_1027:
	s_andn2_b32 vcc_lo, exec_lo, s12
	s_cbranch_vccnz .LBB34_1043
; %bb.1028:
	s_sext_i32_i16 s14, s1
	s_mov_b32 s12, -1
	s_cmp_lt_i32 s14, 2
	s_cbranch_scc1 .LBB34_1038
; %bb.1029:
	s_cmp_lt_i32 s14, 3
	s_cbranch_scc1 .LBB34_1035
; %bb.1030:
	s_cmp_gt_i32 s14, 3
	s_cbranch_scc0 .LBB34_1032
; %bb.1031:
	s_waitcnt vmcnt(0)
	v_lshlrev_b32_e32 v2, 16, v3
	s_mov_b32 s12, 0
	v_trunc_f32_e32 v2, v2
	v_mul_f32_e64 v4, 0x2f800000, |v2|
	v_floor_f32_e32 v4, v4
	v_fma_f32 v5, 0xcf800000, v4, |v2|
	v_ashrrev_i32_e32 v2, 31, v2
	v_cvt_u32_f32_e32 v4, v4
	v_cvt_u32_f32_e32 v5, v5
	v_xor_b32_e32 v6, v4, v2
	v_xor_b32_e32 v5, v5, v2
	v_sub_co_u32 v4, vcc_lo, v5, v2
	v_sub_co_ci_u32_e64 v5, null, v6, v2, vcc_lo
	global_store_dwordx2 v[0:1], v[4:5], off
.LBB34_1032:
	s_andn2_b32 vcc_lo, exec_lo, s12
	s_cbranch_vccnz .LBB34_1034
; %bb.1033:
	s_waitcnt vmcnt(0)
	v_lshlrev_b32_e32 v2, 16, v3
	v_cvt_i32_f32_e32 v2, v2
	global_store_dword v[0:1], v2, off
.LBB34_1034:
	s_mov_b32 s12, 0
.LBB34_1035:
	s_andn2_b32 vcc_lo, exec_lo, s12
	s_cbranch_vccnz .LBB34_1037
; %bb.1036:
	s_waitcnt vmcnt(0)
	v_lshlrev_b32_e32 v2, 16, v3
	v_cvt_i32_f32_e32 v2, v2
	global_store_short v[0:1], v2, off
.LBB34_1037:
	s_mov_b32 s12, 0
.LBB34_1038:
	s_andn2_b32 vcc_lo, exec_lo, s12
	s_cbranch_vccnz .LBB34_1043
; %bb.1039:
	s_waitcnt vmcnt(0)
	v_lshlrev_b32_e32 v2, 16, v3
	s_sext_i32_i16 s1, s1
	s_cmp_gt_i32 s1, 0
	s_mov_b32 s1, -1
	s_cbranch_scc0 .LBB34_1041
; %bb.1040:
	v_cvt_i32_f32_e32 v3, v2
	s_mov_b32 s1, 0
	global_store_byte v[0:1], v3, off
.LBB34_1041:
	s_andn2_b32 vcc_lo, exec_lo, s1
	s_cbranch_vccnz .LBB34_1043
; %bb.1042:
	v_trunc_f32_e32 v2, v2
	v_mul_f32_e64 v3, 0x2f800000, |v2|
	v_floor_f32_e32 v3, v3
	v_fma_f32 v3, 0xcf800000, v3, |v2|
	v_ashrrev_i32_e32 v2, 31, v2
	v_cvt_u32_f32_e32 v3, v3
	v_xor_b32_e32 v3, v3, v2
	v_sub_nc_u32_e32 v2, v3, v2
	global_store_byte v[0:1], v2, off
.LBB34_1043:
	s_or_b32 exec_lo, exec_lo, s0
	s_and_b32 s12, s13, exec_lo
                                        ; implicit-def: $vgpr2
.LBB34_1044:
	s_or_saveexec_b32 s7, s7
	s_mov_b32 s0, 0
                                        ; implicit-def: $sgpr1
                                        ; implicit-def: $vgpr0_vgpr1
                                        ; implicit-def: $vgpr3
	s_xor_b32 exec_lo, exec_lo, s7
	s_cbranch_execz .LBB34_2009
; %bb.1045:
	v_mul_lo_u32 v7, s3, v2
	s_and_b32 s6, 0xffff, s6
	s_cmp_lt_i32 s6, 11
	v_ashrrev_i32_e32 v1, 31, v7
	v_add_co_u32 v0, vcc_lo, s10, v7
	v_add_co_ci_u32_e64 v1, null, s11, v1, vcc_lo
	s_cbranch_scc1 .LBB34_1052
; %bb.1046:
	s_cmp_gt_i32 s6, 25
	s_mov_b32 s1, 0
	s_cbranch_scc0 .LBB34_1054
; %bb.1047:
	s_cmp_gt_i32 s6, 28
	s_cbranch_scc0 .LBB34_1055
; %bb.1048:
	s_cmp_gt_i32 s6, 43
	;; [unrolled: 3-line block ×3, first 2 shown]
	s_cbranch_scc0 .LBB34_1057
; %bb.1050:
	s_cmp_eq_u32 s6, 46
	s_cbranch_scc0 .LBB34_1060
; %bb.1051:
	global_load_dword v3, v[0:1], off
	s_mov_b32 s13, -1
	s_branch .LBB34_1062
.LBB34_1052:
	s_mov_b32 s13, 0
	s_mov_b32 s5, s12
                                        ; implicit-def: $vgpr3
	s_cbranch_execnz .LBB34_1125
.LBB34_1053:
	s_andn2_b32 vcc_lo, exec_lo, s13
	s_cbranch_vccz .LBB34_1170
	s_branch .LBB34_2007
.LBB34_1054:
	s_mov_b32 s13, 0
                                        ; implicit-def: $vgpr3
	s_cbranch_execnz .LBB34_1090
	s_branch .LBB34_1121
.LBB34_1055:
	s_mov_b32 s5, -1
	s_mov_b32 s13, 0
                                        ; implicit-def: $vgpr3
	s_branch .LBB34_1071
.LBB34_1056:
	s_mov_b32 s13, 0
                                        ; implicit-def: $vgpr3
	s_cbranch_execnz .LBB34_1067
	s_branch .LBB34_1070
.LBB34_1057:
	s_mov_b32 s5, -1
	s_branch .LBB34_1061
.LBB34_1058:
	s_andn2_saveexec_b32 s18, s18
	s_cbranch_execz .LBB34_954
.LBB34_1059:
	v_add_f32_e64 v4, 0x46000000, |v5|
	s_andn2_b32 s17, s17, exec_lo
	v_and_b32_e32 v4, 0xff, v4
	v_cmp_ne_u32_e32 vcc_lo, 0, v4
	s_and_b32 s19, vcc_lo, exec_lo
	s_or_b32 s17, s17, s19
	s_or_b32 exec_lo, exec_lo, s18
	v_mov_b32_e32 v6, 0
	s_and_saveexec_b32 s18, s17
	s_cbranch_execnz .LBB34_955
	s_branch .LBB34_956
.LBB34_1060:
	s_mov_b32 s0, -1
.LBB34_1061:
	s_mov_b32 s13, 0
                                        ; implicit-def: $vgpr3
.LBB34_1062:
	s_and_b32 vcc_lo, exec_lo, s5
	s_cbranch_vccz .LBB34_1065
; %bb.1063:
	s_cmp_eq_u32 s6, 44
	s_cbranch_scc0 .LBB34_1066
; %bb.1064:
	global_load_ubyte v3, v[0:1], off
	s_mov_b32 s0, 0
	s_mov_b32 s13, -1
	s_waitcnt vmcnt(0)
	v_lshlrev_b32_e32 v4, 23, v3
	v_cmp_ne_u32_e32 vcc_lo, 0xff, v3
	v_cndmask_b32_e32 v4, 0x7f800001, v4, vcc_lo
	v_cmp_ne_u32_e32 vcc_lo, 0, v3
	v_cndmask_b32_e32 v3, 0x400000, v4, vcc_lo
	v_mov_b32_e32 v4, 0x7fc0
	v_cmp_o_f32_e32 vcc_lo, v3, v3
	v_add_nc_u32_e32 v3, 0x7fff, v3
	v_cndmask_b32_sdwa v3, v4, v3, vcc_lo dst_sel:DWORD dst_unused:UNUSED_PAD src0_sel:DWORD src1_sel:WORD_1
.LBB34_1065:
	s_branch .LBB34_1070
.LBB34_1066:
	s_mov_b32 s0, -1
                                        ; implicit-def: $vgpr3
	s_branch .LBB34_1070
.LBB34_1067:
	s_cmp_eq_u32 s6, 29
	s_cbranch_scc0 .LBB34_1069
; %bb.1068:
	global_load_dwordx2 v[3:4], v[0:1], off
	s_mov_b32 s0, 0
	s_mov_b32 s13, -1
	s_mov_b32 s5, 0
	s_waitcnt vmcnt(0)
	v_ffbh_u32_e32 v5, v4
	v_min_u32_e32 v5, 32, v5
	v_lshlrev_b64 v[3:4], v5, v[3:4]
	v_min_u32_e32 v3, 1, v3
	v_or_b32_e32 v3, v4, v3
	v_sub_nc_u32_e32 v4, 32, v5
	v_cvt_f32_u32_e32 v3, v3
	v_ldexp_f32 v3, v3, v4
	v_bfe_u32 v4, v3, 16, 1
	v_add3_u32 v3, v3, v4, 0x7fff
	v_lshrrev_b32_e32 v3, 16, v3
	s_branch .LBB34_1071
.LBB34_1069:
	s_mov_b32 s0, -1
                                        ; implicit-def: $vgpr3
.LBB34_1070:
	s_mov_b32 s5, 0
.LBB34_1071:
	s_and_b32 vcc_lo, exec_lo, s5
	s_cbranch_vccz .LBB34_1089
; %bb.1072:
	s_cmp_lt_i32 s6, 27
	s_cbranch_scc1 .LBB34_1075
; %bb.1073:
	s_cmp_gt_i32 s6, 27
	s_cbranch_scc0 .LBB34_1076
; %bb.1074:
	global_load_dword v3, v[0:1], off
	s_mov_b32 s5, 0
	s_waitcnt vmcnt(0)
	v_cvt_f32_u32_e32 v3, v3
	v_bfe_u32 v4, v3, 16, 1
	v_add3_u32 v3, v3, v4, 0x7fff
	v_lshrrev_b32_e32 v3, 16, v3
	s_branch .LBB34_1077
.LBB34_1075:
	s_mov_b32 s5, -1
                                        ; implicit-def: $vgpr3
	s_branch .LBB34_1080
.LBB34_1076:
	s_mov_b32 s5, -1
                                        ; implicit-def: $vgpr3
.LBB34_1077:
	s_andn2_b32 vcc_lo, exec_lo, s5
	s_cbranch_vccnz .LBB34_1079
; %bb.1078:
	global_load_ushort v3, v[0:1], off
	s_waitcnt vmcnt(0)
	v_cvt_f32_u32_e32 v3, v3
	v_bfe_u32 v4, v3, 16, 1
	v_add3_u32 v3, v3, v4, 0x7fff
	v_lshrrev_b32_e32 v3, 16, v3
.LBB34_1079:
	s_mov_b32 s5, 0
.LBB34_1080:
	s_andn2_b32 vcc_lo, exec_lo, s5
	s_cbranch_vccnz .LBB34_1088
; %bb.1081:
	global_load_ubyte v3, v[0:1], off
	s_mov_b32 s5, 0
	s_mov_b32 s13, exec_lo
	s_waitcnt vmcnt(0)
	v_cmpx_lt_i16_e32 0x7f, v3
	s_xor_b32 s13, exec_lo, s13
	s_cbranch_execz .LBB34_1101
; %bb.1082:
	s_mov_b32 s5, -1
	s_mov_b32 s14, exec_lo
	v_cmpx_eq_u16_e32 0x80, v3
; %bb.1083:
	s_xor_b32 s5, exec_lo, -1
; %bb.1084:
	s_or_b32 exec_lo, exec_lo, s14
	s_and_b32 s5, s5, exec_lo
	s_or_saveexec_b32 s13, s13
	v_mov_b32_e32 v4, 0x7f800001
	s_xor_b32 exec_lo, exec_lo, s13
	s_cbranch_execnz .LBB34_1102
.LBB34_1085:
	s_or_b32 exec_lo, exec_lo, s13
	s_and_saveexec_b32 s13, s5
	s_cbranch_execz .LBB34_1087
.LBB34_1086:
	v_and_b32_e32 v4, 0xffff, v3
	v_lshlrev_b32_e32 v3, 24, v3
	v_and_b32_e32 v5, 7, v4
	v_bfe_u32 v9, v4, 3, 4
	v_and_b32_e32 v3, 0x80000000, v3
	v_ffbh_u32_e32 v6, v5
	v_cmp_eq_u32_e32 vcc_lo, 0, v9
	v_min_u32_e32 v6, 32, v6
	v_subrev_nc_u32_e32 v8, 28, v6
	v_sub_nc_u32_e32 v6, 29, v6
	v_lshlrev_b32_e32 v4, v8, v4
	v_cndmask_b32_e32 v6, v9, v6, vcc_lo
	v_and_b32_e32 v4, 7, v4
	v_cndmask_b32_e32 v4, v5, v4, vcc_lo
	v_lshl_add_u32 v5, v6, 23, 0x3b800000
	v_lshlrev_b32_e32 v4, 20, v4
	v_or3_b32 v4, v3, v5, v4
.LBB34_1087:
	s_or_b32 exec_lo, exec_lo, s13
	v_bfe_u32 v3, v4, 16, 1
	v_cmp_o_f32_e32 vcc_lo, v4, v4
	v_add3_u32 v3, v4, v3, 0x7fff
	v_mov_b32_e32 v4, 0x7fc0
	v_cndmask_b32_sdwa v3, v4, v3, vcc_lo dst_sel:DWORD dst_unused:UNUSED_PAD src0_sel:DWORD src1_sel:WORD_1
.LBB34_1088:
	s_mov_b32 s13, -1
.LBB34_1089:
	s_branch .LBB34_1121
.LBB34_1090:
	s_cmp_gt_i32 s6, 22
	s_cbranch_scc0 .LBB34_1100
; %bb.1091:
	s_cmp_lt_i32 s6, 24
	s_cbranch_scc1 .LBB34_1103
; %bb.1092:
	s_cmp_gt_i32 s6, 24
	s_cbranch_scc0 .LBB34_1104
; %bb.1093:
	global_load_ubyte v3, v[0:1], off
	s_mov_b32 s5, exec_lo
	s_waitcnt vmcnt(0)
	v_cmpx_lt_i16_e32 0x7f, v3
	s_xor_b32 s5, exec_lo, s5
	s_cbranch_execz .LBB34_1115
; %bb.1094:
	s_mov_b32 s1, -1
	s_mov_b32 s13, exec_lo
	v_cmpx_eq_u16_e32 0x80, v3
; %bb.1095:
	s_xor_b32 s1, exec_lo, -1
; %bb.1096:
	s_or_b32 exec_lo, exec_lo, s13
	s_and_b32 s1, s1, exec_lo
	s_or_saveexec_b32 s5, s5
	v_mov_b32_e32 v4, 0x7f800001
	s_xor_b32 exec_lo, exec_lo, s5
	s_cbranch_execnz .LBB34_1116
.LBB34_1097:
	s_or_b32 exec_lo, exec_lo, s5
	s_and_saveexec_b32 s5, s1
	s_cbranch_execz .LBB34_1099
.LBB34_1098:
	v_and_b32_e32 v4, 0xffff, v3
	v_lshlrev_b32_e32 v3, 24, v3
	v_and_b32_e32 v5, 3, v4
	v_bfe_u32 v9, v4, 2, 5
	v_and_b32_e32 v3, 0x80000000, v3
	v_ffbh_u32_e32 v6, v5
	v_cmp_eq_u32_e32 vcc_lo, 0, v9
	v_min_u32_e32 v6, 32, v6
	v_subrev_nc_u32_e32 v8, 29, v6
	v_sub_nc_u32_e32 v6, 30, v6
	v_lshlrev_b32_e32 v4, v8, v4
	v_cndmask_b32_e32 v6, v9, v6, vcc_lo
	v_and_b32_e32 v4, 3, v4
	v_cndmask_b32_e32 v4, v5, v4, vcc_lo
	v_lshl_add_u32 v5, v6, 23, 0x37800000
	v_lshlrev_b32_e32 v4, 21, v4
	v_or3_b32 v4, v3, v5, v4
.LBB34_1099:
	s_or_b32 exec_lo, exec_lo, s5
	v_bfe_u32 v3, v4, 16, 1
	v_cmp_o_f32_e32 vcc_lo, v4, v4
	s_mov_b32 s1, 0
	v_add3_u32 v3, v4, v3, 0x7fff
	v_mov_b32_e32 v4, 0x7fc0
	v_cndmask_b32_sdwa v3, v4, v3, vcc_lo dst_sel:DWORD dst_unused:UNUSED_PAD src0_sel:DWORD src1_sel:WORD_1
	s_branch .LBB34_1105
.LBB34_1100:
                                        ; implicit-def: $vgpr3
	s_mov_b32 s1, 0
	s_branch .LBB34_1111
.LBB34_1101:
	s_or_saveexec_b32 s13, s13
	v_mov_b32_e32 v4, 0x7f800001
	s_xor_b32 exec_lo, exec_lo, s13
	s_cbranch_execz .LBB34_1085
.LBB34_1102:
	v_cmp_ne_u16_e32 vcc_lo, 0, v3
	v_mov_b32_e32 v4, 0
	s_andn2_b32 s5, s5, exec_lo
	s_and_b32 s14, vcc_lo, exec_lo
	s_or_b32 s5, s5, s14
	s_or_b32 exec_lo, exec_lo, s13
	s_and_saveexec_b32 s13, s5
	s_cbranch_execnz .LBB34_1086
	s_branch .LBB34_1087
.LBB34_1103:
	s_mov_b32 s1, -1
                                        ; implicit-def: $vgpr3
	s_branch .LBB34_1108
.LBB34_1104:
	s_mov_b32 s1, -1
                                        ; implicit-def: $vgpr3
.LBB34_1105:
	s_and_b32 vcc_lo, exec_lo, s1
	s_cbranch_vccz .LBB34_1107
; %bb.1106:
	global_load_ubyte v3, v[0:1], off
	s_waitcnt vmcnt(0)
	v_lshlrev_b32_e32 v3, 24, v3
	v_and_b32_e32 v4, 0x7f000000, v3
	v_ffbh_u32_e32 v5, v4
	v_add_nc_u32_e32 v8, 0x1000000, v4
	v_cmp_ne_u32_e32 vcc_lo, 0, v4
	v_min_u32_e32 v5, 32, v5
	v_sub_nc_u32_e64 v5, v5, 4 clamp
	v_lshlrev_b32_e32 v6, v5, v4
	v_lshlrev_b32_e32 v5, 23, v5
	v_lshrrev_b32_e32 v6, 4, v6
	v_sub_nc_u32_e32 v5, v6, v5
	v_ashrrev_i32_e32 v6, 8, v8
	v_add_nc_u32_e32 v5, 0x3c000000, v5
	v_and_or_b32 v5, 0x7f800000, v6, v5
	v_cndmask_b32_e32 v4, 0, v5, vcc_lo
	v_and_or_b32 v3, 0x80000000, v3, v4
	v_bfe_u32 v4, v4, 16, 1
	v_cmp_o_f32_e32 vcc_lo, v3, v3
	v_add3_u32 v3, v3, v4, 0x7fff
	v_mov_b32_e32 v4, 0x7fc0
	v_cndmask_b32_sdwa v3, v4, v3, vcc_lo dst_sel:DWORD dst_unused:UNUSED_PAD src0_sel:DWORD src1_sel:WORD_1
.LBB34_1107:
	s_mov_b32 s1, 0
.LBB34_1108:
	s_andn2_b32 vcc_lo, exec_lo, s1
	s_cbranch_vccnz .LBB34_1110
; %bb.1109:
	global_load_ubyte v3, v[0:1], off
	s_waitcnt vmcnt(0)
	v_lshlrev_b32_e32 v4, 25, v3
	v_lshlrev_b16 v3, 8, v3
	v_lshrrev_b32_e32 v5, 4, v4
	v_and_or_b32 v6, 0x7f00, v3, 0.5
	v_cmp_gt_u32_e32 vcc_lo, 0x8000000, v4
	v_bfe_i32 v3, v3, 0, 16
	v_or_b32_e32 v5, 0x70000000, v5
	v_add_f32_e32 v6, -0.5, v6
	v_mul_f32_e32 v5, 0x7800000, v5
	v_cndmask_b32_e32 v4, v5, v6, vcc_lo
	v_and_or_b32 v3, 0x80000000, v3, v4
	v_bfe_u32 v4, v4, 16, 1
	v_cmp_o_f32_e32 vcc_lo, v3, v3
	v_add3_u32 v3, v3, v4, 0x7fff
	v_mov_b32_e32 v4, 0x7fc0
	v_cndmask_b32_sdwa v3, v4, v3, vcc_lo dst_sel:DWORD dst_unused:UNUSED_PAD src0_sel:DWORD src1_sel:WORD_1
.LBB34_1110:
	s_mov_b32 s13, -1
	s_mov_b32 s1, 0
	s_cbranch_execnz .LBB34_1121
.LBB34_1111:
	s_cmp_gt_i32 s6, 14
	s_cbranch_scc0 .LBB34_1114
; %bb.1112:
	s_cmp_eq_u32 s6, 15
	s_cbranch_scc0 .LBB34_1117
; %bb.1113:
	global_load_ushort v3, v[0:1], off
	s_mov_b32 s0, 0
	s_mov_b32 s13, -1
	s_branch .LBB34_1119
.LBB34_1114:
	s_mov_b32 s1, -1
	s_branch .LBB34_1118
.LBB34_1115:
	s_or_saveexec_b32 s5, s5
	v_mov_b32_e32 v4, 0x7f800001
	s_xor_b32 exec_lo, exec_lo, s5
	s_cbranch_execz .LBB34_1097
.LBB34_1116:
	v_cmp_ne_u16_e32 vcc_lo, 0, v3
	v_mov_b32_e32 v4, 0
	s_andn2_b32 s1, s1, exec_lo
	s_and_b32 s13, vcc_lo, exec_lo
	s_or_b32 s1, s1, s13
	s_or_b32 exec_lo, exec_lo, s5
	s_and_saveexec_b32 s5, s1
	s_cbranch_execnz .LBB34_1098
	s_branch .LBB34_1099
.LBB34_1117:
	s_mov_b32 s0, -1
.LBB34_1118:
                                        ; implicit-def: $vgpr3
.LBB34_1119:
	s_and_b32 vcc_lo, exec_lo, s1
	s_mov_b32 s1, 0
	s_cbranch_vccz .LBB34_1121
; %bb.1120:
	s_cmp_lg_u32 s6, 11
	s_mov_b32 s1, -1
	s_cselect_b32 s0, -1, 0
.LBB34_1121:
	s_and_b32 vcc_lo, exec_lo, s0
	s_mov_b32 s5, s12
	s_cbranch_vccnz .LBB34_1186
; %bb.1122:
	s_andn2_b32 vcc_lo, exec_lo, s1
	s_cbranch_vccnz .LBB34_1124
.LBB34_1123:
	global_load_ubyte v3, v[0:1], off
	s_mov_b32 s13, -1
	s_waitcnt vmcnt(0)
	v_cmp_ne_u16_e32 vcc_lo, 0, v3
	v_cndmask_b32_e64 v3, 0, 1.0, vcc_lo
	v_lshrrev_b32_e32 v3, 16, v3
.LBB34_1124:
	s_branch .LBB34_1053
.LBB34_1125:
	s_cmp_lt_i32 s6, 5
	s_cbranch_scc1 .LBB34_1130
; %bb.1126:
	s_cmp_lt_i32 s6, 8
	s_cbranch_scc1 .LBB34_1131
; %bb.1127:
	;; [unrolled: 3-line block ×3, first 2 shown]
	s_cmp_gt_i32 s6, 9
	s_cbranch_scc0 .LBB34_1133
; %bb.1129:
	global_load_dwordx2 v[3:4], v[0:1], off
	s_mov_b32 s0, 0
	s_waitcnt vmcnt(0)
	v_cvt_f32_f64_e32 v3, v[3:4]
	v_bfe_u32 v4, v3, 16, 1
	v_cmp_o_f32_e32 vcc_lo, v3, v3
	v_add3_u32 v3, v3, v4, 0x7fff
	v_mov_b32_e32 v4, 0x7fc0
	v_cndmask_b32_sdwa v3, v4, v3, vcc_lo dst_sel:DWORD dst_unused:UNUSED_PAD src0_sel:DWORD src1_sel:WORD_1
	s_branch .LBB34_1134
.LBB34_1130:
                                        ; implicit-def: $vgpr3
	s_branch .LBB34_1151
.LBB34_1131:
                                        ; implicit-def: $vgpr3
	s_branch .LBB34_1140
.LBB34_1132:
	s_mov_b32 s0, -1
                                        ; implicit-def: $vgpr3
	s_branch .LBB34_1137
.LBB34_1133:
	s_mov_b32 s0, -1
                                        ; implicit-def: $vgpr3
.LBB34_1134:
	s_andn2_b32 vcc_lo, exec_lo, s0
	s_cbranch_vccnz .LBB34_1136
; %bb.1135:
	global_load_dword v3, v[0:1], off
	s_waitcnt vmcnt(0)
	v_bfe_u32 v4, v3, 16, 1
	v_cmp_o_f32_e32 vcc_lo, v3, v3
	v_add3_u32 v3, v3, v4, 0x7fff
	v_mov_b32_e32 v4, 0x7fc0
	v_cndmask_b32_sdwa v3, v4, v3, vcc_lo dst_sel:DWORD dst_unused:UNUSED_PAD src0_sel:DWORD src1_sel:WORD_1
.LBB34_1136:
	s_mov_b32 s0, 0
.LBB34_1137:
	s_andn2_b32 vcc_lo, exec_lo, s0
	s_cbranch_vccnz .LBB34_1139
; %bb.1138:
	global_load_dword v3, v[0:1], off
	s_waitcnt vmcnt(0)
	v_cvt_f32_f16_e32 v4, v3
	v_cmp_o_f16_e32 vcc_lo, v3, v3
	v_bfe_u32 v5, v4, 16, 1
	v_add3_u32 v3, v4, v5, 0x7fff
	v_mov_b32_e32 v4, 0x7fc0
	v_cndmask_b32_sdwa v3, v4, v3, vcc_lo dst_sel:DWORD dst_unused:UNUSED_PAD src0_sel:DWORD src1_sel:WORD_1
.LBB34_1139:
	s_cbranch_execnz .LBB34_1150
.LBB34_1140:
	s_cmp_lt_i32 s6, 6
	s_cbranch_scc1 .LBB34_1143
; %bb.1141:
	s_cmp_gt_i32 s6, 6
	s_cbranch_scc0 .LBB34_1144
; %bb.1142:
	global_load_dwordx2 v[3:4], v[0:1], off
	s_mov_b32 s0, 0
	s_waitcnt vmcnt(0)
	v_cvt_f32_f64_e32 v3, v[3:4]
	v_bfe_u32 v4, v3, 16, 1
	v_cmp_o_f32_e32 vcc_lo, v3, v3
	v_add3_u32 v3, v3, v4, 0x7fff
	v_mov_b32_e32 v4, 0x7fc0
	v_cndmask_b32_sdwa v3, v4, v3, vcc_lo dst_sel:DWORD dst_unused:UNUSED_PAD src0_sel:DWORD src1_sel:WORD_1
	s_branch .LBB34_1145
.LBB34_1143:
	s_mov_b32 s0, -1
                                        ; implicit-def: $vgpr3
	s_branch .LBB34_1148
.LBB34_1144:
	s_mov_b32 s0, -1
                                        ; implicit-def: $vgpr3
.LBB34_1145:
	s_andn2_b32 vcc_lo, exec_lo, s0
	s_cbranch_vccnz .LBB34_1147
; %bb.1146:
	global_load_dword v3, v[0:1], off
	s_waitcnt vmcnt(0)
	v_bfe_u32 v4, v3, 16, 1
	v_cmp_o_f32_e32 vcc_lo, v3, v3
	v_add3_u32 v3, v3, v4, 0x7fff
	v_mov_b32_e32 v4, 0x7fc0
	v_cndmask_b32_sdwa v3, v4, v3, vcc_lo dst_sel:DWORD dst_unused:UNUSED_PAD src0_sel:DWORD src1_sel:WORD_1
.LBB34_1147:
	s_mov_b32 s0, 0
.LBB34_1148:
	s_andn2_b32 vcc_lo, exec_lo, s0
	s_cbranch_vccnz .LBB34_1150
; %bb.1149:
	global_load_ushort v3, v[0:1], off
	s_waitcnt vmcnt(0)
	v_cvt_f32_f16_e32 v4, v3
	v_cmp_o_f16_e32 vcc_lo, v3, v3
	v_bfe_u32 v5, v4, 16, 1
	v_add3_u32 v3, v4, v5, 0x7fff
	v_mov_b32_e32 v4, 0x7fc0
	v_cndmask_b32_sdwa v3, v4, v3, vcc_lo dst_sel:DWORD dst_unused:UNUSED_PAD src0_sel:DWORD src1_sel:WORD_1
.LBB34_1150:
	s_cbranch_execnz .LBB34_1169
.LBB34_1151:
	s_cmp_lt_i32 s6, 2
	s_cbranch_scc1 .LBB34_1155
; %bb.1152:
	s_cmp_lt_i32 s6, 3
	s_cbranch_scc1 .LBB34_1156
; %bb.1153:
	s_cmp_gt_i32 s6, 3
	s_cbranch_scc0 .LBB34_1157
; %bb.1154:
	global_load_dwordx2 v[3:4], v[0:1], off
	s_mov_b32 s0, 0
	s_waitcnt vmcnt(0)
	v_xor_b32_e32 v5, v3, v4
	v_ffbh_i32_e32 v6, v4
	v_ashrrev_i32_e32 v5, 31, v5
	v_add_nc_u32_e32 v6, -1, v6
	v_add_nc_u32_e32 v5, 32, v5
	v_min_u32_e32 v5, v6, v5
	v_lshlrev_b64 v[3:4], v5, v[3:4]
	v_min_u32_e32 v3, 1, v3
	v_or_b32_e32 v3, v4, v3
	v_sub_nc_u32_e32 v4, 32, v5
	v_cvt_f32_i32_e32 v3, v3
	v_ldexp_f32 v3, v3, v4
	v_bfe_u32 v4, v3, 16, 1
	v_add3_u32 v3, v3, v4, 0x7fff
	v_lshrrev_b32_e32 v3, 16, v3
	s_branch .LBB34_1158
.LBB34_1155:
                                        ; implicit-def: $vgpr3
	s_branch .LBB34_1164
.LBB34_1156:
	s_mov_b32 s0, -1
                                        ; implicit-def: $vgpr3
	s_branch .LBB34_1161
.LBB34_1157:
	s_mov_b32 s0, -1
                                        ; implicit-def: $vgpr3
.LBB34_1158:
	s_andn2_b32 vcc_lo, exec_lo, s0
	s_cbranch_vccnz .LBB34_1160
; %bb.1159:
	global_load_dword v3, v[0:1], off
	s_waitcnt vmcnt(0)
	v_cvt_f32_i32_e32 v3, v3
	v_bfe_u32 v4, v3, 16, 1
	v_add3_u32 v3, v3, v4, 0x7fff
	v_lshrrev_b32_e32 v3, 16, v3
.LBB34_1160:
	s_mov_b32 s0, 0
.LBB34_1161:
	s_andn2_b32 vcc_lo, exec_lo, s0
	s_cbranch_vccnz .LBB34_1163
; %bb.1162:
	global_load_sshort v3, v[0:1], off
	s_waitcnt vmcnt(0)
	v_cvt_f32_i32_e32 v3, v3
	v_bfe_u32 v4, v3, 16, 1
	v_add3_u32 v3, v3, v4, 0x7fff
	v_lshrrev_b32_e32 v3, 16, v3
.LBB34_1163:
	s_cbranch_execnz .LBB34_1169
.LBB34_1164:
	s_cmp_gt_i32 s6, 0
	s_mov_b32 s0, 0
	s_cbranch_scc0 .LBB34_1166
; %bb.1165:
	global_load_sbyte v3, v[0:1], off
	s_waitcnt vmcnt(0)
	v_cvt_f32_i32_e32 v3, v3
	v_bfe_u32 v4, v3, 16, 1
	v_add3_u32 v3, v3, v4, 0x7fff
	v_lshrrev_b32_e32 v3, 16, v3
	s_branch .LBB34_1167
.LBB34_1166:
	s_mov_b32 s0, -1
                                        ; implicit-def: $vgpr3
.LBB34_1167:
	s_andn2_b32 vcc_lo, exec_lo, s0
	s_cbranch_vccnz .LBB34_1169
; %bb.1168:
	global_load_ubyte v0, v[0:1], off
	s_waitcnt vmcnt(0)
	v_cvt_f32_ubyte0_e32 v0, v0
	v_bfe_u32 v1, v0, 16, 1
	v_add3_u32 v0, v0, v1, 0x7fff
	v_lshrrev_b32_e32 v3, 16, v0
.LBB34_1169:
.LBB34_1170:
	s_waitcnt vmcnt(0)
	v_lshlrev_b32_e32 v3, 16, v3
                                        ; implicit-def: $vgpr6
                                        ; implicit-def: $vgpr5
	s_mov_b32 s1, exec_lo
	v_and_b32_e32 v4, 0x7fffffff, v3
	v_cmpx_ngt_f32_e64 0x48000000, |v3|
	s_xor_b32 s13, exec_lo, s1
	s_cbranch_execz .LBB34_1172
; %bb.1171:
	s_mov_b32 s0, 0x7fffff
	v_mov_b32_e32 v6, 0
	v_and_or_b32 v14, v4, s0, 0x800000
	v_mad_u64_u32 v[0:1], null, 0xfe5163ab, v14, 0
	v_mov_b32_e32 v5, v1
	v_lshrrev_b32_e32 v1, 23, v4
	v_mad_u64_u32 v[8:9], null, 0x3c439041, v14, v[5:6]
	v_add_nc_u32_e32 v1, 0xffffff88, v1
	v_cmp_lt_u32_e32 vcc_lo, 63, v1
	v_mov_b32_e32 v5, v9
	v_cndmask_b32_e64 v13, 0, 0xffffffc0, vcc_lo
	v_mad_u64_u32 v[9:10], null, 0xdb629599, v14, v[5:6]
	v_add_nc_u32_e32 v1, v13, v1
	v_mov_b32_e32 v5, v10
	v_cmp_lt_u32_e64 s0, 31, v1
	v_cndmask_b32_e32 v0, v9, v0, vcc_lo
	v_mad_u64_u32 v[10:11], null, 0xf534ddc0, v14, v[5:6]
	v_cndmask_b32_e64 v15, 0, 0xffffffe0, s0
	v_add_nc_u32_e32 v1, v15, v1
	v_mov_b32_e32 v5, v11
	v_cndmask_b32_e32 v8, v10, v8, vcc_lo
	v_cmp_lt_u32_e64 s1, 31, v1
	v_mad_u64_u32 v[11:12], null, 0xfc2757d1, v14, v[5:6]
	v_cndmask_b32_e64 v0, v8, v0, s0
	v_mov_b32_e32 v5, v12
	v_mad_u64_u32 v[12:13], null, 0x4e441529, v14, v[5:6]
	v_mov_b32_e32 v5, v13
	v_cndmask_b32_e64 v13, 0, 0xffffffe0, s1
	v_mad_u64_u32 v[5:6], null, 0xa2f9836e, v14, v[5:6]
	v_cndmask_b32_e32 v14, v12, v10, vcc_lo
	v_add_nc_u32_e32 v1, v13, v1
	v_cndmask_b32_e32 v5, v5, v11, vcc_lo
	v_cndmask_b32_e32 v6, v6, v12, vcc_lo
	;; [unrolled: 1-line block ×3, first 2 shown]
	v_sub_nc_u32_e32 v12, 32, v1
	v_cmp_eq_u32_e32 vcc_lo, 0, v1
	v_cndmask_b32_e64 v10, v5, v14, s0
	v_cndmask_b32_e64 v5, v6, v5, s0
	;; [unrolled: 1-line block ×8, first 2 shown]
	v_alignbit_b32 v13, v5, v10, v12
	v_alignbit_b32 v9, v10, v6, v12
	;; [unrolled: 1-line block ×3, first 2 shown]
	v_cndmask_b32_e32 v1, v13, v5, vcc_lo
	v_cndmask_b32_e32 v5, v9, v10, vcc_lo
	v_cndmask_b32_e32 v6, v11, v6, vcc_lo
	v_bfe_u32 v8, v1, 29, 1
	v_alignbit_b32 v9, v1, v5, 30
	v_alignbit_b32 v5, v5, v6, 30
	;; [unrolled: 1-line block ×3, first 2 shown]
	v_sub_nc_u32_e32 v10, 0, v8
	v_xor_b32_e32 v9, v9, v10
	v_xor_b32_e32 v5, v5, v10
	;; [unrolled: 1-line block ×3, first 2 shown]
	v_lshrrev_b32_e32 v10, 29, v1
	v_ffbh_u32_e32 v11, v9
	v_min_u32_e32 v11, 32, v11
	v_sub_nc_u32_e32 v6, 31, v11
	v_lshlrev_b32_e32 v12, 23, v11
	v_alignbit_b32 v9, v9, v5, v6
	v_alignbit_b32 v0, v5, v0, v6
	v_lshlrev_b32_e32 v5, 31, v10
	v_alignbit_b32 v6, v9, v0, 9
	v_or_b32_e32 v10, 0.5, v5
	v_lshrrev_b32_e32 v9, 9, v9
	v_or_b32_e32 v5, 0x33000000, v5
	v_ffbh_u32_e32 v13, v6
	v_sub_nc_u32_e32 v10, v10, v12
	v_min_u32_e32 v12, 32, v13
	v_or_b32_e32 v9, v9, v10
	v_not_b32_e32 v10, v12
	v_mul_f32_e32 v13, 0x3fc90fda, v9
	v_add_lshl_u32 v11, v12, v11, 23
	v_alignbit_b32 v0, v6, v0, v10
	v_fma_f32 v6, 0x3fc90fda, v9, -v13
	v_sub_nc_u32_e32 v5, v5, v11
	v_lshrrev_b32_e32 v0, 9, v0
	v_fmamk_f32 v6, v9, 0x33a22168, v6
	v_or_b32_e32 v0, v5, v0
	v_fmac_f32_e32 v6, 0x3fc90fda, v0
	v_lshrrev_b32_e32 v0, 30, v1
	v_add_f32_e32 v5, v13, v6
	v_add_nc_u32_e32 v6, v8, v0
.LBB34_1172:
	s_andn2_saveexec_b32 s0, s13
; %bb.1173:
	v_mul_f32_e64 v0, 0x3f22f983, |v3|
	v_rndne_f32_e32 v0, v0
	v_fma_f32 v1, 0xbfc90fda, v0, |v3|
	v_cvt_i32_f32_e32 v6, v0
	v_fmamk_f32 v1, v0, 0xb3a22168, v1
	v_fmamk_f32 v5, v0, 0xa7c234c4, v1
; %bb.1174:
	s_or_b32 exec_lo, exec_lo, s0
	s_lshl_b32 s3, s3, 7
	s_cmp_lt_i32 s6, 11
	v_add_nc_u32_e32 v11, s3, v7
	v_ashrrev_i32_e32 v1, 31, v11
	v_add_co_u32 v0, vcc_lo, s10, v11
	v_add_co_ci_u32_e64 v1, null, s11, v1, vcc_lo
	s_cbranch_scc1 .LBB34_1181
; %bb.1175:
	s_cmp_gt_i32 s6, 25
	s_mov_b32 s1, 0
	s_cbranch_scc0 .LBB34_1183
; %bb.1176:
	s_cmp_gt_i32 s6, 28
	s_cbranch_scc0 .LBB34_1184
; %bb.1177:
	s_cmp_gt_i32 s6, 43
	;; [unrolled: 3-line block ×3, first 2 shown]
	s_cbranch_scc0 .LBB34_1187
; %bb.1179:
	s_cmp_eq_u32 s6, 46
	s_mov_b32 s14, 0
	s_cbranch_scc0 .LBB34_1190
; %bb.1180:
	global_load_dword v7, v[0:1], off
	s_mov_b32 s0, 0
	s_mov_b32 s13, -1
	s_branch .LBB34_1192
.LBB34_1181:
	s_mov_b32 s13, 0
                                        ; implicit-def: $vgpr7
	s_cbranch_execnz .LBB34_1257
.LBB34_1182:
	s_andn2_b32 vcc_lo, exec_lo, s13
	s_cbranch_vccz .LBB34_1304
	s_branch .LBB34_2007
.LBB34_1183:
	s_mov_b32 s13, 0
	s_mov_b32 s0, 0
                                        ; implicit-def: $vgpr7
	s_cbranch_execnz .LBB34_1221
	s_branch .LBB34_1253
.LBB34_1184:
	s_mov_b32 s14, -1
	s_mov_b32 s13, 0
	s_mov_b32 s0, 0
                                        ; implicit-def: $vgpr7
	s_branch .LBB34_1202
.LBB34_1185:
	s_mov_b32 s14, -1
	s_mov_b32 s13, 0
	s_mov_b32 s0, 0
                                        ; implicit-def: $vgpr7
	s_branch .LBB34_1197
.LBB34_1186:
	s_or_b32 s5, s12, exec_lo
	s_trap 2
	s_cbranch_execz .LBB34_1123
	s_branch .LBB34_1124
.LBB34_1187:
	s_mov_b32 s14, -1
	s_mov_b32 s13, 0
	s_mov_b32 s0, 0
	s_branch .LBB34_1191
.LBB34_1188:
	s_andn2_saveexec_b32 s19, s19
	s_cbranch_execz .LBB34_966
.LBB34_1189:
	v_add_f32_e64 v4, 0x42800000, |v5|
	s_andn2_b32 s18, s18, exec_lo
	v_and_b32_e32 v4, 0xff, v4
	v_cmp_ne_u32_e32 vcc_lo, 0, v4
	s_and_b32 s20, vcc_lo, exec_lo
	s_or_b32 s18, s18, s20
	s_or_b32 exec_lo, exec_lo, s19
	v_mov_b32_e32 v6, 0
	s_and_saveexec_b32 s19, s18
	s_cbranch_execnz .LBB34_967
	s_branch .LBB34_968
.LBB34_1190:
	s_mov_b32 s0, -1
	s_mov_b32 s13, 0
.LBB34_1191:
                                        ; implicit-def: $vgpr7
.LBB34_1192:
	s_and_b32 vcc_lo, exec_lo, s14
	s_cbranch_vccz .LBB34_1196
; %bb.1193:
	s_cmp_eq_u32 s6, 44
	s_cbranch_scc0 .LBB34_1195
; %bb.1194:
	global_load_ubyte v7, v[0:1], off
	s_mov_b32 s0, 0
	s_mov_b32 s13, -1
	s_waitcnt vmcnt(0)
	v_lshlrev_b32_e32 v8, 23, v7
	v_cmp_ne_u32_e32 vcc_lo, 0xff, v7
	v_cndmask_b32_e32 v8, 0x7f800001, v8, vcc_lo
	v_cmp_ne_u32_e32 vcc_lo, 0, v7
	v_cndmask_b32_e32 v7, 0x400000, v8, vcc_lo
	v_mov_b32_e32 v8, 0x7fc0
	v_cmp_o_f32_e32 vcc_lo, v7, v7
	v_add_nc_u32_e32 v7, 0x7fff, v7
	v_cndmask_b32_sdwa v7, v8, v7, vcc_lo dst_sel:DWORD dst_unused:UNUSED_PAD src0_sel:DWORD src1_sel:WORD_1
	s_branch .LBB34_1196
.LBB34_1195:
	s_mov_b32 s0, -1
                                        ; implicit-def: $vgpr7
.LBB34_1196:
	s_mov_b32 s14, 0
.LBB34_1197:
	s_and_b32 vcc_lo, exec_lo, s14
	s_cbranch_vccz .LBB34_1201
; %bb.1198:
	s_cmp_eq_u32 s6, 29
	s_cbranch_scc0 .LBB34_1200
; %bb.1199:
	global_load_dwordx2 v[7:8], v[0:1], off
	s_mov_b32 s0, 0
	s_mov_b32 s13, -1
	s_mov_b32 s14, 0
	s_waitcnt vmcnt(0)
	v_ffbh_u32_e32 v9, v8
	v_min_u32_e32 v9, 32, v9
	v_lshlrev_b64 v[7:8], v9, v[7:8]
	v_min_u32_e32 v7, 1, v7
	v_or_b32_e32 v7, v8, v7
	v_sub_nc_u32_e32 v8, 32, v9
	v_cvt_f32_u32_e32 v7, v7
	v_ldexp_f32 v7, v7, v8
	v_bfe_u32 v8, v7, 16, 1
	v_add3_u32 v7, v7, v8, 0x7fff
	v_lshrrev_b32_e32 v7, 16, v7
	s_branch .LBB34_1202
.LBB34_1200:
	s_mov_b32 s0, -1
                                        ; implicit-def: $vgpr7
.LBB34_1201:
	s_mov_b32 s14, 0
.LBB34_1202:
	s_and_b32 vcc_lo, exec_lo, s14
	s_cbranch_vccz .LBB34_1220
; %bb.1203:
	s_cmp_lt_i32 s6, 27
	s_cbranch_scc1 .LBB34_1206
; %bb.1204:
	s_cmp_gt_i32 s6, 27
	s_cbranch_scc0 .LBB34_1207
; %bb.1205:
	global_load_dword v7, v[0:1], off
	s_mov_b32 s13, 0
	s_waitcnt vmcnt(0)
	v_cvt_f32_u32_e32 v7, v7
	v_bfe_u32 v8, v7, 16, 1
	v_add3_u32 v7, v7, v8, 0x7fff
	v_lshrrev_b32_e32 v7, 16, v7
	s_branch .LBB34_1208
.LBB34_1206:
	s_mov_b32 s13, -1
                                        ; implicit-def: $vgpr7
	s_branch .LBB34_1211
.LBB34_1207:
	s_mov_b32 s13, -1
                                        ; implicit-def: $vgpr7
.LBB34_1208:
	s_andn2_b32 vcc_lo, exec_lo, s13
	s_cbranch_vccnz .LBB34_1210
; %bb.1209:
	global_load_ushort v7, v[0:1], off
	s_waitcnt vmcnt(0)
	v_cvt_f32_u32_e32 v7, v7
	v_bfe_u32 v8, v7, 16, 1
	v_add3_u32 v7, v7, v8, 0x7fff
	v_lshrrev_b32_e32 v7, 16, v7
.LBB34_1210:
	s_mov_b32 s13, 0
.LBB34_1211:
	s_andn2_b32 vcc_lo, exec_lo, s13
	s_cbranch_vccnz .LBB34_1219
; %bb.1212:
	global_load_ubyte v7, v[0:1], off
	s_mov_b32 s13, 0
	s_mov_b32 s14, exec_lo
	s_waitcnt vmcnt(0)
	v_cmpx_lt_i16_e32 0x7f, v7
	s_xor_b32 s14, exec_lo, s14
	s_cbranch_execz .LBB34_1232
; %bb.1213:
	s_mov_b32 s13, -1
	s_mov_b32 s15, exec_lo
	v_cmpx_eq_u16_e32 0x80, v7
; %bb.1214:
	s_xor_b32 s13, exec_lo, -1
; %bb.1215:
	s_or_b32 exec_lo, exec_lo, s15
	s_and_b32 s13, s13, exec_lo
	s_or_saveexec_b32 s14, s14
	v_mov_b32_e32 v8, 0x7f800001
	s_xor_b32 exec_lo, exec_lo, s14
	s_cbranch_execnz .LBB34_1233
.LBB34_1216:
	s_or_b32 exec_lo, exec_lo, s14
	s_and_saveexec_b32 s14, s13
	s_cbranch_execz .LBB34_1218
.LBB34_1217:
	v_and_b32_e32 v8, 0xffff, v7
	v_lshlrev_b32_e32 v7, 24, v7
	v_and_b32_e32 v9, 7, v8
	v_bfe_u32 v13, v8, 3, 4
	v_and_b32_e32 v7, 0x80000000, v7
	v_ffbh_u32_e32 v10, v9
	v_cmp_eq_u32_e32 vcc_lo, 0, v13
	v_min_u32_e32 v10, 32, v10
	v_subrev_nc_u32_e32 v12, 28, v10
	v_sub_nc_u32_e32 v10, 29, v10
	v_lshlrev_b32_e32 v8, v12, v8
	v_cndmask_b32_e32 v10, v13, v10, vcc_lo
	v_and_b32_e32 v8, 7, v8
	v_cndmask_b32_e32 v8, v9, v8, vcc_lo
	v_lshl_add_u32 v9, v10, 23, 0x3b800000
	v_lshlrev_b32_e32 v8, 20, v8
	v_or3_b32 v8, v7, v9, v8
.LBB34_1218:
	s_or_b32 exec_lo, exec_lo, s14
	v_bfe_u32 v7, v8, 16, 1
	v_cmp_o_f32_e32 vcc_lo, v8, v8
	v_add3_u32 v7, v8, v7, 0x7fff
	v_mov_b32_e32 v8, 0x7fc0
	v_cndmask_b32_sdwa v7, v8, v7, vcc_lo dst_sel:DWORD dst_unused:UNUSED_PAD src0_sel:DWORD src1_sel:WORD_1
.LBB34_1219:
	s_mov_b32 s13, -1
.LBB34_1220:
	s_branch .LBB34_1253
.LBB34_1221:
	s_cmp_gt_i32 s6, 22
	s_cbranch_scc0 .LBB34_1231
; %bb.1222:
	s_cmp_lt_i32 s6, 24
	s_cbranch_scc1 .LBB34_1234
; %bb.1223:
	s_cmp_gt_i32 s6, 24
	s_cbranch_scc0 .LBB34_1235
; %bb.1224:
	global_load_ubyte v7, v[0:1], off
	s_mov_b32 s13, exec_lo
	s_waitcnt vmcnt(0)
	v_cmpx_lt_i16_e32 0x7f, v7
	s_xor_b32 s13, exec_lo, s13
	s_cbranch_execz .LBB34_1247
; %bb.1225:
	s_mov_b32 s1, -1
	s_mov_b32 s14, exec_lo
	v_cmpx_eq_u16_e32 0x80, v7
; %bb.1226:
	s_xor_b32 s1, exec_lo, -1
; %bb.1227:
	s_or_b32 exec_lo, exec_lo, s14
	s_and_b32 s1, s1, exec_lo
	s_or_saveexec_b32 s13, s13
	v_mov_b32_e32 v8, 0x7f800001
	s_xor_b32 exec_lo, exec_lo, s13
	s_cbranch_execnz .LBB34_1248
.LBB34_1228:
	s_or_b32 exec_lo, exec_lo, s13
	s_and_saveexec_b32 s13, s1
	s_cbranch_execz .LBB34_1230
.LBB34_1229:
	v_and_b32_e32 v8, 0xffff, v7
	v_lshlrev_b32_e32 v7, 24, v7
	v_and_b32_e32 v9, 3, v8
	v_bfe_u32 v13, v8, 2, 5
	v_and_b32_e32 v7, 0x80000000, v7
	v_ffbh_u32_e32 v10, v9
	v_cmp_eq_u32_e32 vcc_lo, 0, v13
	v_min_u32_e32 v10, 32, v10
	v_subrev_nc_u32_e32 v12, 29, v10
	v_sub_nc_u32_e32 v10, 30, v10
	v_lshlrev_b32_e32 v8, v12, v8
	v_cndmask_b32_e32 v10, v13, v10, vcc_lo
	v_and_b32_e32 v8, 3, v8
	v_cndmask_b32_e32 v8, v9, v8, vcc_lo
	v_lshl_add_u32 v9, v10, 23, 0x37800000
	v_lshlrev_b32_e32 v8, 21, v8
	v_or3_b32 v8, v7, v9, v8
.LBB34_1230:
	s_or_b32 exec_lo, exec_lo, s13
	v_bfe_u32 v7, v8, 16, 1
	v_cmp_o_f32_e32 vcc_lo, v8, v8
	s_mov_b32 s1, 0
	v_add3_u32 v7, v8, v7, 0x7fff
	v_mov_b32_e32 v8, 0x7fc0
	v_cndmask_b32_sdwa v7, v8, v7, vcc_lo dst_sel:DWORD dst_unused:UNUSED_PAD src0_sel:DWORD src1_sel:WORD_1
	s_branch .LBB34_1236
.LBB34_1231:
	s_mov_b32 s1, -1
                                        ; implicit-def: $vgpr7
	s_branch .LBB34_1242
.LBB34_1232:
	s_or_saveexec_b32 s14, s14
	v_mov_b32_e32 v8, 0x7f800001
	s_xor_b32 exec_lo, exec_lo, s14
	s_cbranch_execz .LBB34_1216
.LBB34_1233:
	v_cmp_ne_u16_e32 vcc_lo, 0, v7
	v_mov_b32_e32 v8, 0
	s_andn2_b32 s13, s13, exec_lo
	s_and_b32 s15, vcc_lo, exec_lo
	s_or_b32 s13, s13, s15
	s_or_b32 exec_lo, exec_lo, s14
	s_and_saveexec_b32 s14, s13
	s_cbranch_execnz .LBB34_1217
	s_branch .LBB34_1218
.LBB34_1234:
	s_mov_b32 s1, -1
                                        ; implicit-def: $vgpr7
	s_branch .LBB34_1239
.LBB34_1235:
	s_mov_b32 s1, -1
                                        ; implicit-def: $vgpr7
.LBB34_1236:
	s_and_b32 vcc_lo, exec_lo, s1
	s_cbranch_vccz .LBB34_1238
; %bb.1237:
	global_load_ubyte v7, v[0:1], off
	s_waitcnt vmcnt(0)
	v_lshlrev_b32_e32 v7, 24, v7
	v_and_b32_e32 v8, 0x7f000000, v7
	v_ffbh_u32_e32 v9, v8
	v_add_nc_u32_e32 v12, 0x1000000, v8
	v_cmp_ne_u32_e32 vcc_lo, 0, v8
	v_min_u32_e32 v9, 32, v9
	v_sub_nc_u32_e64 v9, v9, 4 clamp
	v_lshlrev_b32_e32 v10, v9, v8
	v_lshlrev_b32_e32 v9, 23, v9
	v_lshrrev_b32_e32 v10, 4, v10
	v_sub_nc_u32_e32 v9, v10, v9
	v_ashrrev_i32_e32 v10, 8, v12
	v_add_nc_u32_e32 v9, 0x3c000000, v9
	v_and_or_b32 v9, 0x7f800000, v10, v9
	v_cndmask_b32_e32 v8, 0, v9, vcc_lo
	v_and_or_b32 v7, 0x80000000, v7, v8
	v_bfe_u32 v8, v8, 16, 1
	v_cmp_o_f32_e32 vcc_lo, v7, v7
	v_add3_u32 v7, v7, v8, 0x7fff
	v_mov_b32_e32 v8, 0x7fc0
	v_cndmask_b32_sdwa v7, v8, v7, vcc_lo dst_sel:DWORD dst_unused:UNUSED_PAD src0_sel:DWORD src1_sel:WORD_1
.LBB34_1238:
	s_mov_b32 s1, 0
.LBB34_1239:
	s_andn2_b32 vcc_lo, exec_lo, s1
	s_cbranch_vccnz .LBB34_1241
; %bb.1240:
	global_load_ubyte v7, v[0:1], off
	s_waitcnt vmcnt(0)
	v_lshlrev_b32_e32 v8, 25, v7
	v_lshlrev_b16 v7, 8, v7
	v_lshrrev_b32_e32 v9, 4, v8
	v_and_or_b32 v10, 0x7f00, v7, 0.5
	v_cmp_gt_u32_e32 vcc_lo, 0x8000000, v8
	v_bfe_i32 v7, v7, 0, 16
	v_or_b32_e32 v9, 0x70000000, v9
	v_add_f32_e32 v10, -0.5, v10
	v_mul_f32_e32 v9, 0x7800000, v9
	v_cndmask_b32_e32 v8, v9, v10, vcc_lo
	v_and_or_b32 v7, 0x80000000, v7, v8
	v_bfe_u32 v8, v8, 16, 1
	v_cmp_o_f32_e32 vcc_lo, v7, v7
	v_add3_u32 v7, v7, v8, 0x7fff
	v_mov_b32_e32 v8, 0x7fc0
	v_cndmask_b32_sdwa v7, v8, v7, vcc_lo dst_sel:DWORD dst_unused:UNUSED_PAD src0_sel:DWORD src1_sel:WORD_1
.LBB34_1241:
	s_mov_b32 s1, 0
	s_mov_b32 s13, -1
.LBB34_1242:
	s_andn2_b32 vcc_lo, exec_lo, s1
	s_mov_b32 s1, 0
	s_cbranch_vccnz .LBB34_1253
; %bb.1243:
	s_cmp_gt_i32 s6, 14
	s_cbranch_scc0 .LBB34_1246
; %bb.1244:
	s_cmp_eq_u32 s6, 15
	s_cbranch_scc0 .LBB34_1249
; %bb.1245:
	global_load_ushort v7, v[0:1], off
	s_mov_b32 s0, 0
	s_mov_b32 s13, -1
	s_branch .LBB34_1251
.LBB34_1246:
	s_mov_b32 s1, -1
	s_branch .LBB34_1250
.LBB34_1247:
	s_or_saveexec_b32 s13, s13
	v_mov_b32_e32 v8, 0x7f800001
	s_xor_b32 exec_lo, exec_lo, s13
	s_cbranch_execz .LBB34_1228
.LBB34_1248:
	v_cmp_ne_u16_e32 vcc_lo, 0, v7
	v_mov_b32_e32 v8, 0
	s_andn2_b32 s1, s1, exec_lo
	s_and_b32 s14, vcc_lo, exec_lo
	s_or_b32 s1, s1, s14
	s_or_b32 exec_lo, exec_lo, s13
	s_and_saveexec_b32 s13, s1
	s_cbranch_execnz .LBB34_1229
	s_branch .LBB34_1230
.LBB34_1249:
	s_mov_b32 s0, -1
.LBB34_1250:
                                        ; implicit-def: $vgpr7
.LBB34_1251:
	s_and_b32 vcc_lo, exec_lo, s1
	s_mov_b32 s1, 0
	s_cbranch_vccz .LBB34_1253
; %bb.1252:
	s_cmp_lg_u32 s6, 11
	s_mov_b32 s1, -1
	s_cselect_b32 s0, -1, 0
.LBB34_1253:
	s_and_b32 vcc_lo, exec_lo, s0
	s_cbranch_vccnz .LBB34_1320
; %bb.1254:
	s_andn2_b32 vcc_lo, exec_lo, s1
	s_cbranch_vccnz .LBB34_1256
.LBB34_1255:
	global_load_ubyte v7, v[0:1], off
	s_mov_b32 s13, -1
	s_waitcnt vmcnt(0)
	v_cmp_ne_u16_e32 vcc_lo, 0, v7
	v_cndmask_b32_e64 v7, 0, 1.0, vcc_lo
	v_lshrrev_b32_e32 v7, 16, v7
.LBB34_1256:
	s_branch .LBB34_1182
.LBB34_1257:
	s_cmp_lt_i32 s6, 5
	s_cbranch_scc1 .LBB34_1262
; %bb.1258:
	s_cmp_lt_i32 s6, 8
	s_cbranch_scc1 .LBB34_1263
; %bb.1259:
	s_cmp_lt_i32 s6, 9
	s_cbranch_scc1 .LBB34_1264
; %bb.1260:
	s_cmp_gt_i32 s6, 9
	s_cbranch_scc0 .LBB34_1265
; %bb.1261:
	global_load_dwordx2 v[7:8], v[0:1], off
	s_mov_b32 s0, 0
	s_waitcnt vmcnt(0)
	v_cvt_f32_f64_e32 v7, v[7:8]
	v_bfe_u32 v8, v7, 16, 1
	v_cmp_o_f32_e32 vcc_lo, v7, v7
	v_add3_u32 v7, v7, v8, 0x7fff
	v_mov_b32_e32 v8, 0x7fc0
	v_cndmask_b32_sdwa v7, v8, v7, vcc_lo dst_sel:DWORD dst_unused:UNUSED_PAD src0_sel:DWORD src1_sel:WORD_1
	s_branch .LBB34_1266
.LBB34_1262:
                                        ; implicit-def: $vgpr7
	s_branch .LBB34_1284
.LBB34_1263:
	s_mov_b32 s0, -1
                                        ; implicit-def: $vgpr7
	s_branch .LBB34_1272
.LBB34_1264:
	s_mov_b32 s0, -1
                                        ; implicit-def: $vgpr7
	s_branch .LBB34_1269
.LBB34_1265:
	s_mov_b32 s0, -1
                                        ; implicit-def: $vgpr7
.LBB34_1266:
	s_andn2_b32 vcc_lo, exec_lo, s0
	s_cbranch_vccnz .LBB34_1268
; %bb.1267:
	global_load_dword v7, v[0:1], off
	s_waitcnt vmcnt(0)
	v_bfe_u32 v8, v7, 16, 1
	v_cmp_o_f32_e32 vcc_lo, v7, v7
	v_add3_u32 v7, v7, v8, 0x7fff
	v_mov_b32_e32 v8, 0x7fc0
	v_cndmask_b32_sdwa v7, v8, v7, vcc_lo dst_sel:DWORD dst_unused:UNUSED_PAD src0_sel:DWORD src1_sel:WORD_1
.LBB34_1268:
	s_mov_b32 s0, 0
.LBB34_1269:
	s_andn2_b32 vcc_lo, exec_lo, s0
	s_cbranch_vccnz .LBB34_1271
; %bb.1270:
	global_load_dword v7, v[0:1], off
	s_waitcnt vmcnt(0)
	v_cvt_f32_f16_e32 v8, v7
	v_cmp_o_f16_e32 vcc_lo, v7, v7
	v_bfe_u32 v9, v8, 16, 1
	v_add3_u32 v7, v8, v9, 0x7fff
	v_mov_b32_e32 v8, 0x7fc0
	v_cndmask_b32_sdwa v7, v8, v7, vcc_lo dst_sel:DWORD dst_unused:UNUSED_PAD src0_sel:DWORD src1_sel:WORD_1
.LBB34_1271:
	s_mov_b32 s0, 0
.LBB34_1272:
	s_andn2_b32 vcc_lo, exec_lo, s0
	s_cbranch_vccnz .LBB34_1283
; %bb.1273:
	s_cmp_lt_i32 s6, 6
	s_cbranch_scc1 .LBB34_1276
; %bb.1274:
	s_cmp_gt_i32 s6, 6
	s_cbranch_scc0 .LBB34_1277
; %bb.1275:
	global_load_dwordx2 v[7:8], v[0:1], off
	s_mov_b32 s0, 0
	s_waitcnt vmcnt(0)
	v_cvt_f32_f64_e32 v7, v[7:8]
	v_bfe_u32 v8, v7, 16, 1
	v_cmp_o_f32_e32 vcc_lo, v7, v7
	v_add3_u32 v7, v7, v8, 0x7fff
	v_mov_b32_e32 v8, 0x7fc0
	v_cndmask_b32_sdwa v7, v8, v7, vcc_lo dst_sel:DWORD dst_unused:UNUSED_PAD src0_sel:DWORD src1_sel:WORD_1
	s_branch .LBB34_1278
.LBB34_1276:
	s_mov_b32 s0, -1
                                        ; implicit-def: $vgpr7
	s_branch .LBB34_1281
.LBB34_1277:
	s_mov_b32 s0, -1
                                        ; implicit-def: $vgpr7
.LBB34_1278:
	s_andn2_b32 vcc_lo, exec_lo, s0
	s_cbranch_vccnz .LBB34_1280
; %bb.1279:
	global_load_dword v7, v[0:1], off
	s_waitcnt vmcnt(0)
	v_bfe_u32 v8, v7, 16, 1
	v_cmp_o_f32_e32 vcc_lo, v7, v7
	v_add3_u32 v7, v7, v8, 0x7fff
	v_mov_b32_e32 v8, 0x7fc0
	v_cndmask_b32_sdwa v7, v8, v7, vcc_lo dst_sel:DWORD dst_unused:UNUSED_PAD src0_sel:DWORD src1_sel:WORD_1
.LBB34_1280:
	s_mov_b32 s0, 0
.LBB34_1281:
	s_andn2_b32 vcc_lo, exec_lo, s0
	s_cbranch_vccnz .LBB34_1283
; %bb.1282:
	global_load_ushort v7, v[0:1], off
	s_waitcnt vmcnt(0)
	v_cvt_f32_f16_e32 v8, v7
	v_cmp_o_f16_e32 vcc_lo, v7, v7
	v_bfe_u32 v9, v8, 16, 1
	v_add3_u32 v7, v8, v9, 0x7fff
	v_mov_b32_e32 v8, 0x7fc0
	v_cndmask_b32_sdwa v7, v8, v7, vcc_lo dst_sel:DWORD dst_unused:UNUSED_PAD src0_sel:DWORD src1_sel:WORD_1
.LBB34_1283:
	s_cbranch_execnz .LBB34_1303
.LBB34_1284:
	s_cmp_lt_i32 s6, 2
	s_cbranch_scc1 .LBB34_1288
; %bb.1285:
	s_cmp_lt_i32 s6, 3
	s_cbranch_scc1 .LBB34_1289
; %bb.1286:
	s_cmp_gt_i32 s6, 3
	s_cbranch_scc0 .LBB34_1290
; %bb.1287:
	global_load_dwordx2 v[7:8], v[0:1], off
	s_mov_b32 s0, 0
	s_waitcnt vmcnt(0)
	v_xor_b32_e32 v9, v7, v8
	v_ffbh_i32_e32 v10, v8
	v_ashrrev_i32_e32 v9, 31, v9
	v_add_nc_u32_e32 v10, -1, v10
	v_add_nc_u32_e32 v9, 32, v9
	v_min_u32_e32 v9, v10, v9
	v_lshlrev_b64 v[7:8], v9, v[7:8]
	v_min_u32_e32 v7, 1, v7
	v_or_b32_e32 v7, v8, v7
	v_sub_nc_u32_e32 v8, 32, v9
	v_cvt_f32_i32_e32 v7, v7
	v_ldexp_f32 v7, v7, v8
	v_bfe_u32 v8, v7, 16, 1
	v_add3_u32 v7, v7, v8, 0x7fff
	v_lshrrev_b32_e32 v7, 16, v7
	s_branch .LBB34_1291
.LBB34_1288:
	s_mov_b32 s0, -1
                                        ; implicit-def: $vgpr7
	s_branch .LBB34_1297
.LBB34_1289:
	s_mov_b32 s0, -1
                                        ; implicit-def: $vgpr7
	s_branch .LBB34_1294
.LBB34_1290:
	s_mov_b32 s0, -1
                                        ; implicit-def: $vgpr7
.LBB34_1291:
	s_andn2_b32 vcc_lo, exec_lo, s0
	s_cbranch_vccnz .LBB34_1293
; %bb.1292:
	global_load_dword v7, v[0:1], off
	s_waitcnt vmcnt(0)
	v_cvt_f32_i32_e32 v7, v7
	v_bfe_u32 v8, v7, 16, 1
	v_add3_u32 v7, v7, v8, 0x7fff
	v_lshrrev_b32_e32 v7, 16, v7
.LBB34_1293:
	s_mov_b32 s0, 0
.LBB34_1294:
	s_andn2_b32 vcc_lo, exec_lo, s0
	s_cbranch_vccnz .LBB34_1296
; %bb.1295:
	global_load_sshort v7, v[0:1], off
	s_waitcnt vmcnt(0)
	v_cvt_f32_i32_e32 v7, v7
	v_bfe_u32 v8, v7, 16, 1
	v_add3_u32 v7, v7, v8, 0x7fff
	v_lshrrev_b32_e32 v7, 16, v7
.LBB34_1296:
	s_mov_b32 s0, 0
.LBB34_1297:
	s_andn2_b32 vcc_lo, exec_lo, s0
	s_cbranch_vccnz .LBB34_1303
; %bb.1298:
	s_cmp_gt_i32 s6, 0
	s_mov_b32 s0, 0
	s_cbranch_scc0 .LBB34_1300
; %bb.1299:
	global_load_sbyte v7, v[0:1], off
	s_waitcnt vmcnt(0)
	v_cvt_f32_i32_e32 v7, v7
	v_bfe_u32 v8, v7, 16, 1
	v_add3_u32 v7, v7, v8, 0x7fff
	v_lshrrev_b32_e32 v7, 16, v7
	s_branch .LBB34_1301
.LBB34_1300:
	s_mov_b32 s0, -1
                                        ; implicit-def: $vgpr7
.LBB34_1301:
	s_andn2_b32 vcc_lo, exec_lo, s0
	s_cbranch_vccnz .LBB34_1303
; %bb.1302:
	global_load_ubyte v0, v[0:1], off
	s_waitcnt vmcnt(0)
	v_cvt_f32_ubyte0_e32 v0, v0
	v_bfe_u32 v1, v0, 16, 1
	v_add3_u32 v0, v0, v1, 0x7fff
	v_lshrrev_b32_e32 v7, 16, v0
.LBB34_1303:
.LBB34_1304:
	s_waitcnt vmcnt(0)
	v_lshlrev_b32_e32 v7, 16, v7
                                        ; implicit-def: $vgpr10
                                        ; implicit-def: $vgpr9
	s_mov_b32 s1, exec_lo
	v_and_b32_e32 v8, 0x7fffffff, v7
	v_cmpx_ngt_f32_e64 0x48000000, |v7|
	s_xor_b32 s13, exec_lo, s1
	s_cbranch_execz .LBB34_1306
; %bb.1305:
	s_mov_b32 s0, 0x7fffff
	v_mov_b32_e32 v10, 0
	v_and_or_b32 v18, v8, s0, 0x800000
	v_mad_u64_u32 v[0:1], null, 0xfe5163ab, v18, 0
	v_mov_b32_e32 v9, v1
	v_lshrrev_b32_e32 v1, 23, v8
	v_mad_u64_u32 v[12:13], null, 0x3c439041, v18, v[9:10]
	v_add_nc_u32_e32 v1, 0xffffff88, v1
	v_cmp_lt_u32_e32 vcc_lo, 63, v1
	v_mov_b32_e32 v9, v13
	v_cndmask_b32_e64 v17, 0, 0xffffffc0, vcc_lo
	v_mad_u64_u32 v[13:14], null, 0xdb629599, v18, v[9:10]
	v_add_nc_u32_e32 v1, v17, v1
	v_mov_b32_e32 v9, v14
	v_cmp_lt_u32_e64 s0, 31, v1
	v_cndmask_b32_e32 v0, v13, v0, vcc_lo
	v_mad_u64_u32 v[14:15], null, 0xf534ddc0, v18, v[9:10]
	v_cndmask_b32_e64 v19, 0, 0xffffffe0, s0
	v_add_nc_u32_e32 v1, v19, v1
	v_mov_b32_e32 v9, v15
	v_cndmask_b32_e32 v12, v14, v12, vcc_lo
	v_cmp_lt_u32_e64 s1, 31, v1
	v_mad_u64_u32 v[15:16], null, 0xfc2757d1, v18, v[9:10]
	v_cndmask_b32_e64 v0, v12, v0, s0
	v_mov_b32_e32 v9, v16
	v_mad_u64_u32 v[16:17], null, 0x4e441529, v18, v[9:10]
	v_mov_b32_e32 v9, v17
	v_cndmask_b32_e64 v17, 0, 0xffffffe0, s1
	v_mad_u64_u32 v[9:10], null, 0xa2f9836e, v18, v[9:10]
	v_cndmask_b32_e32 v18, v16, v14, vcc_lo
	v_add_nc_u32_e32 v1, v17, v1
	v_cndmask_b32_e32 v9, v9, v15, vcc_lo
	v_cndmask_b32_e32 v10, v10, v16, vcc_lo
	;; [unrolled: 1-line block ×3, first 2 shown]
	v_sub_nc_u32_e32 v16, 32, v1
	v_cmp_eq_u32_e32 vcc_lo, 0, v1
	v_cndmask_b32_e64 v14, v9, v18, s0
	v_cndmask_b32_e64 v9, v10, v9, s0
	;; [unrolled: 1-line block ×8, first 2 shown]
	v_alignbit_b32 v17, v9, v14, v16
	v_alignbit_b32 v13, v14, v10, v16
	;; [unrolled: 1-line block ×3, first 2 shown]
	v_cndmask_b32_e32 v1, v17, v9, vcc_lo
	v_cndmask_b32_e32 v9, v13, v14, vcc_lo
	;; [unrolled: 1-line block ×3, first 2 shown]
	v_bfe_u32 v12, v1, 29, 1
	v_alignbit_b32 v13, v1, v9, 30
	v_alignbit_b32 v9, v9, v10, 30
	;; [unrolled: 1-line block ×3, first 2 shown]
	v_sub_nc_u32_e32 v14, 0, v12
	v_xor_b32_e32 v13, v13, v14
	v_xor_b32_e32 v9, v9, v14
	;; [unrolled: 1-line block ×3, first 2 shown]
	v_lshrrev_b32_e32 v14, 29, v1
	v_ffbh_u32_e32 v15, v13
	v_min_u32_e32 v15, 32, v15
	v_sub_nc_u32_e32 v10, 31, v15
	v_lshlrev_b32_e32 v16, 23, v15
	v_alignbit_b32 v13, v13, v9, v10
	v_alignbit_b32 v0, v9, v0, v10
	v_lshlrev_b32_e32 v9, 31, v14
	v_alignbit_b32 v10, v13, v0, 9
	v_or_b32_e32 v14, 0.5, v9
	v_lshrrev_b32_e32 v13, 9, v13
	v_or_b32_e32 v9, 0x33000000, v9
	v_ffbh_u32_e32 v17, v10
	v_sub_nc_u32_e32 v14, v14, v16
	v_min_u32_e32 v16, 32, v17
	v_or_b32_e32 v13, v13, v14
	v_not_b32_e32 v14, v16
	v_mul_f32_e32 v17, 0x3fc90fda, v13
	v_add_lshl_u32 v15, v16, v15, 23
	v_alignbit_b32 v0, v10, v0, v14
	v_fma_f32 v10, 0x3fc90fda, v13, -v17
	v_sub_nc_u32_e32 v9, v9, v15
	v_lshrrev_b32_e32 v0, 9, v0
	v_fmamk_f32 v10, v13, 0x33a22168, v10
	v_or_b32_e32 v0, v9, v0
	v_fmac_f32_e32 v10, 0x3fc90fda, v0
	v_lshrrev_b32_e32 v0, 30, v1
	v_add_f32_e32 v9, v17, v10
	v_add_nc_u32_e32 v10, v12, v0
.LBB34_1306:
	s_andn2_saveexec_b32 s0, s13
; %bb.1307:
	v_mul_f32_e64 v0, 0x3f22f983, |v7|
	v_rndne_f32_e32 v0, v0
	v_fma_f32 v1, 0xbfc90fda, v0, |v7|
	v_cvt_i32_f32_e32 v10, v0
	v_fmamk_f32 v1, v0, 0xb3a22168, v1
	v_fmamk_f32 v9, v0, 0xa7c234c4, v1
; %bb.1308:
	s_or_b32 exec_lo, exec_lo, s0
	v_add_nc_u32_e32 v15, s3, v11
	s_cmp_lt_i32 s6, 11
	v_ashrrev_i32_e32 v1, 31, v15
	v_add_co_u32 v0, vcc_lo, s10, v15
	v_add_co_ci_u32_e64 v1, null, s11, v1, vcc_lo
	s_cbranch_scc1 .LBB34_1315
; %bb.1309:
	s_cmp_gt_i32 s6, 25
	s_mov_b32 s1, 0
	s_cbranch_scc0 .LBB34_1317
; %bb.1310:
	s_cmp_gt_i32 s6, 28
	s_cbranch_scc0 .LBB34_1318
; %bb.1311:
	s_cmp_gt_i32 s6, 43
	;; [unrolled: 3-line block ×3, first 2 shown]
	s_cbranch_scc0 .LBB34_1321
; %bb.1313:
	s_cmp_eq_u32 s6, 46
	s_mov_b32 s14, 0
	s_cbranch_scc0 .LBB34_1322
; %bb.1314:
	global_load_dword v11, v[0:1], off
	s_mov_b32 s0, 0
	s_mov_b32 s13, -1
	s_branch .LBB34_1324
.LBB34_1315:
	s_mov_b32 s13, 0
                                        ; implicit-def: $vgpr11
	s_cbranch_execnz .LBB34_1390
.LBB34_1316:
	s_andn2_b32 vcc_lo, exec_lo, s13
	s_cbranch_vccz .LBB34_1438
	s_branch .LBB34_2007
.LBB34_1317:
	s_mov_b32 s14, -1
	s_mov_b32 s13, 0
	s_mov_b32 s0, 0
                                        ; implicit-def: $vgpr11
	s_branch .LBB34_1353
.LBB34_1318:
	s_mov_b32 s14, -1
	s_mov_b32 s13, 0
	s_mov_b32 s0, 0
                                        ; implicit-def: $vgpr11
	s_branch .LBB34_1334
.LBB34_1319:
	s_mov_b32 s14, -1
	s_mov_b32 s13, 0
	s_mov_b32 s0, 0
                                        ; implicit-def: $vgpr11
	s_branch .LBB34_1329
.LBB34_1320:
	s_or_b32 s5, s5, exec_lo
	s_trap 2
	s_cbranch_execz .LBB34_1255
	s_branch .LBB34_1256
.LBB34_1321:
	s_mov_b32 s14, -1
	s_mov_b32 s13, 0
	s_mov_b32 s0, 0
	s_branch .LBB34_1323
.LBB34_1322:
	s_mov_b32 s0, -1
	s_mov_b32 s13, 0
.LBB34_1323:
                                        ; implicit-def: $vgpr11
.LBB34_1324:
	s_and_b32 vcc_lo, exec_lo, s14
	s_cbranch_vccz .LBB34_1328
; %bb.1325:
	s_cmp_eq_u32 s6, 44
	s_cbranch_scc0 .LBB34_1327
; %bb.1326:
	global_load_ubyte v11, v[0:1], off
	s_mov_b32 s0, 0
	s_mov_b32 s13, -1
	s_waitcnt vmcnt(0)
	v_lshlrev_b32_e32 v12, 23, v11
	v_cmp_ne_u32_e32 vcc_lo, 0xff, v11
	v_cndmask_b32_e32 v12, 0x7f800001, v12, vcc_lo
	v_cmp_ne_u32_e32 vcc_lo, 0, v11
	v_cndmask_b32_e32 v11, 0x400000, v12, vcc_lo
	v_mov_b32_e32 v12, 0x7fc0
	v_cmp_o_f32_e32 vcc_lo, v11, v11
	v_add_nc_u32_e32 v11, 0x7fff, v11
	v_cndmask_b32_sdwa v11, v12, v11, vcc_lo dst_sel:DWORD dst_unused:UNUSED_PAD src0_sel:DWORD src1_sel:WORD_1
	s_branch .LBB34_1328
.LBB34_1327:
	s_mov_b32 s0, -1
                                        ; implicit-def: $vgpr11
.LBB34_1328:
	s_mov_b32 s14, 0
.LBB34_1329:
	s_and_b32 vcc_lo, exec_lo, s14
	s_cbranch_vccz .LBB34_1333
; %bb.1330:
	s_cmp_eq_u32 s6, 29
	s_cbranch_scc0 .LBB34_1332
; %bb.1331:
	global_load_dwordx2 v[11:12], v[0:1], off
	s_mov_b32 s0, 0
	s_mov_b32 s13, -1
	s_mov_b32 s14, 0
	s_waitcnt vmcnt(0)
	v_ffbh_u32_e32 v13, v12
	v_min_u32_e32 v13, 32, v13
	v_lshlrev_b64 v[11:12], v13, v[11:12]
	v_min_u32_e32 v11, 1, v11
	v_or_b32_e32 v11, v12, v11
	v_sub_nc_u32_e32 v12, 32, v13
	v_cvt_f32_u32_e32 v11, v11
	v_ldexp_f32 v11, v11, v12
	v_bfe_u32 v12, v11, 16, 1
	v_add3_u32 v11, v11, v12, 0x7fff
	v_lshrrev_b32_e32 v11, 16, v11
	s_branch .LBB34_1334
.LBB34_1332:
	s_mov_b32 s0, -1
                                        ; implicit-def: $vgpr11
.LBB34_1333:
	s_mov_b32 s14, 0
.LBB34_1334:
	s_and_b32 vcc_lo, exec_lo, s14
	s_cbranch_vccz .LBB34_1352
; %bb.1335:
	s_cmp_lt_i32 s6, 27
	s_cbranch_scc1 .LBB34_1338
; %bb.1336:
	s_cmp_gt_i32 s6, 27
	s_cbranch_scc0 .LBB34_1339
; %bb.1337:
	global_load_dword v11, v[0:1], off
	s_mov_b32 s13, 0
	s_waitcnt vmcnt(0)
	v_cvt_f32_u32_e32 v11, v11
	v_bfe_u32 v12, v11, 16, 1
	v_add3_u32 v11, v11, v12, 0x7fff
	v_lshrrev_b32_e32 v11, 16, v11
	s_branch .LBB34_1340
.LBB34_1338:
	s_mov_b32 s13, -1
                                        ; implicit-def: $vgpr11
	s_branch .LBB34_1343
.LBB34_1339:
	s_mov_b32 s13, -1
                                        ; implicit-def: $vgpr11
.LBB34_1340:
	s_andn2_b32 vcc_lo, exec_lo, s13
	s_cbranch_vccnz .LBB34_1342
; %bb.1341:
	global_load_ushort v11, v[0:1], off
	s_waitcnt vmcnt(0)
	v_cvt_f32_u32_e32 v11, v11
	v_bfe_u32 v12, v11, 16, 1
	v_add3_u32 v11, v11, v12, 0x7fff
	v_lshrrev_b32_e32 v11, 16, v11
.LBB34_1342:
	s_mov_b32 s13, 0
.LBB34_1343:
	s_andn2_b32 vcc_lo, exec_lo, s13
	s_cbranch_vccnz .LBB34_1351
; %bb.1344:
	global_load_ubyte v11, v[0:1], off
	s_mov_b32 s13, 0
	s_mov_b32 s14, exec_lo
	s_waitcnt vmcnt(0)
	v_cmpx_lt_i16_e32 0x7f, v11
	s_xor_b32 s14, exec_lo, s14
	s_cbranch_execz .LBB34_1365
; %bb.1345:
	s_mov_b32 s13, -1
	s_mov_b32 s15, exec_lo
	v_cmpx_eq_u16_e32 0x80, v11
; %bb.1346:
	s_xor_b32 s13, exec_lo, -1
; %bb.1347:
	s_or_b32 exec_lo, exec_lo, s15
	s_and_b32 s13, s13, exec_lo
	s_or_saveexec_b32 s14, s14
	v_mov_b32_e32 v12, 0x7f800001
	s_xor_b32 exec_lo, exec_lo, s14
	s_cbranch_execnz .LBB34_1366
.LBB34_1348:
	s_or_b32 exec_lo, exec_lo, s14
	s_and_saveexec_b32 s14, s13
	s_cbranch_execz .LBB34_1350
.LBB34_1349:
	v_and_b32_e32 v12, 0xffff, v11
	v_lshlrev_b32_e32 v11, 24, v11
	v_and_b32_e32 v13, 7, v12
	v_bfe_u32 v17, v12, 3, 4
	v_and_b32_e32 v11, 0x80000000, v11
	v_ffbh_u32_e32 v14, v13
	v_cmp_eq_u32_e32 vcc_lo, 0, v17
	v_min_u32_e32 v14, 32, v14
	v_subrev_nc_u32_e32 v16, 28, v14
	v_sub_nc_u32_e32 v14, 29, v14
	v_lshlrev_b32_e32 v12, v16, v12
	v_cndmask_b32_e32 v14, v17, v14, vcc_lo
	v_and_b32_e32 v12, 7, v12
	v_cndmask_b32_e32 v12, v13, v12, vcc_lo
	v_lshl_add_u32 v13, v14, 23, 0x3b800000
	v_lshlrev_b32_e32 v12, 20, v12
	v_or3_b32 v12, v11, v13, v12
.LBB34_1350:
	s_or_b32 exec_lo, exec_lo, s14
	v_bfe_u32 v11, v12, 16, 1
	v_cmp_o_f32_e32 vcc_lo, v12, v12
	v_add3_u32 v11, v12, v11, 0x7fff
	v_mov_b32_e32 v12, 0x7fc0
	v_cndmask_b32_sdwa v11, v12, v11, vcc_lo dst_sel:DWORD dst_unused:UNUSED_PAD src0_sel:DWORD src1_sel:WORD_1
.LBB34_1351:
	s_mov_b32 s13, -1
.LBB34_1352:
	s_mov_b32 s14, 0
.LBB34_1353:
	s_and_b32 vcc_lo, exec_lo, s14
	s_cbranch_vccz .LBB34_1386
; %bb.1354:
	s_cmp_gt_i32 s6, 22
	s_cbranch_scc0 .LBB34_1364
; %bb.1355:
	s_cmp_lt_i32 s6, 24
	s_cbranch_scc1 .LBB34_1367
; %bb.1356:
	s_cmp_gt_i32 s6, 24
	s_cbranch_scc0 .LBB34_1368
; %bb.1357:
	global_load_ubyte v11, v[0:1], off
	s_mov_b32 s13, exec_lo
	s_waitcnt vmcnt(0)
	v_cmpx_lt_i16_e32 0x7f, v11
	s_xor_b32 s13, exec_lo, s13
	s_cbranch_execz .LBB34_1380
; %bb.1358:
	s_mov_b32 s1, -1
	s_mov_b32 s14, exec_lo
	v_cmpx_eq_u16_e32 0x80, v11
; %bb.1359:
	s_xor_b32 s1, exec_lo, -1
; %bb.1360:
	s_or_b32 exec_lo, exec_lo, s14
	s_and_b32 s1, s1, exec_lo
	s_or_saveexec_b32 s13, s13
	v_mov_b32_e32 v12, 0x7f800001
	s_xor_b32 exec_lo, exec_lo, s13
	s_cbranch_execnz .LBB34_1381
.LBB34_1361:
	s_or_b32 exec_lo, exec_lo, s13
	s_and_saveexec_b32 s13, s1
	s_cbranch_execz .LBB34_1363
.LBB34_1362:
	v_and_b32_e32 v12, 0xffff, v11
	v_lshlrev_b32_e32 v11, 24, v11
	v_and_b32_e32 v13, 3, v12
	v_bfe_u32 v17, v12, 2, 5
	v_and_b32_e32 v11, 0x80000000, v11
	v_ffbh_u32_e32 v14, v13
	v_cmp_eq_u32_e32 vcc_lo, 0, v17
	v_min_u32_e32 v14, 32, v14
	v_subrev_nc_u32_e32 v16, 29, v14
	v_sub_nc_u32_e32 v14, 30, v14
	v_lshlrev_b32_e32 v12, v16, v12
	v_cndmask_b32_e32 v14, v17, v14, vcc_lo
	v_and_b32_e32 v12, 3, v12
	v_cndmask_b32_e32 v12, v13, v12, vcc_lo
	v_lshl_add_u32 v13, v14, 23, 0x37800000
	v_lshlrev_b32_e32 v12, 21, v12
	v_or3_b32 v12, v11, v13, v12
.LBB34_1363:
	s_or_b32 exec_lo, exec_lo, s13
	v_bfe_u32 v11, v12, 16, 1
	v_cmp_o_f32_e32 vcc_lo, v12, v12
	s_mov_b32 s1, 0
	v_add3_u32 v11, v12, v11, 0x7fff
	v_mov_b32_e32 v12, 0x7fc0
	v_cndmask_b32_sdwa v11, v12, v11, vcc_lo dst_sel:DWORD dst_unused:UNUSED_PAD src0_sel:DWORD src1_sel:WORD_1
	s_branch .LBB34_1369
.LBB34_1364:
	s_mov_b32 s1, -1
                                        ; implicit-def: $vgpr11
	s_branch .LBB34_1375
.LBB34_1365:
	s_or_saveexec_b32 s14, s14
	v_mov_b32_e32 v12, 0x7f800001
	s_xor_b32 exec_lo, exec_lo, s14
	s_cbranch_execz .LBB34_1348
.LBB34_1366:
	v_cmp_ne_u16_e32 vcc_lo, 0, v11
	v_mov_b32_e32 v12, 0
	s_andn2_b32 s13, s13, exec_lo
	s_and_b32 s15, vcc_lo, exec_lo
	s_or_b32 s13, s13, s15
	s_or_b32 exec_lo, exec_lo, s14
	s_and_saveexec_b32 s14, s13
	s_cbranch_execnz .LBB34_1349
	s_branch .LBB34_1350
.LBB34_1367:
	s_mov_b32 s1, -1
                                        ; implicit-def: $vgpr11
	s_branch .LBB34_1372
.LBB34_1368:
	s_mov_b32 s1, -1
                                        ; implicit-def: $vgpr11
.LBB34_1369:
	s_and_b32 vcc_lo, exec_lo, s1
	s_cbranch_vccz .LBB34_1371
; %bb.1370:
	global_load_ubyte v11, v[0:1], off
	s_waitcnt vmcnt(0)
	v_lshlrev_b32_e32 v11, 24, v11
	v_and_b32_e32 v12, 0x7f000000, v11
	v_ffbh_u32_e32 v13, v12
	v_add_nc_u32_e32 v16, 0x1000000, v12
	v_cmp_ne_u32_e32 vcc_lo, 0, v12
	v_min_u32_e32 v13, 32, v13
	v_sub_nc_u32_e64 v13, v13, 4 clamp
	v_lshlrev_b32_e32 v14, v13, v12
	v_lshlrev_b32_e32 v13, 23, v13
	v_lshrrev_b32_e32 v14, 4, v14
	v_sub_nc_u32_e32 v13, v14, v13
	v_ashrrev_i32_e32 v14, 8, v16
	v_add_nc_u32_e32 v13, 0x3c000000, v13
	v_and_or_b32 v13, 0x7f800000, v14, v13
	v_cndmask_b32_e32 v12, 0, v13, vcc_lo
	v_and_or_b32 v11, 0x80000000, v11, v12
	v_bfe_u32 v12, v12, 16, 1
	v_cmp_o_f32_e32 vcc_lo, v11, v11
	v_add3_u32 v11, v11, v12, 0x7fff
	v_mov_b32_e32 v12, 0x7fc0
	v_cndmask_b32_sdwa v11, v12, v11, vcc_lo dst_sel:DWORD dst_unused:UNUSED_PAD src0_sel:DWORD src1_sel:WORD_1
.LBB34_1371:
	s_mov_b32 s1, 0
.LBB34_1372:
	s_andn2_b32 vcc_lo, exec_lo, s1
	s_cbranch_vccnz .LBB34_1374
; %bb.1373:
	global_load_ubyte v11, v[0:1], off
	s_waitcnt vmcnt(0)
	v_lshlrev_b32_e32 v12, 25, v11
	v_lshlrev_b16 v11, 8, v11
	v_lshrrev_b32_e32 v13, 4, v12
	v_and_or_b32 v14, 0x7f00, v11, 0.5
	v_cmp_gt_u32_e32 vcc_lo, 0x8000000, v12
	v_bfe_i32 v11, v11, 0, 16
	v_or_b32_e32 v13, 0x70000000, v13
	v_add_f32_e32 v14, -0.5, v14
	v_mul_f32_e32 v13, 0x7800000, v13
	v_cndmask_b32_e32 v12, v13, v14, vcc_lo
	v_and_or_b32 v11, 0x80000000, v11, v12
	v_bfe_u32 v12, v12, 16, 1
	v_cmp_o_f32_e32 vcc_lo, v11, v11
	v_add3_u32 v11, v11, v12, 0x7fff
	v_mov_b32_e32 v12, 0x7fc0
	v_cndmask_b32_sdwa v11, v12, v11, vcc_lo dst_sel:DWORD dst_unused:UNUSED_PAD src0_sel:DWORD src1_sel:WORD_1
.LBB34_1374:
	s_mov_b32 s1, 0
	s_mov_b32 s13, -1
.LBB34_1375:
	s_andn2_b32 vcc_lo, exec_lo, s1
	s_mov_b32 s1, 0
	s_cbranch_vccnz .LBB34_1386
; %bb.1376:
	s_cmp_gt_i32 s6, 14
	s_cbranch_scc0 .LBB34_1379
; %bb.1377:
	s_cmp_eq_u32 s6, 15
	s_cbranch_scc0 .LBB34_1382
; %bb.1378:
	global_load_ushort v11, v[0:1], off
	s_mov_b32 s0, 0
	s_mov_b32 s13, -1
	s_branch .LBB34_1384
.LBB34_1379:
	s_mov_b32 s1, -1
	s_branch .LBB34_1383
.LBB34_1380:
	s_or_saveexec_b32 s13, s13
	v_mov_b32_e32 v12, 0x7f800001
	s_xor_b32 exec_lo, exec_lo, s13
	s_cbranch_execz .LBB34_1361
.LBB34_1381:
	v_cmp_ne_u16_e32 vcc_lo, 0, v11
	v_mov_b32_e32 v12, 0
	s_andn2_b32 s1, s1, exec_lo
	s_and_b32 s14, vcc_lo, exec_lo
	s_or_b32 s1, s1, s14
	s_or_b32 exec_lo, exec_lo, s13
	s_and_saveexec_b32 s13, s1
	s_cbranch_execnz .LBB34_1362
	s_branch .LBB34_1363
.LBB34_1382:
	s_mov_b32 s0, -1
.LBB34_1383:
                                        ; implicit-def: $vgpr11
.LBB34_1384:
	s_and_b32 vcc_lo, exec_lo, s1
	s_mov_b32 s1, 0
	s_cbranch_vccz .LBB34_1386
; %bb.1385:
	s_cmp_lg_u32 s6, 11
	s_mov_b32 s1, -1
	s_cselect_b32 s0, -1, 0
.LBB34_1386:
	s_and_b32 vcc_lo, exec_lo, s0
	s_cbranch_vccnz .LBB34_1453
; %bb.1387:
	s_andn2_b32 vcc_lo, exec_lo, s1
	s_cbranch_vccnz .LBB34_1389
.LBB34_1388:
	global_load_ubyte v11, v[0:1], off
	s_mov_b32 s13, -1
	s_waitcnt vmcnt(0)
	v_cmp_ne_u16_e32 vcc_lo, 0, v11
	v_cndmask_b32_e64 v11, 0, 1.0, vcc_lo
	v_lshrrev_b32_e32 v11, 16, v11
.LBB34_1389:
	s_branch .LBB34_1316
.LBB34_1390:
	s_cmp_lt_i32 s6, 5
	s_cbranch_scc1 .LBB34_1395
; %bb.1391:
	s_cmp_lt_i32 s6, 8
	s_cbranch_scc1 .LBB34_1396
; %bb.1392:
	;; [unrolled: 3-line block ×3, first 2 shown]
	s_cmp_gt_i32 s6, 9
	s_cbranch_scc0 .LBB34_1398
; %bb.1394:
	global_load_dwordx2 v[11:12], v[0:1], off
	s_mov_b32 s0, 0
	s_waitcnt vmcnt(0)
	v_cvt_f32_f64_e32 v11, v[11:12]
	v_bfe_u32 v12, v11, 16, 1
	v_cmp_o_f32_e32 vcc_lo, v11, v11
	v_add3_u32 v11, v11, v12, 0x7fff
	v_mov_b32_e32 v12, 0x7fc0
	v_cndmask_b32_sdwa v11, v12, v11, vcc_lo dst_sel:DWORD dst_unused:UNUSED_PAD src0_sel:DWORD src1_sel:WORD_1
	s_branch .LBB34_1399
.LBB34_1395:
	s_mov_b32 s0, -1
                                        ; implicit-def: $vgpr11
	s_branch .LBB34_1417
.LBB34_1396:
	s_mov_b32 s0, -1
                                        ; implicit-def: $vgpr11
	s_branch .LBB34_1405
.LBB34_1397:
	s_mov_b32 s0, -1
                                        ; implicit-def: $vgpr11
	s_branch .LBB34_1402
.LBB34_1398:
	s_mov_b32 s0, -1
                                        ; implicit-def: $vgpr11
.LBB34_1399:
	s_andn2_b32 vcc_lo, exec_lo, s0
	s_cbranch_vccnz .LBB34_1401
; %bb.1400:
	global_load_dword v11, v[0:1], off
	s_waitcnt vmcnt(0)
	v_bfe_u32 v12, v11, 16, 1
	v_cmp_o_f32_e32 vcc_lo, v11, v11
	v_add3_u32 v11, v11, v12, 0x7fff
	v_mov_b32_e32 v12, 0x7fc0
	v_cndmask_b32_sdwa v11, v12, v11, vcc_lo dst_sel:DWORD dst_unused:UNUSED_PAD src0_sel:DWORD src1_sel:WORD_1
.LBB34_1401:
	s_mov_b32 s0, 0
.LBB34_1402:
	s_andn2_b32 vcc_lo, exec_lo, s0
	s_cbranch_vccnz .LBB34_1404
; %bb.1403:
	global_load_dword v11, v[0:1], off
	s_waitcnt vmcnt(0)
	v_cvt_f32_f16_e32 v12, v11
	v_cmp_o_f16_e32 vcc_lo, v11, v11
	v_bfe_u32 v13, v12, 16, 1
	v_add3_u32 v11, v12, v13, 0x7fff
	v_mov_b32_e32 v12, 0x7fc0
	v_cndmask_b32_sdwa v11, v12, v11, vcc_lo dst_sel:DWORD dst_unused:UNUSED_PAD src0_sel:DWORD src1_sel:WORD_1
.LBB34_1404:
	s_mov_b32 s0, 0
.LBB34_1405:
	s_andn2_b32 vcc_lo, exec_lo, s0
	s_cbranch_vccnz .LBB34_1416
; %bb.1406:
	s_cmp_lt_i32 s6, 6
	s_cbranch_scc1 .LBB34_1409
; %bb.1407:
	s_cmp_gt_i32 s6, 6
	s_cbranch_scc0 .LBB34_1410
; %bb.1408:
	global_load_dwordx2 v[11:12], v[0:1], off
	s_mov_b32 s0, 0
	s_waitcnt vmcnt(0)
	v_cvt_f32_f64_e32 v11, v[11:12]
	v_bfe_u32 v12, v11, 16, 1
	v_cmp_o_f32_e32 vcc_lo, v11, v11
	v_add3_u32 v11, v11, v12, 0x7fff
	v_mov_b32_e32 v12, 0x7fc0
	v_cndmask_b32_sdwa v11, v12, v11, vcc_lo dst_sel:DWORD dst_unused:UNUSED_PAD src0_sel:DWORD src1_sel:WORD_1
	s_branch .LBB34_1411
.LBB34_1409:
	s_mov_b32 s0, -1
                                        ; implicit-def: $vgpr11
	s_branch .LBB34_1414
.LBB34_1410:
	s_mov_b32 s0, -1
                                        ; implicit-def: $vgpr11
.LBB34_1411:
	s_andn2_b32 vcc_lo, exec_lo, s0
	s_cbranch_vccnz .LBB34_1413
; %bb.1412:
	global_load_dword v11, v[0:1], off
	s_waitcnt vmcnt(0)
	v_bfe_u32 v12, v11, 16, 1
	v_cmp_o_f32_e32 vcc_lo, v11, v11
	v_add3_u32 v11, v11, v12, 0x7fff
	v_mov_b32_e32 v12, 0x7fc0
	v_cndmask_b32_sdwa v11, v12, v11, vcc_lo dst_sel:DWORD dst_unused:UNUSED_PAD src0_sel:DWORD src1_sel:WORD_1
.LBB34_1413:
	s_mov_b32 s0, 0
.LBB34_1414:
	s_andn2_b32 vcc_lo, exec_lo, s0
	s_cbranch_vccnz .LBB34_1416
; %bb.1415:
	global_load_ushort v11, v[0:1], off
	s_waitcnt vmcnt(0)
	v_cvt_f32_f16_e32 v12, v11
	v_cmp_o_f16_e32 vcc_lo, v11, v11
	v_bfe_u32 v13, v12, 16, 1
	v_add3_u32 v11, v12, v13, 0x7fff
	v_mov_b32_e32 v12, 0x7fc0
	v_cndmask_b32_sdwa v11, v12, v11, vcc_lo dst_sel:DWORD dst_unused:UNUSED_PAD src0_sel:DWORD src1_sel:WORD_1
.LBB34_1416:
	s_mov_b32 s0, 0
.LBB34_1417:
	s_andn2_b32 vcc_lo, exec_lo, s0
	s_cbranch_vccnz .LBB34_1437
; %bb.1418:
	s_cmp_lt_i32 s6, 2
	s_cbranch_scc1 .LBB34_1422
; %bb.1419:
	s_cmp_lt_i32 s6, 3
	s_cbranch_scc1 .LBB34_1423
; %bb.1420:
	s_cmp_gt_i32 s6, 3
	s_cbranch_scc0 .LBB34_1424
; %bb.1421:
	global_load_dwordx2 v[11:12], v[0:1], off
	s_mov_b32 s0, 0
	s_waitcnt vmcnt(0)
	v_xor_b32_e32 v13, v11, v12
	v_ffbh_i32_e32 v14, v12
	v_ashrrev_i32_e32 v13, 31, v13
	v_add_nc_u32_e32 v14, -1, v14
	v_add_nc_u32_e32 v13, 32, v13
	v_min_u32_e32 v13, v14, v13
	v_lshlrev_b64 v[11:12], v13, v[11:12]
	v_min_u32_e32 v11, 1, v11
	v_or_b32_e32 v11, v12, v11
	v_sub_nc_u32_e32 v12, 32, v13
	v_cvt_f32_i32_e32 v11, v11
	v_ldexp_f32 v11, v11, v12
	v_bfe_u32 v12, v11, 16, 1
	v_add3_u32 v11, v11, v12, 0x7fff
	v_lshrrev_b32_e32 v11, 16, v11
	s_branch .LBB34_1425
.LBB34_1422:
	s_mov_b32 s0, -1
                                        ; implicit-def: $vgpr11
	s_branch .LBB34_1431
.LBB34_1423:
	s_mov_b32 s0, -1
                                        ; implicit-def: $vgpr11
	s_branch .LBB34_1428
.LBB34_1424:
	s_mov_b32 s0, -1
                                        ; implicit-def: $vgpr11
.LBB34_1425:
	s_andn2_b32 vcc_lo, exec_lo, s0
	s_cbranch_vccnz .LBB34_1427
; %bb.1426:
	global_load_dword v11, v[0:1], off
	s_waitcnt vmcnt(0)
	v_cvt_f32_i32_e32 v11, v11
	v_bfe_u32 v12, v11, 16, 1
	v_add3_u32 v11, v11, v12, 0x7fff
	v_lshrrev_b32_e32 v11, 16, v11
.LBB34_1427:
	s_mov_b32 s0, 0
.LBB34_1428:
	s_andn2_b32 vcc_lo, exec_lo, s0
	s_cbranch_vccnz .LBB34_1430
; %bb.1429:
	global_load_sshort v11, v[0:1], off
	s_waitcnt vmcnt(0)
	v_cvt_f32_i32_e32 v11, v11
	v_bfe_u32 v12, v11, 16, 1
	v_add3_u32 v11, v11, v12, 0x7fff
	v_lshrrev_b32_e32 v11, 16, v11
.LBB34_1430:
	s_mov_b32 s0, 0
.LBB34_1431:
	s_andn2_b32 vcc_lo, exec_lo, s0
	s_cbranch_vccnz .LBB34_1437
; %bb.1432:
	s_cmp_gt_i32 s6, 0
	s_mov_b32 s0, 0
	s_cbranch_scc0 .LBB34_1434
; %bb.1433:
	global_load_sbyte v11, v[0:1], off
	s_waitcnt vmcnt(0)
	v_cvt_f32_i32_e32 v11, v11
	v_bfe_u32 v12, v11, 16, 1
	v_add3_u32 v11, v11, v12, 0x7fff
	v_lshrrev_b32_e32 v11, 16, v11
	s_branch .LBB34_1435
.LBB34_1434:
	s_mov_b32 s0, -1
                                        ; implicit-def: $vgpr11
.LBB34_1435:
	s_andn2_b32 vcc_lo, exec_lo, s0
	s_cbranch_vccnz .LBB34_1437
; %bb.1436:
	global_load_ubyte v0, v[0:1], off
	s_waitcnt vmcnt(0)
	v_cvt_f32_ubyte0_e32 v0, v0
	v_bfe_u32 v1, v0, 16, 1
	v_add3_u32 v0, v0, v1, 0x7fff
	v_lshrrev_b32_e32 v11, 16, v0
.LBB34_1437:
.LBB34_1438:
	s_waitcnt vmcnt(0)
	v_lshlrev_b32_e32 v11, 16, v11
                                        ; implicit-def: $vgpr14
                                        ; implicit-def: $vgpr13
	s_mov_b32 s1, exec_lo
	v_and_b32_e32 v12, 0x7fffffff, v11
	v_cmpx_ngt_f32_e64 0x48000000, |v11|
	s_xor_b32 s13, exec_lo, s1
	s_cbranch_execz .LBB34_1440
; %bb.1439:
	s_mov_b32 s0, 0x7fffff
	v_mov_b32_e32 v14, 0
	v_and_or_b32 v22, v12, s0, 0x800000
	v_mad_u64_u32 v[0:1], null, 0xfe5163ab, v22, 0
	v_mov_b32_e32 v13, v1
	v_lshrrev_b32_e32 v1, 23, v12
	v_mad_u64_u32 v[16:17], null, 0x3c439041, v22, v[13:14]
	v_add_nc_u32_e32 v1, 0xffffff88, v1
	v_cmp_lt_u32_e32 vcc_lo, 63, v1
	v_mov_b32_e32 v13, v17
	v_cndmask_b32_e64 v21, 0, 0xffffffc0, vcc_lo
	v_mad_u64_u32 v[17:18], null, 0xdb629599, v22, v[13:14]
	v_add_nc_u32_e32 v1, v21, v1
	v_mov_b32_e32 v13, v18
	v_cmp_lt_u32_e64 s0, 31, v1
	v_cndmask_b32_e32 v0, v17, v0, vcc_lo
	v_mad_u64_u32 v[18:19], null, 0xf534ddc0, v22, v[13:14]
	v_cndmask_b32_e64 v23, 0, 0xffffffe0, s0
	v_add_nc_u32_e32 v1, v23, v1
	v_mov_b32_e32 v13, v19
	v_cndmask_b32_e32 v16, v18, v16, vcc_lo
	v_cmp_lt_u32_e64 s1, 31, v1
	v_mad_u64_u32 v[19:20], null, 0xfc2757d1, v22, v[13:14]
	v_cndmask_b32_e64 v0, v16, v0, s0
	v_mov_b32_e32 v13, v20
	v_mad_u64_u32 v[20:21], null, 0x4e441529, v22, v[13:14]
	v_mov_b32_e32 v13, v21
	v_cndmask_b32_e64 v21, 0, 0xffffffe0, s1
	v_mad_u64_u32 v[13:14], null, 0xa2f9836e, v22, v[13:14]
	v_cndmask_b32_e32 v22, v20, v18, vcc_lo
	v_add_nc_u32_e32 v1, v21, v1
	v_cndmask_b32_e32 v13, v13, v19, vcc_lo
	v_cndmask_b32_e32 v14, v14, v20, vcc_lo
	;; [unrolled: 1-line block ×3, first 2 shown]
	v_sub_nc_u32_e32 v20, 32, v1
	v_cmp_eq_u32_e32 vcc_lo, 0, v1
	v_cndmask_b32_e64 v18, v13, v22, s0
	v_cndmask_b32_e64 v13, v14, v13, s0
	;; [unrolled: 1-line block ×8, first 2 shown]
	v_alignbit_b32 v21, v13, v18, v20
	v_alignbit_b32 v17, v18, v14, v20
	;; [unrolled: 1-line block ×3, first 2 shown]
	v_cndmask_b32_e32 v1, v21, v13, vcc_lo
	v_cndmask_b32_e32 v13, v17, v18, vcc_lo
	;; [unrolled: 1-line block ×3, first 2 shown]
	v_bfe_u32 v16, v1, 29, 1
	v_alignbit_b32 v17, v1, v13, 30
	v_alignbit_b32 v13, v13, v14, 30
	;; [unrolled: 1-line block ×3, first 2 shown]
	v_sub_nc_u32_e32 v18, 0, v16
	v_xor_b32_e32 v17, v17, v18
	v_xor_b32_e32 v13, v13, v18
	;; [unrolled: 1-line block ×3, first 2 shown]
	v_lshrrev_b32_e32 v18, 29, v1
	v_ffbh_u32_e32 v19, v17
	v_min_u32_e32 v19, 32, v19
	v_sub_nc_u32_e32 v14, 31, v19
	v_lshlrev_b32_e32 v20, 23, v19
	v_alignbit_b32 v17, v17, v13, v14
	v_alignbit_b32 v0, v13, v0, v14
	v_lshlrev_b32_e32 v13, 31, v18
	v_alignbit_b32 v14, v17, v0, 9
	v_or_b32_e32 v18, 0.5, v13
	v_lshrrev_b32_e32 v17, 9, v17
	v_or_b32_e32 v13, 0x33000000, v13
	v_ffbh_u32_e32 v21, v14
	v_sub_nc_u32_e32 v18, v18, v20
	v_min_u32_e32 v20, 32, v21
	v_or_b32_e32 v17, v17, v18
	v_not_b32_e32 v18, v20
	v_mul_f32_e32 v21, 0x3fc90fda, v17
	v_add_lshl_u32 v19, v20, v19, 23
	v_alignbit_b32 v0, v14, v0, v18
	v_fma_f32 v14, 0x3fc90fda, v17, -v21
	v_sub_nc_u32_e32 v13, v13, v19
	v_lshrrev_b32_e32 v0, 9, v0
	v_fmamk_f32 v14, v17, 0x33a22168, v14
	v_or_b32_e32 v0, v13, v0
	v_fmac_f32_e32 v14, 0x3fc90fda, v0
	v_lshrrev_b32_e32 v0, 30, v1
	v_add_f32_e32 v13, v21, v14
	v_add_nc_u32_e32 v14, v16, v0
.LBB34_1440:
	s_andn2_saveexec_b32 s0, s13
; %bb.1441:
	v_mul_f32_e64 v0, 0x3f22f983, |v11|
	v_rndne_f32_e32 v0, v0
	v_fma_f32 v1, 0xbfc90fda, v0, |v11|
	v_cvt_i32_f32_e32 v14, v0
	v_fmamk_f32 v1, v0, 0xb3a22168, v1
	v_fmamk_f32 v13, v0, 0xa7c234c4, v1
; %bb.1442:
	s_or_b32 exec_lo, exec_lo, s0
	v_add_nc_u32_e32 v0, s3, v15
	s_cmp_lt_i32 s6, 11
	v_ashrrev_i32_e32 v1, 31, v0
	v_add_co_u32 v0, vcc_lo, s10, v0
	v_add_co_ci_u32_e64 v1, null, s11, v1, vcc_lo
	s_cbranch_scc1 .LBB34_1449
; %bb.1443:
	s_cmp_gt_i32 s6, 25
	s_mov_b32 s1, 0
	s_cbranch_scc0 .LBB34_1450
; %bb.1444:
	s_cmp_gt_i32 s6, 28
	s_cbranch_scc0 .LBB34_1451
; %bb.1445:
	s_cmp_gt_i32 s6, 43
	;; [unrolled: 3-line block ×3, first 2 shown]
	s_cbranch_scc0 .LBB34_1454
; %bb.1447:
	s_cmp_eq_u32 s6, 46
	s_mov_b32 s10, 0
	s_cbranch_scc0 .LBB34_1455
; %bb.1448:
	global_load_dword v15, v[0:1], off
	s_mov_b32 s0, 0
	s_mov_b32 s3, -1
	s_branch .LBB34_1457
.LBB34_1449:
	s_mov_b32 s0, -1
	s_mov_b32 s3, 0
                                        ; implicit-def: $vgpr15
	s_branch .LBB34_1523
.LBB34_1450:
	s_mov_b32 s10, -1
	s_mov_b32 s3, 0
	s_mov_b32 s0, 0
                                        ; implicit-def: $vgpr15
	s_branch .LBB34_1486
.LBB34_1451:
	s_mov_b32 s10, -1
	s_mov_b32 s3, 0
	s_mov_b32 s0, 0
                                        ; implicit-def: $vgpr15
	s_branch .LBB34_1467
.LBB34_1452:
	s_mov_b32 s10, -1
	s_mov_b32 s3, 0
	s_mov_b32 s0, 0
                                        ; implicit-def: $vgpr15
	s_branch .LBB34_1462
.LBB34_1453:
	s_or_b32 s5, s5, exec_lo
	s_trap 2
	s_cbranch_execz .LBB34_1388
	s_branch .LBB34_1389
.LBB34_1454:
	s_mov_b32 s10, -1
	s_mov_b32 s3, 0
	s_mov_b32 s0, 0
	s_branch .LBB34_1456
.LBB34_1455:
	s_mov_b32 s0, -1
	s_mov_b32 s3, 0
.LBB34_1456:
                                        ; implicit-def: $vgpr15
.LBB34_1457:
	s_and_b32 vcc_lo, exec_lo, s10
	s_cbranch_vccz .LBB34_1461
; %bb.1458:
	s_cmp_eq_u32 s6, 44
	s_cbranch_scc0 .LBB34_1460
; %bb.1459:
	global_load_ubyte v15, v[0:1], off
	s_mov_b32 s0, 0
	s_mov_b32 s3, -1
	s_waitcnt vmcnt(0)
	v_lshlrev_b32_e32 v16, 23, v15
	v_cmp_ne_u32_e32 vcc_lo, 0xff, v15
	v_cndmask_b32_e32 v16, 0x7f800001, v16, vcc_lo
	v_cmp_ne_u32_e32 vcc_lo, 0, v15
	v_cndmask_b32_e32 v15, 0x400000, v16, vcc_lo
	v_mov_b32_e32 v16, 0x7fc0
	v_cmp_o_f32_e32 vcc_lo, v15, v15
	v_add_nc_u32_e32 v15, 0x7fff, v15
	v_cndmask_b32_sdwa v15, v16, v15, vcc_lo dst_sel:DWORD dst_unused:UNUSED_PAD src0_sel:DWORD src1_sel:WORD_1
	s_branch .LBB34_1461
.LBB34_1460:
	s_mov_b32 s0, -1
                                        ; implicit-def: $vgpr15
.LBB34_1461:
	s_mov_b32 s10, 0
.LBB34_1462:
	s_and_b32 vcc_lo, exec_lo, s10
	s_cbranch_vccz .LBB34_1466
; %bb.1463:
	s_cmp_eq_u32 s6, 29
	s_cbranch_scc0 .LBB34_1465
; %bb.1464:
	global_load_dwordx2 v[15:16], v[0:1], off
	s_mov_b32 s0, 0
	s_mov_b32 s3, -1
	s_mov_b32 s10, 0
	s_waitcnt vmcnt(0)
	v_ffbh_u32_e32 v17, v16
	v_min_u32_e32 v17, 32, v17
	v_lshlrev_b64 v[15:16], v17, v[15:16]
	v_min_u32_e32 v15, 1, v15
	v_or_b32_e32 v15, v16, v15
	v_sub_nc_u32_e32 v16, 32, v17
	v_cvt_f32_u32_e32 v15, v15
	v_ldexp_f32 v15, v15, v16
	v_bfe_u32 v16, v15, 16, 1
	v_add3_u32 v15, v15, v16, 0x7fff
	v_lshrrev_b32_e32 v15, 16, v15
	s_branch .LBB34_1467
.LBB34_1465:
	s_mov_b32 s0, -1
                                        ; implicit-def: $vgpr15
.LBB34_1466:
	s_mov_b32 s10, 0
.LBB34_1467:
	s_and_b32 vcc_lo, exec_lo, s10
	s_cbranch_vccz .LBB34_1485
; %bb.1468:
	s_cmp_lt_i32 s6, 27
	s_cbranch_scc1 .LBB34_1471
; %bb.1469:
	s_cmp_gt_i32 s6, 27
	s_cbranch_scc0 .LBB34_1472
; %bb.1470:
	global_load_dword v15, v[0:1], off
	s_mov_b32 s3, 0
	s_waitcnt vmcnt(0)
	v_cvt_f32_u32_e32 v15, v15
	v_bfe_u32 v16, v15, 16, 1
	v_add3_u32 v15, v15, v16, 0x7fff
	v_lshrrev_b32_e32 v15, 16, v15
	s_branch .LBB34_1473
.LBB34_1471:
	s_mov_b32 s3, -1
                                        ; implicit-def: $vgpr15
	s_branch .LBB34_1476
.LBB34_1472:
	s_mov_b32 s3, -1
                                        ; implicit-def: $vgpr15
.LBB34_1473:
	s_andn2_b32 vcc_lo, exec_lo, s3
	s_cbranch_vccnz .LBB34_1475
; %bb.1474:
	global_load_ushort v15, v[0:1], off
	s_waitcnt vmcnt(0)
	v_cvt_f32_u32_e32 v15, v15
	v_bfe_u32 v16, v15, 16, 1
	v_add3_u32 v15, v15, v16, 0x7fff
	v_lshrrev_b32_e32 v15, 16, v15
.LBB34_1475:
	s_mov_b32 s3, 0
.LBB34_1476:
	s_andn2_b32 vcc_lo, exec_lo, s3
	s_cbranch_vccnz .LBB34_1484
; %bb.1477:
	global_load_ubyte v15, v[0:1], off
	s_mov_b32 s3, 0
	s_mov_b32 s10, exec_lo
	s_waitcnt vmcnt(0)
	v_cmpx_lt_i16_e32 0x7f, v15
	s_xor_b32 s10, exec_lo, s10
	s_cbranch_execz .LBB34_1498
; %bb.1478:
	s_mov_b32 s3, -1
	s_mov_b32 s11, exec_lo
	v_cmpx_eq_u16_e32 0x80, v15
; %bb.1479:
	s_xor_b32 s3, exec_lo, -1
; %bb.1480:
	s_or_b32 exec_lo, exec_lo, s11
	s_and_b32 s3, s3, exec_lo
	s_or_saveexec_b32 s10, s10
	v_mov_b32_e32 v16, 0x7f800001
	s_xor_b32 exec_lo, exec_lo, s10
	s_cbranch_execnz .LBB34_1499
.LBB34_1481:
	s_or_b32 exec_lo, exec_lo, s10
	s_and_saveexec_b32 s10, s3
	s_cbranch_execz .LBB34_1483
.LBB34_1482:
	v_and_b32_e32 v16, 0xffff, v15
	v_lshlrev_b32_e32 v15, 24, v15
	v_and_b32_e32 v17, 7, v16
	v_bfe_u32 v20, v16, 3, 4
	v_and_b32_e32 v15, 0x80000000, v15
	v_ffbh_u32_e32 v18, v17
	v_cmp_eq_u32_e32 vcc_lo, 0, v20
	v_min_u32_e32 v18, 32, v18
	v_subrev_nc_u32_e32 v19, 28, v18
	v_sub_nc_u32_e32 v18, 29, v18
	v_lshlrev_b32_e32 v16, v19, v16
	v_cndmask_b32_e32 v18, v20, v18, vcc_lo
	v_and_b32_e32 v16, 7, v16
	v_cndmask_b32_e32 v16, v17, v16, vcc_lo
	v_lshl_add_u32 v17, v18, 23, 0x3b800000
	v_lshlrev_b32_e32 v16, 20, v16
	v_or3_b32 v16, v15, v17, v16
.LBB34_1483:
	s_or_b32 exec_lo, exec_lo, s10
	v_bfe_u32 v15, v16, 16, 1
	v_cmp_o_f32_e32 vcc_lo, v16, v16
	v_add3_u32 v15, v16, v15, 0x7fff
	v_mov_b32_e32 v16, 0x7fc0
	v_cndmask_b32_sdwa v15, v16, v15, vcc_lo dst_sel:DWORD dst_unused:UNUSED_PAD src0_sel:DWORD src1_sel:WORD_1
.LBB34_1484:
	s_mov_b32 s3, -1
.LBB34_1485:
	s_mov_b32 s10, 0
.LBB34_1486:
	s_and_b32 vcc_lo, exec_lo, s10
	s_cbranch_vccz .LBB34_1519
; %bb.1487:
	s_cmp_gt_i32 s6, 22
	s_cbranch_scc0 .LBB34_1497
; %bb.1488:
	s_cmp_lt_i32 s6, 24
	s_cbranch_scc1 .LBB34_1500
; %bb.1489:
	s_cmp_gt_i32 s6, 24
	s_cbranch_scc0 .LBB34_1501
; %bb.1490:
	global_load_ubyte v15, v[0:1], off
	s_mov_b32 s3, exec_lo
	s_waitcnt vmcnt(0)
	v_cmpx_lt_i16_e32 0x7f, v15
	s_xor_b32 s3, exec_lo, s3
	s_cbranch_execz .LBB34_1513
; %bb.1491:
	s_mov_b32 s1, -1
	s_mov_b32 s10, exec_lo
	v_cmpx_eq_u16_e32 0x80, v15
; %bb.1492:
	s_xor_b32 s1, exec_lo, -1
; %bb.1493:
	s_or_b32 exec_lo, exec_lo, s10
	s_and_b32 s1, s1, exec_lo
	s_or_saveexec_b32 s3, s3
	v_mov_b32_e32 v16, 0x7f800001
	s_xor_b32 exec_lo, exec_lo, s3
	s_cbranch_execnz .LBB34_1514
.LBB34_1494:
	s_or_b32 exec_lo, exec_lo, s3
	s_and_saveexec_b32 s3, s1
	s_cbranch_execz .LBB34_1496
.LBB34_1495:
	v_and_b32_e32 v16, 0xffff, v15
	v_lshlrev_b32_e32 v15, 24, v15
	v_and_b32_e32 v17, 3, v16
	v_bfe_u32 v20, v16, 2, 5
	v_and_b32_e32 v15, 0x80000000, v15
	v_ffbh_u32_e32 v18, v17
	v_cmp_eq_u32_e32 vcc_lo, 0, v20
	v_min_u32_e32 v18, 32, v18
	v_subrev_nc_u32_e32 v19, 29, v18
	v_sub_nc_u32_e32 v18, 30, v18
	v_lshlrev_b32_e32 v16, v19, v16
	v_cndmask_b32_e32 v18, v20, v18, vcc_lo
	v_and_b32_e32 v16, 3, v16
	v_cndmask_b32_e32 v16, v17, v16, vcc_lo
	v_lshl_add_u32 v17, v18, 23, 0x37800000
	v_lshlrev_b32_e32 v16, 21, v16
	v_or3_b32 v16, v15, v17, v16
.LBB34_1496:
	s_or_b32 exec_lo, exec_lo, s3
	v_bfe_u32 v15, v16, 16, 1
	v_cmp_o_f32_e32 vcc_lo, v16, v16
	s_mov_b32 s1, 0
	v_add3_u32 v15, v16, v15, 0x7fff
	v_mov_b32_e32 v16, 0x7fc0
	v_cndmask_b32_sdwa v15, v16, v15, vcc_lo dst_sel:DWORD dst_unused:UNUSED_PAD src0_sel:DWORD src1_sel:WORD_1
	s_branch .LBB34_1502
.LBB34_1497:
	s_mov_b32 s1, -1
                                        ; implicit-def: $vgpr15
	s_branch .LBB34_1508
.LBB34_1498:
	s_or_saveexec_b32 s10, s10
	v_mov_b32_e32 v16, 0x7f800001
	s_xor_b32 exec_lo, exec_lo, s10
	s_cbranch_execz .LBB34_1481
.LBB34_1499:
	v_cmp_ne_u16_e32 vcc_lo, 0, v15
	v_mov_b32_e32 v16, 0
	s_andn2_b32 s3, s3, exec_lo
	s_and_b32 s11, vcc_lo, exec_lo
	s_or_b32 s3, s3, s11
	s_or_b32 exec_lo, exec_lo, s10
	s_and_saveexec_b32 s10, s3
	s_cbranch_execnz .LBB34_1482
	s_branch .LBB34_1483
.LBB34_1500:
	s_mov_b32 s1, -1
                                        ; implicit-def: $vgpr15
	s_branch .LBB34_1505
.LBB34_1501:
	s_mov_b32 s1, -1
                                        ; implicit-def: $vgpr15
.LBB34_1502:
	s_and_b32 vcc_lo, exec_lo, s1
	s_cbranch_vccz .LBB34_1504
; %bb.1503:
	global_load_ubyte v15, v[0:1], off
	s_waitcnt vmcnt(0)
	v_lshlrev_b32_e32 v15, 24, v15
	v_and_b32_e32 v16, 0x7f000000, v15
	v_ffbh_u32_e32 v17, v16
	v_add_nc_u32_e32 v19, 0x1000000, v16
	v_cmp_ne_u32_e32 vcc_lo, 0, v16
	v_min_u32_e32 v17, 32, v17
	v_sub_nc_u32_e64 v17, v17, 4 clamp
	v_lshlrev_b32_e32 v18, v17, v16
	v_lshlrev_b32_e32 v17, 23, v17
	v_lshrrev_b32_e32 v18, 4, v18
	v_sub_nc_u32_e32 v17, v18, v17
	v_ashrrev_i32_e32 v18, 8, v19
	v_add_nc_u32_e32 v17, 0x3c000000, v17
	v_and_or_b32 v17, 0x7f800000, v18, v17
	v_cndmask_b32_e32 v16, 0, v17, vcc_lo
	v_and_or_b32 v15, 0x80000000, v15, v16
	v_bfe_u32 v16, v16, 16, 1
	v_cmp_o_f32_e32 vcc_lo, v15, v15
	v_add3_u32 v15, v15, v16, 0x7fff
	v_mov_b32_e32 v16, 0x7fc0
	v_cndmask_b32_sdwa v15, v16, v15, vcc_lo dst_sel:DWORD dst_unused:UNUSED_PAD src0_sel:DWORD src1_sel:WORD_1
.LBB34_1504:
	s_mov_b32 s1, 0
.LBB34_1505:
	s_andn2_b32 vcc_lo, exec_lo, s1
	s_cbranch_vccnz .LBB34_1507
; %bb.1506:
	global_load_ubyte v15, v[0:1], off
	s_waitcnt vmcnt(0)
	v_lshlrev_b32_e32 v16, 25, v15
	v_lshlrev_b16 v15, 8, v15
	v_lshrrev_b32_e32 v17, 4, v16
	v_and_or_b32 v18, 0x7f00, v15, 0.5
	v_cmp_gt_u32_e32 vcc_lo, 0x8000000, v16
	v_bfe_i32 v15, v15, 0, 16
	v_or_b32_e32 v17, 0x70000000, v17
	v_add_f32_e32 v18, -0.5, v18
	v_mul_f32_e32 v17, 0x7800000, v17
	v_cndmask_b32_e32 v16, v17, v18, vcc_lo
	v_and_or_b32 v15, 0x80000000, v15, v16
	v_bfe_u32 v16, v16, 16, 1
	v_cmp_o_f32_e32 vcc_lo, v15, v15
	v_add3_u32 v15, v15, v16, 0x7fff
	v_mov_b32_e32 v16, 0x7fc0
	v_cndmask_b32_sdwa v15, v16, v15, vcc_lo dst_sel:DWORD dst_unused:UNUSED_PAD src0_sel:DWORD src1_sel:WORD_1
.LBB34_1507:
	s_mov_b32 s1, 0
	s_mov_b32 s3, -1
.LBB34_1508:
	s_andn2_b32 vcc_lo, exec_lo, s1
	s_mov_b32 s1, 0
	s_cbranch_vccnz .LBB34_1519
; %bb.1509:
	s_cmp_gt_i32 s6, 14
	s_cbranch_scc0 .LBB34_1512
; %bb.1510:
	s_cmp_eq_u32 s6, 15
	s_cbranch_scc0 .LBB34_1515
; %bb.1511:
	global_load_ushort v15, v[0:1], off
	s_mov_b32 s0, 0
	s_mov_b32 s3, -1
	s_branch .LBB34_1517
.LBB34_1512:
	s_mov_b32 s1, -1
	s_branch .LBB34_1516
.LBB34_1513:
	s_or_saveexec_b32 s3, s3
	v_mov_b32_e32 v16, 0x7f800001
	s_xor_b32 exec_lo, exec_lo, s3
	s_cbranch_execz .LBB34_1494
.LBB34_1514:
	v_cmp_ne_u16_e32 vcc_lo, 0, v15
	v_mov_b32_e32 v16, 0
	s_andn2_b32 s1, s1, exec_lo
	s_and_b32 s10, vcc_lo, exec_lo
	s_or_b32 s1, s1, s10
	s_or_b32 exec_lo, exec_lo, s3
	s_and_saveexec_b32 s3, s1
	s_cbranch_execnz .LBB34_1495
	s_branch .LBB34_1496
.LBB34_1515:
	s_mov_b32 s0, -1
.LBB34_1516:
                                        ; implicit-def: $vgpr15
.LBB34_1517:
	s_and_b32 vcc_lo, exec_lo, s1
	s_mov_b32 s1, 0
	s_cbranch_vccz .LBB34_1519
; %bb.1518:
	s_cmp_lg_u32 s6, 11
	s_mov_b32 s1, -1
	s_cselect_b32 s0, -1, 0
.LBB34_1519:
	s_and_b32 vcc_lo, exec_lo, s0
	s_cbranch_vccnz .LBB34_2052
; %bb.1520:
	s_andn2_b32 vcc_lo, exec_lo, s1
	s_cbranch_vccnz .LBB34_1522
.LBB34_1521:
	global_load_ubyte v15, v[0:1], off
	s_mov_b32 s3, -1
	s_waitcnt vmcnt(0)
	v_cmp_ne_u16_e32 vcc_lo, 0, v15
	v_cndmask_b32_e64 v15, 0, 1.0, vcc_lo
	v_lshrrev_b32_e32 v15, 16, v15
.LBB34_1522:
	s_mov_b32 s0, 0
.LBB34_1523:
	s_and_b32 vcc_lo, exec_lo, s0
	s_cbranch_vccz .LBB34_1572
; %bb.1524:
	s_cmp_lt_i32 s6, 5
	s_cbranch_scc1 .LBB34_1529
; %bb.1525:
	s_cmp_lt_i32 s6, 8
	s_cbranch_scc1 .LBB34_1530
	;; [unrolled: 3-line block ×3, first 2 shown]
; %bb.1527:
	s_cmp_gt_i32 s6, 9
	s_cbranch_scc0 .LBB34_1532
; %bb.1528:
	global_load_dwordx2 v[15:16], v[0:1], off
	s_mov_b32 s0, 0
	s_waitcnt vmcnt(0)
	v_cvt_f32_f64_e32 v15, v[15:16]
	v_bfe_u32 v16, v15, 16, 1
	v_cmp_o_f32_e32 vcc_lo, v15, v15
	v_add3_u32 v15, v15, v16, 0x7fff
	v_mov_b32_e32 v16, 0x7fc0
	v_cndmask_b32_sdwa v15, v16, v15, vcc_lo dst_sel:DWORD dst_unused:UNUSED_PAD src0_sel:DWORD src1_sel:WORD_1
	s_branch .LBB34_1533
.LBB34_1529:
	s_mov_b32 s0, -1
                                        ; implicit-def: $vgpr15
	s_branch .LBB34_1551
.LBB34_1530:
	s_mov_b32 s0, -1
                                        ; implicit-def: $vgpr15
	s_branch .LBB34_1539
.LBB34_1531:
	s_mov_b32 s0, -1
                                        ; implicit-def: $vgpr15
	s_branch .LBB34_1536
.LBB34_1532:
	s_mov_b32 s0, -1
                                        ; implicit-def: $vgpr15
.LBB34_1533:
	s_andn2_b32 vcc_lo, exec_lo, s0
	s_cbranch_vccnz .LBB34_1535
; %bb.1534:
	global_load_dword v15, v[0:1], off
	s_waitcnt vmcnt(0)
	v_bfe_u32 v16, v15, 16, 1
	v_cmp_o_f32_e32 vcc_lo, v15, v15
	v_add3_u32 v15, v15, v16, 0x7fff
	v_mov_b32_e32 v16, 0x7fc0
	v_cndmask_b32_sdwa v15, v16, v15, vcc_lo dst_sel:DWORD dst_unused:UNUSED_PAD src0_sel:DWORD src1_sel:WORD_1
.LBB34_1535:
	s_mov_b32 s0, 0
.LBB34_1536:
	s_andn2_b32 vcc_lo, exec_lo, s0
	s_cbranch_vccnz .LBB34_1538
; %bb.1537:
	global_load_dword v15, v[0:1], off
	s_waitcnt vmcnt(0)
	v_cvt_f32_f16_e32 v16, v15
	v_cmp_o_f16_e32 vcc_lo, v15, v15
	v_bfe_u32 v17, v16, 16, 1
	v_add3_u32 v15, v16, v17, 0x7fff
	v_mov_b32_e32 v16, 0x7fc0
	v_cndmask_b32_sdwa v15, v16, v15, vcc_lo dst_sel:DWORD dst_unused:UNUSED_PAD src0_sel:DWORD src1_sel:WORD_1
.LBB34_1538:
	s_mov_b32 s0, 0
.LBB34_1539:
	s_andn2_b32 vcc_lo, exec_lo, s0
	s_cbranch_vccnz .LBB34_1550
; %bb.1540:
	s_cmp_lt_i32 s6, 6
	s_cbranch_scc1 .LBB34_1543
; %bb.1541:
	s_cmp_gt_i32 s6, 6
	s_cbranch_scc0 .LBB34_1544
; %bb.1542:
	global_load_dwordx2 v[15:16], v[0:1], off
	s_mov_b32 s0, 0
	s_waitcnt vmcnt(0)
	v_cvt_f32_f64_e32 v15, v[15:16]
	v_bfe_u32 v16, v15, 16, 1
	v_cmp_o_f32_e32 vcc_lo, v15, v15
	v_add3_u32 v15, v15, v16, 0x7fff
	v_mov_b32_e32 v16, 0x7fc0
	v_cndmask_b32_sdwa v15, v16, v15, vcc_lo dst_sel:DWORD dst_unused:UNUSED_PAD src0_sel:DWORD src1_sel:WORD_1
	s_branch .LBB34_1545
.LBB34_1543:
	s_mov_b32 s0, -1
                                        ; implicit-def: $vgpr15
	s_branch .LBB34_1548
.LBB34_1544:
	s_mov_b32 s0, -1
                                        ; implicit-def: $vgpr15
.LBB34_1545:
	s_andn2_b32 vcc_lo, exec_lo, s0
	s_cbranch_vccnz .LBB34_1547
; %bb.1546:
	global_load_dword v15, v[0:1], off
	s_waitcnt vmcnt(0)
	v_bfe_u32 v16, v15, 16, 1
	v_cmp_o_f32_e32 vcc_lo, v15, v15
	v_add3_u32 v15, v15, v16, 0x7fff
	v_mov_b32_e32 v16, 0x7fc0
	v_cndmask_b32_sdwa v15, v16, v15, vcc_lo dst_sel:DWORD dst_unused:UNUSED_PAD src0_sel:DWORD src1_sel:WORD_1
.LBB34_1547:
	s_mov_b32 s0, 0
.LBB34_1548:
	s_andn2_b32 vcc_lo, exec_lo, s0
	s_cbranch_vccnz .LBB34_1550
; %bb.1549:
	global_load_ushort v15, v[0:1], off
	s_waitcnt vmcnt(0)
	v_cvt_f32_f16_e32 v16, v15
	v_cmp_o_f16_e32 vcc_lo, v15, v15
	v_bfe_u32 v17, v16, 16, 1
	v_add3_u32 v15, v16, v17, 0x7fff
	v_mov_b32_e32 v16, 0x7fc0
	v_cndmask_b32_sdwa v15, v16, v15, vcc_lo dst_sel:DWORD dst_unused:UNUSED_PAD src0_sel:DWORD src1_sel:WORD_1
.LBB34_1550:
	s_mov_b32 s0, 0
.LBB34_1551:
	s_andn2_b32 vcc_lo, exec_lo, s0
	s_cbranch_vccnz .LBB34_1571
; %bb.1552:
	s_cmp_lt_i32 s6, 2
	s_cbranch_scc1 .LBB34_1556
; %bb.1553:
	s_cmp_lt_i32 s6, 3
	s_cbranch_scc1 .LBB34_1557
; %bb.1554:
	s_cmp_gt_i32 s6, 3
	s_cbranch_scc0 .LBB34_1558
; %bb.1555:
	global_load_dwordx2 v[15:16], v[0:1], off
	s_mov_b32 s0, 0
	s_waitcnt vmcnt(0)
	v_xor_b32_e32 v17, v15, v16
	v_ffbh_i32_e32 v18, v16
	v_ashrrev_i32_e32 v17, 31, v17
	v_add_nc_u32_e32 v18, -1, v18
	v_add_nc_u32_e32 v17, 32, v17
	v_min_u32_e32 v17, v18, v17
	v_lshlrev_b64 v[15:16], v17, v[15:16]
	v_min_u32_e32 v15, 1, v15
	v_or_b32_e32 v15, v16, v15
	v_sub_nc_u32_e32 v16, 32, v17
	v_cvt_f32_i32_e32 v15, v15
	v_ldexp_f32 v15, v15, v16
	v_bfe_u32 v16, v15, 16, 1
	v_add3_u32 v15, v15, v16, 0x7fff
	v_lshrrev_b32_e32 v15, 16, v15
	s_branch .LBB34_1559
.LBB34_1556:
	s_mov_b32 s0, -1
                                        ; implicit-def: $vgpr15
	s_branch .LBB34_1565
.LBB34_1557:
	s_mov_b32 s0, -1
                                        ; implicit-def: $vgpr15
	s_branch .LBB34_1562
.LBB34_1558:
	s_mov_b32 s0, -1
                                        ; implicit-def: $vgpr15
.LBB34_1559:
	s_andn2_b32 vcc_lo, exec_lo, s0
	s_cbranch_vccnz .LBB34_1561
; %bb.1560:
	global_load_dword v15, v[0:1], off
	s_waitcnt vmcnt(0)
	v_cvt_f32_i32_e32 v15, v15
	v_bfe_u32 v16, v15, 16, 1
	v_add3_u32 v15, v15, v16, 0x7fff
	v_lshrrev_b32_e32 v15, 16, v15
.LBB34_1561:
	s_mov_b32 s0, 0
.LBB34_1562:
	s_andn2_b32 vcc_lo, exec_lo, s0
	s_cbranch_vccnz .LBB34_1564
; %bb.1563:
	global_load_sshort v15, v[0:1], off
	s_waitcnt vmcnt(0)
	v_cvt_f32_i32_e32 v15, v15
	v_bfe_u32 v16, v15, 16, 1
	v_add3_u32 v15, v15, v16, 0x7fff
	v_lshrrev_b32_e32 v15, 16, v15
.LBB34_1564:
	s_mov_b32 s0, 0
.LBB34_1565:
	s_andn2_b32 vcc_lo, exec_lo, s0
	s_cbranch_vccnz .LBB34_1571
; %bb.1566:
	s_cmp_gt_i32 s6, 0
	s_mov_b32 s0, 0
	s_cbranch_scc0 .LBB34_1568
; %bb.1567:
	global_load_sbyte v15, v[0:1], off
	s_waitcnt vmcnt(0)
	v_cvt_f32_i32_e32 v15, v15
	v_bfe_u32 v16, v15, 16, 1
	v_add3_u32 v15, v15, v16, 0x7fff
	v_lshrrev_b32_e32 v15, 16, v15
	s_branch .LBB34_1569
.LBB34_1568:
	s_mov_b32 s0, -1
                                        ; implicit-def: $vgpr15
.LBB34_1569:
	s_andn2_b32 vcc_lo, exec_lo, s0
	s_cbranch_vccnz .LBB34_1571
; %bb.1570:
	global_load_ubyte v0, v[0:1], off
	s_waitcnt vmcnt(0)
	v_cvt_f32_ubyte0_e32 v0, v0
	v_bfe_u32 v1, v0, 16, 1
	v_add3_u32 v0, v0, v1, 0x7fff
	v_lshrrev_b32_e32 v15, 16, v0
.LBB34_1571:
	s_mov_b32 s3, -1
.LBB34_1572:
	s_andn2_b32 vcc_lo, exec_lo, s3
	s_cbranch_vccnz .LBB34_2007
; %bb.1573:
	s_waitcnt vmcnt(0)
	v_lshlrev_b32_e32 v15, 16, v15
                                        ; implicit-def: $vgpr18
                                        ; implicit-def: $vgpr17
	s_mov_b32 s1, exec_lo
	v_and_b32_e32 v16, 0x7fffffff, v15
	v_cmpx_ngt_f32_e64 0x48000000, |v15|
	s_xor_b32 s3, exec_lo, s1
	s_cbranch_execz .LBB34_1575
; %bb.1574:
	s_mov_b32 s0, 0x7fffff
	v_mov_b32_e32 v18, 0
	v_and_or_b32 v25, v16, s0, 0x800000
	v_mad_u64_u32 v[0:1], null, 0xfe5163ab, v25, 0
	v_mov_b32_e32 v17, v1
	v_lshrrev_b32_e32 v1, 23, v16
	v_mad_u64_u32 v[19:20], null, 0x3c439041, v25, v[17:18]
	v_add_nc_u32_e32 v1, 0xffffff88, v1
	v_cmp_lt_u32_e32 vcc_lo, 63, v1
	v_mov_b32_e32 v17, v20
	v_cndmask_b32_e64 v24, 0, 0xffffffc0, vcc_lo
	v_mad_u64_u32 v[20:21], null, 0xdb629599, v25, v[17:18]
	v_add_nc_u32_e32 v1, v24, v1
	v_mov_b32_e32 v17, v21
	v_cmp_lt_u32_e64 s0, 31, v1
	v_cndmask_b32_e32 v0, v20, v0, vcc_lo
	v_mad_u64_u32 v[21:22], null, 0xf534ddc0, v25, v[17:18]
	v_cndmask_b32_e64 v26, 0, 0xffffffe0, s0
	v_add_nc_u32_e32 v1, v26, v1
	v_mov_b32_e32 v17, v22
	v_cndmask_b32_e32 v19, v21, v19, vcc_lo
	v_cmp_lt_u32_e64 s1, 31, v1
	v_mad_u64_u32 v[22:23], null, 0xfc2757d1, v25, v[17:18]
	v_cndmask_b32_e64 v0, v19, v0, s0
	v_mov_b32_e32 v17, v23
	v_mad_u64_u32 v[23:24], null, 0x4e441529, v25, v[17:18]
	v_mov_b32_e32 v17, v24
	v_cndmask_b32_e64 v24, 0, 0xffffffe0, s1
	v_mad_u64_u32 v[17:18], null, 0xa2f9836e, v25, v[17:18]
	v_cndmask_b32_e32 v25, v23, v21, vcc_lo
	v_add_nc_u32_e32 v1, v24, v1
	v_cndmask_b32_e32 v17, v17, v22, vcc_lo
	v_cndmask_b32_e32 v18, v18, v23, vcc_lo
	;; [unrolled: 1-line block ×3, first 2 shown]
	v_sub_nc_u32_e32 v23, 32, v1
	v_cmp_eq_u32_e32 vcc_lo, 0, v1
	v_cndmask_b32_e64 v21, v17, v25, s0
	v_cndmask_b32_e64 v17, v18, v17, s0
	;; [unrolled: 1-line block ×8, first 2 shown]
	v_alignbit_b32 v24, v17, v21, v23
	v_alignbit_b32 v20, v21, v18, v23
	v_alignbit_b32 v22, v18, v0, v23
	v_cndmask_b32_e32 v1, v24, v17, vcc_lo
	v_cndmask_b32_e32 v17, v20, v21, vcc_lo
	;; [unrolled: 1-line block ×3, first 2 shown]
	v_bfe_u32 v19, v1, 29, 1
	v_alignbit_b32 v20, v1, v17, 30
	v_alignbit_b32 v17, v17, v18, 30
	;; [unrolled: 1-line block ×3, first 2 shown]
	v_sub_nc_u32_e32 v21, 0, v19
	v_xor_b32_e32 v20, v20, v21
	v_xor_b32_e32 v17, v17, v21
	;; [unrolled: 1-line block ×3, first 2 shown]
	v_lshrrev_b32_e32 v21, 29, v1
	v_ffbh_u32_e32 v22, v20
	v_min_u32_e32 v22, 32, v22
	v_sub_nc_u32_e32 v18, 31, v22
	v_lshlrev_b32_e32 v23, 23, v22
	v_alignbit_b32 v20, v20, v17, v18
	v_alignbit_b32 v0, v17, v0, v18
	v_lshlrev_b32_e32 v17, 31, v21
	v_alignbit_b32 v18, v20, v0, 9
	v_or_b32_e32 v21, 0.5, v17
	v_lshrrev_b32_e32 v20, 9, v20
	v_or_b32_e32 v17, 0x33000000, v17
	v_ffbh_u32_e32 v24, v18
	v_sub_nc_u32_e32 v21, v21, v23
	v_min_u32_e32 v23, 32, v24
	v_or_b32_e32 v20, v20, v21
	v_not_b32_e32 v21, v23
	v_mul_f32_e32 v24, 0x3fc90fda, v20
	v_add_lshl_u32 v22, v23, v22, 23
	v_alignbit_b32 v0, v18, v0, v21
	v_fma_f32 v18, 0x3fc90fda, v20, -v24
	v_sub_nc_u32_e32 v17, v17, v22
	v_lshrrev_b32_e32 v0, 9, v0
	v_fmamk_f32 v18, v20, 0x33a22168, v18
	v_or_b32_e32 v0, v17, v0
	v_fmac_f32_e32 v18, 0x3fc90fda, v0
	v_lshrrev_b32_e32 v0, 30, v1
	v_add_f32_e32 v17, v24, v18
	v_add_nc_u32_e32 v18, v19, v0
.LBB34_1575:
	s_andn2_saveexec_b32 s0, s3
; %bb.1576:
	v_mul_f32_e64 v0, 0x3f22f983, |v15|
	v_rndne_f32_e32 v0, v0
	v_fma_f32 v1, 0xbfc90fda, v0, |v15|
	v_cvt_i32_f32_e32 v18, v0
	v_fmamk_f32 v1, v0, 0xb3a22168, v1
	v_fmamk_f32 v17, v0, 0xa7c234c4, v1
; %bb.1577:
	s_or_b32 exec_lo, exec_lo, s0
	v_mul_f32_e32 v0, v5, v5
	s_mov_b32 s0, 0xb94c1982
	s_mov_b32 s1, 0x37d75334
	v_lshlrev_b32_e32 v20, 30, v6
	v_and_b32_e32 v6, 1, v6
	v_fmaak_f32 v1, s0, v0, 0x3c0881c4
	v_fmaak_f32 v19, s1, v0, 0xbab64f3b
	v_mul_lo_u32 v2, s2, v2
	v_and_b32_e32 v20, 0x80000000, v20
	v_cmp_eq_u32_e32 vcc_lo, 0, v6
	v_fmaak_f32 v1, v0, v1, 0xbe2aaa9d
	v_fmaak_f32 v19, v0, v19, 0x3d2aabf7
	s_and_b32 s1, s4, 0xff
	s_mov_b32 s6, 0
	s_cmp_lt_i32 s1, 11
	v_mul_f32_e32 v1, v0, v1
	v_fmaak_f32 v19, v0, v19, 0xbf000004
	s_mov_b32 s0, -1
	v_fmac_f32_e32 v5, v5, v1
	v_fma_f32 v0, v0, v19, 1.0
	v_xor_b32_e32 v1, v4, v20
	v_cndmask_b32_e32 v0, v0, v5, vcc_lo
	v_cmp_class_f32_e64 vcc_lo, v3, 0x1f8
	v_xor3_b32 v0, v1, v0, v3
	v_ashrrev_i32_e32 v1, 31, v2
	v_cndmask_b32_e32 v3, 0x7fc00000, v0, vcc_lo
	v_bfe_u32 v0, v3, 16, 1
	v_add3_u32 v0, v3, v0, 0x7fff
	v_lshrrev_b32_e32 v4, 16, v0
	v_add_co_u32 v0, vcc_lo, s8, v2
	v_add_co_ci_u32_e64 v1, null, s9, v1, vcc_lo
	v_cmp_o_f32_e32 vcc_lo, v3, v3
	v_cndmask_b32_e32 v3, 0x7fc0, v4, vcc_lo
	s_cbranch_scc1 .LBB34_1656
; %bb.1578:
	s_and_b32 s3, 0xffff, s1
	s_mov_b32 s10, -1
	s_mov_b32 s4, 0
	s_cmp_gt_i32 s3, 25
	s_mov_b32 s0, 0
	s_cbranch_scc0 .LBB34_1611
; %bb.1579:
	s_cmp_gt_i32 s3, 28
	s_cbranch_scc0 .LBB34_1594
; %bb.1580:
	s_cmp_gt_i32 s3, 43
	;; [unrolled: 3-line block ×3, first 2 shown]
	s_cbranch_scc0 .LBB34_1584
; %bb.1582:
	s_mov_b32 s0, -1
	s_mov_b32 s10, 0
	s_cmp_eq_u32 s3, 46
	s_cbranch_scc0 .LBB34_1584
; %bb.1583:
	v_and_b32_e32 v4, 0xffff, v3
	s_mov_b32 s0, 0
	s_mov_b32 s6, -1
	global_store_dword v[0:1], v4, off
.LBB34_1584:
	s_and_b32 vcc_lo, exec_lo, s10
	s_cbranch_vccz .LBB34_1589
; %bb.1585:
	s_cmp_eq_u32 s3, 44
	s_mov_b32 s0, -1
	s_cbranch_scc0 .LBB34_1589
; %bb.1586:
	v_and_b32_e32 v4, 0xffff, v3
	v_mov_b32_e32 v5, 0xff
	s_mov_b32 s6, exec_lo
	v_bfe_u32 v6, v4, 7, 8
	v_cmpx_ne_u32_e32 0xff, v6
	s_cbranch_execz .LBB34_1588
; %bb.1587:
	v_lshlrev_b32_e32 v5, 16, v4
	v_and_b32_e32 v19, 64, v4
	v_lshrrev_b32_e32 v4, 7, v4
	v_and_or_b32 v5, 0x3f0000, v5, v6
	v_cmp_ne_u32_e32 vcc_lo, 0, v19
	v_cmp_ne_u32_e64 s0, 0, v5
	s_and_b32 s0, vcc_lo, s0
	v_cndmask_b32_e64 v5, 0, 1, s0
	v_add_nc_u32_e32 v5, v4, v5
.LBB34_1588:
	s_or_b32 exec_lo, exec_lo, s6
	s_mov_b32 s0, 0
	s_mov_b32 s6, -1
	global_store_byte v[0:1], v5, off
.LBB34_1589:
	s_mov_b32 s10, 0
.LBB34_1590:
	s_and_b32 vcc_lo, exec_lo, s10
	s_cbranch_vccz .LBB34_1593
; %bb.1591:
	s_cmp_eq_u32 s3, 29
	s_mov_b32 s0, -1
	s_cbranch_scc0 .LBB34_1593
; %bb.1592:
	v_lshlrev_b32_e32 v4, 16, v3
	s_mov_b32 s0, 0
	s_mov_b32 s6, -1
	v_trunc_f32_e32 v4, v4
	v_mul_f32_e32 v5, 0x2f800000, v4
	v_floor_f32_e32 v5, v5
	v_fmamk_f32 v4, v5, 0xcf800000, v4
	v_cvt_u32_f32_e32 v5, v5
	v_cvt_u32_f32_e32 v4, v4
	global_store_dwordx2 v[0:1], v[4:5], off
.LBB34_1593:
	s_mov_b32 s10, 0
.LBB34_1594:
	s_and_b32 vcc_lo, exec_lo, s10
	s_cbranch_vccz .LBB34_1610
; %bb.1595:
	s_cmp_lt_i32 s3, 27
	s_mov_b32 s6, -1
	s_cbranch_scc1 .LBB34_1601
; %bb.1596:
	s_cmp_gt_i32 s3, 27
	s_cbranch_scc0 .LBB34_1598
; %bb.1597:
	v_lshlrev_b32_e32 v4, 16, v3
	s_mov_b32 s6, 0
	v_cvt_u32_f32_e32 v4, v4
	global_store_dword v[0:1], v4, off
.LBB34_1598:
	s_andn2_b32 vcc_lo, exec_lo, s6
	s_cbranch_vccnz .LBB34_1600
; %bb.1599:
	v_lshlrev_b32_e32 v4, 16, v3
	v_cvt_u32_f32_e32 v4, v4
	global_store_short v[0:1], v4, off
.LBB34_1600:
	s_mov_b32 s6, 0
.LBB34_1601:
	s_andn2_b32 vcc_lo, exec_lo, s6
	s_cbranch_vccnz .LBB34_1609
; %bb.1602:
	v_lshlrev_b32_e32 v6, 16, v3
	v_mov_b32_e32 v19, 0x80
	s_mov_b32 s6, exec_lo
	v_and_b32_e32 v5, 0x7fffffff, v6
	v_cmpx_gt_u32_e32 0x43800000, v5
	s_cbranch_execz .LBB34_1608
; %bb.1603:
	v_and_b32_e32 v4, 0xffff, v3
	v_cmp_lt_u32_e32 vcc_lo, 0x3bffffff, v5
	s_mov_b32 s10, 0
                                        ; implicit-def: $vgpr5
	s_and_saveexec_b32 s11, vcc_lo
	s_xor_b32 s11, exec_lo, s11
	s_cbranch_execz .LBB34_2053
; %bb.1604:
	v_bfe_u32 v5, v4, 4, 1
	s_mov_b32 s10, exec_lo
	v_add3_u32 v5, v6, v5, 0x487ffff
                                        ; implicit-def: $vgpr6
	v_lshrrev_b32_e32 v5, 20, v5
	s_andn2_saveexec_b32 s11, s11
	s_cbranch_execnz .LBB34_2054
.LBB34_1605:
	s_or_b32 exec_lo, exec_lo, s11
	v_mov_b32_e32 v19, 0
	s_and_saveexec_b32 s11, s10
.LBB34_1606:
	v_lshrrev_b32_e32 v4, 8, v4
	v_and_or_b32 v19, 0x80, v4, v5
.LBB34_1607:
	s_or_b32 exec_lo, exec_lo, s11
.LBB34_1608:
	s_or_b32 exec_lo, exec_lo, s6
	global_store_byte v[0:1], v19, off
.LBB34_1609:
	s_mov_b32 s6, -1
.LBB34_1610:
	s_mov_b32 s10, 0
.LBB34_1611:
	s_and_b32 vcc_lo, exec_lo, s10
	s_cbranch_vccz .LBB34_1651
; %bb.1612:
	s_cmp_gt_i32 s3, 22
	s_mov_b32 s4, -1
	s_cbranch_scc0 .LBB34_1644
; %bb.1613:
	s_cmp_lt_i32 s3, 24
	s_cbranch_scc1 .LBB34_1633
; %bb.1614:
	s_cmp_gt_i32 s3, 24
	s_cbranch_scc0 .LBB34_1622
; %bb.1615:
	v_lshlrev_b32_e32 v6, 16, v3
	v_mov_b32_e32 v19, 0x80
	s_mov_b32 s4, exec_lo
	v_and_b32_e32 v5, 0x7fffffff, v6
	v_cmpx_gt_u32_e32 0x47800000, v5
	s_cbranch_execz .LBB34_1621
; %bb.1616:
	v_and_b32_e32 v4, 0xffff, v3
	v_cmp_lt_u32_e32 vcc_lo, 0x37ffffff, v5
	s_mov_b32 s6, 0
                                        ; implicit-def: $vgpr5
	s_and_saveexec_b32 s10, vcc_lo
	s_xor_b32 s10, exec_lo, s10
	s_cbranch_execz .LBB34_2056
; %bb.1617:
	v_bfe_u32 v5, v4, 5, 1
	s_mov_b32 s6, exec_lo
	v_add3_u32 v5, v6, v5, 0x88fffff
                                        ; implicit-def: $vgpr6
	v_lshrrev_b32_e32 v5, 21, v5
	s_andn2_saveexec_b32 s10, s10
	s_cbranch_execnz .LBB34_2057
.LBB34_1618:
	s_or_b32 exec_lo, exec_lo, s10
	v_mov_b32_e32 v19, 0
	s_and_saveexec_b32 s10, s6
.LBB34_1619:
	v_lshrrev_b32_e32 v4, 8, v4
	v_and_or_b32 v19, 0x80, v4, v5
.LBB34_1620:
	s_or_b32 exec_lo, exec_lo, s10
.LBB34_1621:
	s_or_b32 exec_lo, exec_lo, s4
	s_mov_b32 s4, 0
	global_store_byte v[0:1], v19, off
.LBB34_1622:
	s_and_b32 vcc_lo, exec_lo, s4
	s_cbranch_vccz .LBB34_1632
; %bb.1623:
	v_lshlrev_b32_e32 v6, 16, v3
	v_and_b32_e32 v4, 0xffff, v3
	s_mov_b32 s4, exec_lo
                                        ; implicit-def: $vgpr5
	v_and_b32_e32 v19, 0x7fffffff, v6
	v_cmpx_gt_u32_e32 0x43f00000, v19
	s_xor_b32 s4, exec_lo, s4
	s_cbranch_execz .LBB34_1629
; %bb.1624:
	s_mov_b32 s6, exec_lo
                                        ; implicit-def: $vgpr5
	v_cmpx_lt_u32_e32 0x3c7fffff, v19
	s_xor_b32 s6, exec_lo, s6
; %bb.1625:
	v_bfe_u32 v5, v4, 4, 1
	v_add3_u32 v5, v6, v5, 0x407ffff
	v_and_b32_e32 v6, 0xff00000, v5
	v_lshrrev_b32_e32 v5, 20, v5
	v_cmp_ne_u32_e32 vcc_lo, 0x7f00000, v6
                                        ; implicit-def: $vgpr6
	v_cndmask_b32_e32 v5, 0x7e, v5, vcc_lo
; %bb.1626:
	s_andn2_saveexec_b32 s6, s6
; %bb.1627:
	v_add_f32_e64 v5, 0x46800000, |v6|
; %bb.1628:
	s_or_b32 exec_lo, exec_lo, s6
                                        ; implicit-def: $vgpr19
.LBB34_1629:
	s_andn2_saveexec_b32 s4, s4
; %bb.1630:
	v_mov_b32_e32 v5, 0x7f
	v_cmp_lt_u32_e32 vcc_lo, 0x7f800000, v19
	v_cndmask_b32_e32 v5, 0x7e, v5, vcc_lo
; %bb.1631:
	s_or_b32 exec_lo, exec_lo, s4
	v_lshrrev_b32_e32 v4, 8, v4
	v_and_or_b32 v4, 0x80, v4, v5
	global_store_byte v[0:1], v4, off
.LBB34_1632:
	s_mov_b32 s4, 0
.LBB34_1633:
	s_andn2_b32 vcc_lo, exec_lo, s4
	s_cbranch_vccnz .LBB34_1643
; %bb.1634:
	v_lshlrev_b32_e32 v6, 16, v3
	v_and_b32_e32 v4, 0xffff, v3
	s_mov_b32 s4, exec_lo
                                        ; implicit-def: $vgpr5
	v_and_b32_e32 v19, 0x7fffffff, v6
	v_cmpx_gt_u32_e32 0x47800000, v19
	s_xor_b32 s4, exec_lo, s4
	s_cbranch_execz .LBB34_1640
; %bb.1635:
	s_mov_b32 s6, exec_lo
                                        ; implicit-def: $vgpr5
	v_cmpx_lt_u32_e32 0x387fffff, v19
	s_xor_b32 s6, exec_lo, s6
; %bb.1636:
	v_bfe_u32 v5, v4, 5, 1
	v_add3_u32 v5, v6, v5, 0x80fffff
                                        ; implicit-def: $vgpr6
	v_lshrrev_b32_e32 v5, 21, v5
; %bb.1637:
	s_andn2_saveexec_b32 s6, s6
; %bb.1638:
	v_add_f32_e64 v5, 0x43000000, |v6|
; %bb.1639:
	s_or_b32 exec_lo, exec_lo, s6
                                        ; implicit-def: $vgpr19
.LBB34_1640:
	s_andn2_saveexec_b32 s4, s4
; %bb.1641:
	v_mov_b32_e32 v5, 0x7f
	v_cmp_lt_u32_e32 vcc_lo, 0x7f800000, v19
	v_cndmask_b32_e32 v5, 0x7c, v5, vcc_lo
; %bb.1642:
	s_or_b32 exec_lo, exec_lo, s4
	v_lshrrev_b32_e32 v4, 8, v4
	v_and_or_b32 v4, 0x80, v4, v5
	global_store_byte v[0:1], v4, off
.LBB34_1643:
	s_mov_b32 s4, 0
	s_mov_b32 s6, -1
.LBB34_1644:
	s_andn2_b32 vcc_lo, exec_lo, s4
	s_mov_b32 s4, 0
	s_cbranch_vccnz .LBB34_1651
; %bb.1645:
	s_cmp_gt_i32 s3, 14
	s_mov_b32 s4, -1
	s_cbranch_scc0 .LBB34_1649
; %bb.1646:
	s_cmp_eq_u32 s3, 15
	s_mov_b32 s0, -1
	s_cbranch_scc0 .LBB34_1648
; %bb.1647:
	s_mov_b32 s0, 0
	s_mov_b32 s6, -1
	global_store_short v[0:1], v3, off
.LBB34_1648:
	s_mov_b32 s4, 0
.LBB34_1649:
	s_and_b32 vcc_lo, exec_lo, s4
	s_mov_b32 s4, 0
	s_cbranch_vccz .LBB34_1651
; %bb.1650:
	s_cmp_lg_u32 s3, 11
	s_mov_b32 s4, -1
	s_cselect_b32 s0, -1, 0
.LBB34_1651:
	s_and_b32 vcc_lo, exec_lo, s0
	s_cbranch_vccnz .LBB34_2055
; %bb.1652:
	s_andn2_b32 vcc_lo, exec_lo, s4
	s_cbranch_vccnz .LBB34_1654
.LBB34_1653:
	v_and_b32_e32 v4, 0x7fff, v3
	s_mov_b32 s6, -1
	v_cmp_ne_u16_e32 vcc_lo, 0, v4
	v_cndmask_b32_e64 v4, 0, 1, vcc_lo
	global_store_byte v[0:1], v4, off
.LBB34_1654:
.LBB34_1655:
	s_andn2_b32 vcc_lo, exec_lo, s6
	s_cbranch_vccz .LBB34_1695
	s_branch .LBB34_2007
.LBB34_1656:
	s_and_b32 vcc_lo, exec_lo, s0
	s_cbranch_vccz .LBB34_1655
; %bb.1657:
	s_and_b32 s0, 0xffff, s1
	s_mov_b32 s3, -1
	s_cmp_lt_i32 s0, 5
	s_cbranch_scc1 .LBB34_1678
; %bb.1658:
	s_cmp_lt_i32 s0, 8
	s_cbranch_scc1 .LBB34_1668
; %bb.1659:
	;; [unrolled: 3-line block ×3, first 2 shown]
	s_cmp_gt_i32 s0, 9
	s_cbranch_scc0 .LBB34_1662
; %bb.1661:
	v_lshlrev_b32_e32 v4, 16, v3
	v_mov_b32_e32 v21, 0
	s_mov_b32 s3, 0
	v_cvt_f64_f32_e32 v[19:20], v4
	v_mov_b32_e32 v22, v21
	global_store_dwordx4 v[0:1], v[19:22], off
.LBB34_1662:
	s_andn2_b32 vcc_lo, exec_lo, s3
	s_cbranch_vccnz .LBB34_1664
; %bb.1663:
	v_lshlrev_b32_e32 v4, 16, v3
	v_mov_b32_e32 v5, 0
	global_store_dwordx2 v[0:1], v[4:5], off
.LBB34_1664:
	s_mov_b32 s3, 0
.LBB34_1665:
	s_andn2_b32 vcc_lo, exec_lo, s3
	s_cbranch_vccnz .LBB34_1667
; %bb.1666:
	v_lshlrev_b32_e32 v4, 16, v3
	v_cvt_f16_f32_e32 v4, v4
	v_and_b32_e32 v4, 0xffff, v4
	global_store_dword v[0:1], v4, off
.LBB34_1667:
	s_mov_b32 s3, 0
.LBB34_1668:
	s_andn2_b32 vcc_lo, exec_lo, s3
	s_cbranch_vccnz .LBB34_1677
; %bb.1669:
	s_cmp_lt_i32 s0, 6
	s_mov_b32 s3, -1
	s_cbranch_scc1 .LBB34_1675
; %bb.1670:
	s_cmp_gt_i32 s0, 6
	s_cbranch_scc0 .LBB34_1672
; %bb.1671:
	v_lshlrev_b32_e32 v4, 16, v3
	s_mov_b32 s3, 0
	v_cvt_f64_f32_e32 v[4:5], v4
	global_store_dwordx2 v[0:1], v[4:5], off
.LBB34_1672:
	s_andn2_b32 vcc_lo, exec_lo, s3
	s_cbranch_vccnz .LBB34_1674
; %bb.1673:
	v_lshlrev_b32_e32 v4, 16, v3
	global_store_dword v[0:1], v4, off
.LBB34_1674:
	s_mov_b32 s3, 0
.LBB34_1675:
	s_andn2_b32 vcc_lo, exec_lo, s3
	s_cbranch_vccnz .LBB34_1677
; %bb.1676:
	v_lshlrev_b32_e32 v4, 16, v3
	v_cvt_f16_f32_e32 v4, v4
	global_store_short v[0:1], v4, off
.LBB34_1677:
	s_mov_b32 s3, 0
.LBB34_1678:
	s_andn2_b32 vcc_lo, exec_lo, s3
	s_cbranch_vccnz .LBB34_1694
; %bb.1679:
	s_cmp_lt_i32 s0, 2
	s_mov_b32 s3, -1
	s_cbranch_scc1 .LBB34_1689
; %bb.1680:
	s_cmp_lt_i32 s0, 3
	s_cbranch_scc1 .LBB34_1686
; %bb.1681:
	s_cmp_gt_i32 s0, 3
	s_cbranch_scc0 .LBB34_1683
; %bb.1682:
	v_lshlrev_b32_e32 v4, 16, v3
	s_mov_b32 s3, 0
	v_trunc_f32_e32 v4, v4
	v_mul_f32_e64 v5, 0x2f800000, |v4|
	v_ashrrev_i32_e32 v19, 31, v4
	v_floor_f32_e32 v5, v5
	v_fma_f32 v6, 0xcf800000, v5, |v4|
	v_cvt_u32_f32_e32 v5, v5
	v_cvt_u32_f32_e32 v4, v6
	v_xor_b32_e32 v5, v5, v19
	v_xor_b32_e32 v4, v4, v19
	v_sub_co_u32 v4, vcc_lo, v4, v19
	v_sub_co_ci_u32_e64 v5, null, v5, v19, vcc_lo
	global_store_dwordx2 v[0:1], v[4:5], off
.LBB34_1683:
	s_andn2_b32 vcc_lo, exec_lo, s3
	s_cbranch_vccnz .LBB34_1685
; %bb.1684:
	v_lshlrev_b32_e32 v4, 16, v3
	v_cvt_i32_f32_e32 v4, v4
	global_store_dword v[0:1], v4, off
.LBB34_1685:
	s_mov_b32 s3, 0
.LBB34_1686:
	s_andn2_b32 vcc_lo, exec_lo, s3
	s_cbranch_vccnz .LBB34_1688
; %bb.1687:
	v_lshlrev_b32_e32 v4, 16, v3
	v_cvt_i32_f32_e32 v4, v4
	global_store_short v[0:1], v4, off
.LBB34_1688:
	s_mov_b32 s3, 0
.LBB34_1689:
	s_andn2_b32 vcc_lo, exec_lo, s3
	s_cbranch_vccnz .LBB34_1694
; %bb.1690:
	v_lshlrev_b32_e32 v3, 16, v3
	s_cmp_gt_i32 s0, 0
	s_mov_b32 s0, -1
	s_cbranch_scc0 .LBB34_1692
; %bb.1691:
	v_cvt_i32_f32_e32 v4, v3
	s_mov_b32 s0, 0
	global_store_byte v[0:1], v4, off
.LBB34_1692:
	s_andn2_b32 vcc_lo, exec_lo, s0
	s_cbranch_vccnz .LBB34_1694
; %bb.1693:
	v_trunc_f32_e32 v3, v3
	v_mul_f32_e64 v4, 0x2f800000, |v3|
	v_floor_f32_e32 v4, v4
	v_fma_f32 v4, 0xcf800000, v4, |v3|
	v_ashrrev_i32_e32 v3, 31, v3
	v_cvt_u32_f32_e32 v4, v4
	v_xor_b32_e32 v4, v4, v3
	v_sub_nc_u32_e32 v3, v4, v3
	global_store_byte v[0:1], v3, off
.LBB34_1694:
.LBB34_1695:
	v_mul_f32_e32 v0, v9, v9
	s_mov_b32 s0, 0xb94c1982
	s_mov_b32 s3, 0x37d75334
	v_lshlrev_b32_e32 v4, 30, v10
	v_and_b32_e32 v5, 1, v10
	v_fmaak_f32 v1, s0, v0, 0x3c0881c4
	v_fmaak_f32 v3, s3, v0, 0xbab64f3b
	s_lshl_b32 s2, s2, 7
	v_and_b32_e32 v4, 0x80000000, v4
	v_cmp_eq_u32_e32 vcc_lo, 0, v5
	v_fmaak_f32 v1, v0, v1, 0xbe2aaa9d
	v_fmaak_f32 v3, v0, v3, 0x3d2aabf7
	v_add_nc_u32_e32 v2, s2, v2
	s_mov_b32 s6, 0
	s_cmp_lt_i32 s1, 11
	v_mul_f32_e32 v1, v0, v1
	v_fmaak_f32 v3, v0, v3, 0xbf000004
	s_mov_b32 s0, -1
	v_fmac_f32_e32 v9, v9, v1
	v_fma_f32 v0, v0, v3, 1.0
	v_xor_b32_e32 v1, v8, v4
	v_ashrrev_i32_e32 v4, 31, v2
	v_cndmask_b32_e32 v0, v0, v9, vcc_lo
	v_cmp_class_f32_e64 vcc_lo, v7, 0x1f8
	v_xor3_b32 v0, v1, v0, v7
	v_cndmask_b32_e32 v0, 0x7fc00000, v0, vcc_lo
	v_bfe_u32 v1, v0, 16, 1
	v_cmp_o_f32_e32 vcc_lo, v0, v0
	v_add3_u32 v1, v0, v1, 0x7fff
	v_lshrrev_b32_e32 v1, 16, v1
	v_cndmask_b32_e32 v3, 0x7fc0, v1, vcc_lo
	v_add_co_u32 v0, vcc_lo, s8, v2
	v_add_co_ci_u32_e64 v1, null, s9, v4, vcc_lo
	s_cbranch_scc1 .LBB34_1774
; %bb.1696:
	s_and_b32 s3, 0xffff, s1
	s_mov_b32 s10, -1
	s_mov_b32 s4, 0
	s_cmp_gt_i32 s3, 25
	s_mov_b32 s0, 0
	s_cbranch_scc0 .LBB34_1729
; %bb.1697:
	s_cmp_gt_i32 s3, 28
	s_cbranch_scc0 .LBB34_1712
; %bb.1698:
	s_cmp_gt_i32 s3, 43
	s_cbranch_scc0 .LBB34_1708
; %bb.1699:
	s_cmp_gt_i32 s3, 45
	s_cbranch_scc0 .LBB34_1702
; %bb.1700:
	s_mov_b32 s0, -1
	s_mov_b32 s10, 0
	s_cmp_eq_u32 s3, 46
	s_cbranch_scc0 .LBB34_1702
; %bb.1701:
	v_and_b32_e32 v4, 0xffff, v3
	s_mov_b32 s0, 0
	s_mov_b32 s6, -1
	global_store_dword v[0:1], v4, off
.LBB34_1702:
	s_and_b32 vcc_lo, exec_lo, s10
	s_cbranch_vccz .LBB34_1707
; %bb.1703:
	s_cmp_eq_u32 s3, 44
	s_mov_b32 s0, -1
	s_cbranch_scc0 .LBB34_1707
; %bb.1704:
	v_and_b32_e32 v4, 0xffff, v3
	v_mov_b32_e32 v5, 0xff
	s_mov_b32 s6, exec_lo
	v_bfe_u32 v6, v4, 7, 8
	v_cmpx_ne_u32_e32 0xff, v6
	s_cbranch_execz .LBB34_1706
; %bb.1705:
	v_lshlrev_b32_e32 v5, 16, v4
	v_and_b32_e32 v7, 64, v4
	v_lshrrev_b32_e32 v4, 7, v4
	v_and_or_b32 v5, 0x3f0000, v5, v6
	v_cmp_ne_u32_e32 vcc_lo, 0, v7
	v_cmp_ne_u32_e64 s0, 0, v5
	s_and_b32 s0, vcc_lo, s0
	v_cndmask_b32_e64 v5, 0, 1, s0
	v_add_nc_u32_e32 v5, v4, v5
.LBB34_1706:
	s_or_b32 exec_lo, exec_lo, s6
	s_mov_b32 s0, 0
	s_mov_b32 s6, -1
	global_store_byte v[0:1], v5, off
.LBB34_1707:
	s_mov_b32 s10, 0
.LBB34_1708:
	s_and_b32 vcc_lo, exec_lo, s10
	s_cbranch_vccz .LBB34_1711
; %bb.1709:
	s_cmp_eq_u32 s3, 29
	s_mov_b32 s0, -1
	s_cbranch_scc0 .LBB34_1711
; %bb.1710:
	v_lshlrev_b32_e32 v4, 16, v3
	s_mov_b32 s0, 0
	s_mov_b32 s6, -1
	v_trunc_f32_e32 v4, v4
	v_mul_f32_e32 v5, 0x2f800000, v4
	v_floor_f32_e32 v5, v5
	v_fmamk_f32 v4, v5, 0xcf800000, v4
	v_cvt_u32_f32_e32 v5, v5
	v_cvt_u32_f32_e32 v4, v4
	global_store_dwordx2 v[0:1], v[4:5], off
.LBB34_1711:
	s_mov_b32 s10, 0
.LBB34_1712:
	s_and_b32 vcc_lo, exec_lo, s10
	s_cbranch_vccz .LBB34_1728
; %bb.1713:
	s_cmp_lt_i32 s3, 27
	s_mov_b32 s6, -1
	s_cbranch_scc1 .LBB34_1719
; %bb.1714:
	s_cmp_gt_i32 s3, 27
	s_cbranch_scc0 .LBB34_1716
; %bb.1715:
	v_lshlrev_b32_e32 v4, 16, v3
	s_mov_b32 s6, 0
	v_cvt_u32_f32_e32 v4, v4
	global_store_dword v[0:1], v4, off
.LBB34_1716:
	s_andn2_b32 vcc_lo, exec_lo, s6
	s_cbranch_vccnz .LBB34_1718
; %bb.1717:
	v_lshlrev_b32_e32 v4, 16, v3
	v_cvt_u32_f32_e32 v4, v4
	global_store_short v[0:1], v4, off
.LBB34_1718:
	s_mov_b32 s6, 0
.LBB34_1719:
	s_andn2_b32 vcc_lo, exec_lo, s6
	s_cbranch_vccnz .LBB34_1727
; %bb.1720:
	v_lshlrev_b32_e32 v6, 16, v3
	v_mov_b32_e32 v7, 0x80
	s_mov_b32 s6, exec_lo
	v_and_b32_e32 v5, 0x7fffffff, v6
	v_cmpx_gt_u32_e32 0x43800000, v5
	s_cbranch_execz .LBB34_1726
; %bb.1721:
	v_and_b32_e32 v4, 0xffff, v3
	v_cmp_lt_u32_e32 vcc_lo, 0x3bffffff, v5
	s_mov_b32 s10, 0
                                        ; implicit-def: $vgpr5
	s_and_saveexec_b32 s11, vcc_lo
	s_xor_b32 s11, exec_lo, s11
	s_cbranch_execz .LBB34_2058
; %bb.1722:
	v_bfe_u32 v5, v4, 4, 1
	s_mov_b32 s10, exec_lo
	v_add3_u32 v5, v6, v5, 0x487ffff
                                        ; implicit-def: $vgpr6
	v_lshrrev_b32_e32 v5, 20, v5
	s_andn2_saveexec_b32 s11, s11
	s_cbranch_execnz .LBB34_2059
.LBB34_1723:
	s_or_b32 exec_lo, exec_lo, s11
	v_mov_b32_e32 v7, 0
	s_and_saveexec_b32 s11, s10
.LBB34_1724:
	v_lshrrev_b32_e32 v4, 8, v4
	v_and_or_b32 v7, 0x80, v4, v5
.LBB34_1725:
	s_or_b32 exec_lo, exec_lo, s11
.LBB34_1726:
	s_or_b32 exec_lo, exec_lo, s6
	global_store_byte v[0:1], v7, off
.LBB34_1727:
	s_mov_b32 s6, -1
.LBB34_1728:
	s_mov_b32 s10, 0
.LBB34_1729:
	s_and_b32 vcc_lo, exec_lo, s10
	s_cbranch_vccz .LBB34_1769
; %bb.1730:
	s_cmp_gt_i32 s3, 22
	s_mov_b32 s4, -1
	s_cbranch_scc0 .LBB34_1762
; %bb.1731:
	s_cmp_lt_i32 s3, 24
	s_cbranch_scc1 .LBB34_1751
; %bb.1732:
	s_cmp_gt_i32 s3, 24
	s_cbranch_scc0 .LBB34_1740
; %bb.1733:
	v_lshlrev_b32_e32 v6, 16, v3
	v_mov_b32_e32 v7, 0x80
	s_mov_b32 s4, exec_lo
	v_and_b32_e32 v5, 0x7fffffff, v6
	v_cmpx_gt_u32_e32 0x47800000, v5
	s_cbranch_execz .LBB34_1739
; %bb.1734:
	v_and_b32_e32 v4, 0xffff, v3
	v_cmp_lt_u32_e32 vcc_lo, 0x37ffffff, v5
	s_mov_b32 s6, 0
                                        ; implicit-def: $vgpr5
	s_and_saveexec_b32 s10, vcc_lo
	s_xor_b32 s10, exec_lo, s10
	s_cbranch_execz .LBB34_2061
; %bb.1735:
	v_bfe_u32 v5, v4, 5, 1
	s_mov_b32 s6, exec_lo
	v_add3_u32 v5, v6, v5, 0x88fffff
                                        ; implicit-def: $vgpr6
	v_lshrrev_b32_e32 v5, 21, v5
	s_andn2_saveexec_b32 s10, s10
	s_cbranch_execnz .LBB34_2062
.LBB34_1736:
	s_or_b32 exec_lo, exec_lo, s10
	v_mov_b32_e32 v7, 0
	s_and_saveexec_b32 s10, s6
.LBB34_1737:
	v_lshrrev_b32_e32 v4, 8, v4
	v_and_or_b32 v7, 0x80, v4, v5
.LBB34_1738:
	s_or_b32 exec_lo, exec_lo, s10
.LBB34_1739:
	s_or_b32 exec_lo, exec_lo, s4
	s_mov_b32 s4, 0
	global_store_byte v[0:1], v7, off
.LBB34_1740:
	s_and_b32 vcc_lo, exec_lo, s4
	s_cbranch_vccz .LBB34_1750
; %bb.1741:
	v_lshlrev_b32_e32 v6, 16, v3
	v_and_b32_e32 v4, 0xffff, v3
	s_mov_b32 s4, exec_lo
                                        ; implicit-def: $vgpr5
	v_and_b32_e32 v7, 0x7fffffff, v6
	v_cmpx_gt_u32_e32 0x43f00000, v7
	s_xor_b32 s4, exec_lo, s4
	s_cbranch_execz .LBB34_1747
; %bb.1742:
	s_mov_b32 s6, exec_lo
                                        ; implicit-def: $vgpr5
	v_cmpx_lt_u32_e32 0x3c7fffff, v7
	s_xor_b32 s6, exec_lo, s6
; %bb.1743:
	v_bfe_u32 v5, v4, 4, 1
	v_add3_u32 v5, v6, v5, 0x407ffff
	v_and_b32_e32 v6, 0xff00000, v5
	v_lshrrev_b32_e32 v5, 20, v5
	v_cmp_ne_u32_e32 vcc_lo, 0x7f00000, v6
                                        ; implicit-def: $vgpr6
	v_cndmask_b32_e32 v5, 0x7e, v5, vcc_lo
; %bb.1744:
	s_andn2_saveexec_b32 s6, s6
; %bb.1745:
	v_add_f32_e64 v5, 0x46800000, |v6|
; %bb.1746:
	s_or_b32 exec_lo, exec_lo, s6
                                        ; implicit-def: $vgpr7
.LBB34_1747:
	s_andn2_saveexec_b32 s4, s4
; %bb.1748:
	v_mov_b32_e32 v5, 0x7f
	v_cmp_lt_u32_e32 vcc_lo, 0x7f800000, v7
	v_cndmask_b32_e32 v5, 0x7e, v5, vcc_lo
; %bb.1749:
	s_or_b32 exec_lo, exec_lo, s4
	v_lshrrev_b32_e32 v4, 8, v4
	v_and_or_b32 v4, 0x80, v4, v5
	global_store_byte v[0:1], v4, off
.LBB34_1750:
	s_mov_b32 s4, 0
.LBB34_1751:
	s_andn2_b32 vcc_lo, exec_lo, s4
	s_cbranch_vccnz .LBB34_1761
; %bb.1752:
	v_lshlrev_b32_e32 v6, 16, v3
	v_and_b32_e32 v4, 0xffff, v3
	s_mov_b32 s4, exec_lo
                                        ; implicit-def: $vgpr5
	v_and_b32_e32 v7, 0x7fffffff, v6
	v_cmpx_gt_u32_e32 0x47800000, v7
	s_xor_b32 s4, exec_lo, s4
	s_cbranch_execz .LBB34_1758
; %bb.1753:
	s_mov_b32 s6, exec_lo
                                        ; implicit-def: $vgpr5
	v_cmpx_lt_u32_e32 0x387fffff, v7
	s_xor_b32 s6, exec_lo, s6
; %bb.1754:
	v_bfe_u32 v5, v4, 5, 1
	v_add3_u32 v5, v6, v5, 0x80fffff
                                        ; implicit-def: $vgpr6
	v_lshrrev_b32_e32 v5, 21, v5
; %bb.1755:
	s_andn2_saveexec_b32 s6, s6
; %bb.1756:
	v_add_f32_e64 v5, 0x43000000, |v6|
; %bb.1757:
	s_or_b32 exec_lo, exec_lo, s6
                                        ; implicit-def: $vgpr7
.LBB34_1758:
	s_andn2_saveexec_b32 s4, s4
; %bb.1759:
	v_mov_b32_e32 v5, 0x7f
	v_cmp_lt_u32_e32 vcc_lo, 0x7f800000, v7
	v_cndmask_b32_e32 v5, 0x7c, v5, vcc_lo
; %bb.1760:
	s_or_b32 exec_lo, exec_lo, s4
	v_lshrrev_b32_e32 v4, 8, v4
	v_and_or_b32 v4, 0x80, v4, v5
	global_store_byte v[0:1], v4, off
.LBB34_1761:
	s_mov_b32 s4, 0
	s_mov_b32 s6, -1
.LBB34_1762:
	s_andn2_b32 vcc_lo, exec_lo, s4
	s_mov_b32 s4, 0
	s_cbranch_vccnz .LBB34_1769
; %bb.1763:
	s_cmp_gt_i32 s3, 14
	s_mov_b32 s4, -1
	s_cbranch_scc0 .LBB34_1767
; %bb.1764:
	s_cmp_eq_u32 s3, 15
	s_mov_b32 s0, -1
	s_cbranch_scc0 .LBB34_1766
; %bb.1765:
	s_mov_b32 s0, 0
	s_mov_b32 s6, -1
	global_store_short v[0:1], v3, off
.LBB34_1766:
	s_mov_b32 s4, 0
.LBB34_1767:
	s_and_b32 vcc_lo, exec_lo, s4
	s_mov_b32 s4, 0
	s_cbranch_vccz .LBB34_1769
; %bb.1768:
	s_cmp_lg_u32 s3, 11
	s_mov_b32 s4, -1
	s_cselect_b32 s0, -1, 0
.LBB34_1769:
	s_and_b32 vcc_lo, exec_lo, s0
	s_cbranch_vccnz .LBB34_2060
; %bb.1770:
	s_andn2_b32 vcc_lo, exec_lo, s4
	s_cbranch_vccnz .LBB34_1772
.LBB34_1771:
	v_and_b32_e32 v4, 0x7fff, v3
	s_mov_b32 s6, -1
	v_cmp_ne_u16_e32 vcc_lo, 0, v4
	v_cndmask_b32_e64 v4, 0, 1, vcc_lo
	global_store_byte v[0:1], v4, off
.LBB34_1772:
.LBB34_1773:
	s_andn2_b32 vcc_lo, exec_lo, s6
	s_cbranch_vccz .LBB34_1813
	s_branch .LBB34_2007
.LBB34_1774:
	s_and_b32 vcc_lo, exec_lo, s0
	s_cbranch_vccz .LBB34_1773
; %bb.1775:
	s_and_b32 s0, 0xffff, s1
	s_mov_b32 s3, -1
	s_cmp_lt_i32 s0, 5
	s_cbranch_scc1 .LBB34_1796
; %bb.1776:
	s_cmp_lt_i32 s0, 8
	s_cbranch_scc1 .LBB34_1786
; %bb.1777:
	;; [unrolled: 3-line block ×3, first 2 shown]
	s_cmp_gt_i32 s0, 9
	s_cbranch_scc0 .LBB34_1780
; %bb.1779:
	v_lshlrev_b32_e32 v4, 16, v3
	v_mov_b32_e32 v6, 0
	s_mov_b32 s3, 0
	v_cvt_f64_f32_e32 v[4:5], v4
	v_mov_b32_e32 v7, v6
	global_store_dwordx4 v[0:1], v[4:7], off
.LBB34_1780:
	s_andn2_b32 vcc_lo, exec_lo, s3
	s_cbranch_vccnz .LBB34_1782
; %bb.1781:
	v_lshlrev_b32_e32 v4, 16, v3
	v_mov_b32_e32 v5, 0
	global_store_dwordx2 v[0:1], v[4:5], off
.LBB34_1782:
	s_mov_b32 s3, 0
.LBB34_1783:
	s_andn2_b32 vcc_lo, exec_lo, s3
	s_cbranch_vccnz .LBB34_1785
; %bb.1784:
	v_lshlrev_b32_e32 v4, 16, v3
	v_cvt_f16_f32_e32 v4, v4
	v_and_b32_e32 v4, 0xffff, v4
	global_store_dword v[0:1], v4, off
.LBB34_1785:
	s_mov_b32 s3, 0
.LBB34_1786:
	s_andn2_b32 vcc_lo, exec_lo, s3
	s_cbranch_vccnz .LBB34_1795
; %bb.1787:
	s_cmp_lt_i32 s0, 6
	s_mov_b32 s3, -1
	s_cbranch_scc1 .LBB34_1793
; %bb.1788:
	s_cmp_gt_i32 s0, 6
	s_cbranch_scc0 .LBB34_1790
; %bb.1789:
	v_lshlrev_b32_e32 v4, 16, v3
	s_mov_b32 s3, 0
	v_cvt_f64_f32_e32 v[4:5], v4
	global_store_dwordx2 v[0:1], v[4:5], off
.LBB34_1790:
	s_andn2_b32 vcc_lo, exec_lo, s3
	s_cbranch_vccnz .LBB34_1792
; %bb.1791:
	v_lshlrev_b32_e32 v4, 16, v3
	global_store_dword v[0:1], v4, off
.LBB34_1792:
	s_mov_b32 s3, 0
.LBB34_1793:
	s_andn2_b32 vcc_lo, exec_lo, s3
	s_cbranch_vccnz .LBB34_1795
; %bb.1794:
	v_lshlrev_b32_e32 v4, 16, v3
	v_cvt_f16_f32_e32 v4, v4
	global_store_short v[0:1], v4, off
.LBB34_1795:
	s_mov_b32 s3, 0
.LBB34_1796:
	s_andn2_b32 vcc_lo, exec_lo, s3
	s_cbranch_vccnz .LBB34_1812
; %bb.1797:
	s_cmp_lt_i32 s0, 2
	s_mov_b32 s3, -1
	s_cbranch_scc1 .LBB34_1807
; %bb.1798:
	s_cmp_lt_i32 s0, 3
	s_cbranch_scc1 .LBB34_1804
; %bb.1799:
	s_cmp_gt_i32 s0, 3
	s_cbranch_scc0 .LBB34_1801
; %bb.1800:
	v_lshlrev_b32_e32 v4, 16, v3
	s_mov_b32 s3, 0
	v_trunc_f32_e32 v4, v4
	v_mul_f32_e64 v5, 0x2f800000, |v4|
	v_ashrrev_i32_e32 v7, 31, v4
	v_floor_f32_e32 v5, v5
	v_fma_f32 v6, 0xcf800000, v5, |v4|
	v_cvt_u32_f32_e32 v5, v5
	v_cvt_u32_f32_e32 v4, v6
	v_xor_b32_e32 v5, v5, v7
	v_xor_b32_e32 v4, v4, v7
	v_sub_co_u32 v4, vcc_lo, v4, v7
	v_sub_co_ci_u32_e64 v5, null, v5, v7, vcc_lo
	global_store_dwordx2 v[0:1], v[4:5], off
.LBB34_1801:
	s_andn2_b32 vcc_lo, exec_lo, s3
	s_cbranch_vccnz .LBB34_1803
; %bb.1802:
	v_lshlrev_b32_e32 v4, 16, v3
	v_cvt_i32_f32_e32 v4, v4
	global_store_dword v[0:1], v4, off
.LBB34_1803:
	s_mov_b32 s3, 0
.LBB34_1804:
	s_andn2_b32 vcc_lo, exec_lo, s3
	s_cbranch_vccnz .LBB34_1806
; %bb.1805:
	v_lshlrev_b32_e32 v4, 16, v3
	v_cvt_i32_f32_e32 v4, v4
	global_store_short v[0:1], v4, off
.LBB34_1806:
	s_mov_b32 s3, 0
.LBB34_1807:
	s_andn2_b32 vcc_lo, exec_lo, s3
	s_cbranch_vccnz .LBB34_1812
; %bb.1808:
	v_lshlrev_b32_e32 v3, 16, v3
	s_cmp_gt_i32 s0, 0
	s_mov_b32 s0, -1
	s_cbranch_scc0 .LBB34_1810
; %bb.1809:
	v_cvt_i32_f32_e32 v4, v3
	s_mov_b32 s0, 0
	global_store_byte v[0:1], v4, off
.LBB34_1810:
	s_andn2_b32 vcc_lo, exec_lo, s0
	s_cbranch_vccnz .LBB34_1812
; %bb.1811:
	v_trunc_f32_e32 v3, v3
	v_mul_f32_e64 v4, 0x2f800000, |v3|
	v_floor_f32_e32 v4, v4
	v_fma_f32 v4, 0xcf800000, v4, |v3|
	v_ashrrev_i32_e32 v3, 31, v3
	v_cvt_u32_f32_e32 v4, v4
	v_xor_b32_e32 v4, v4, v3
	v_sub_nc_u32_e32 v3, v4, v3
	global_store_byte v[0:1], v3, off
.LBB34_1812:
.LBB34_1813:
	v_mul_f32_e32 v0, v13, v13
	s_mov_b32 s0, 0xb94c1982
	s_mov_b32 s3, 0x37d75334
	v_lshlrev_b32_e32 v4, 30, v14
	v_and_b32_e32 v5, 1, v14
	v_fmaak_f32 v1, s0, v0, 0x3c0881c4
	v_fmaak_f32 v3, s3, v0, 0xbab64f3b
	v_add_nc_u32_e32 v2, s2, v2
	v_and_b32_e32 v4, 0x80000000, v4
	v_cmp_eq_u32_e32 vcc_lo, 0, v5
	v_fmaak_f32 v1, v0, v1, 0xbe2aaa9d
	v_fmaak_f32 v3, v0, v3, 0x3d2aabf7
	s_mov_b32 s6, 0
	s_cmp_lt_i32 s1, 11
	s_mov_b32 s0, -1
	v_mul_f32_e32 v1, v0, v1
	v_fmaak_f32 v3, v0, v3, 0xbf000004
	v_fmac_f32_e32 v13, v13, v1
	v_fma_f32 v0, v0, v3, 1.0
	v_xor_b32_e32 v1, v12, v4
	v_ashrrev_i32_e32 v4, 31, v2
	v_cndmask_b32_e32 v0, v0, v13, vcc_lo
	v_cmp_class_f32_e64 vcc_lo, v11, 0x1f8
	v_xor3_b32 v0, v1, v0, v11
	v_cndmask_b32_e32 v0, 0x7fc00000, v0, vcc_lo
	v_bfe_u32 v1, v0, 16, 1
	v_cmp_o_f32_e32 vcc_lo, v0, v0
	v_add3_u32 v1, v0, v1, 0x7fff
	v_lshrrev_b32_e32 v1, 16, v1
	v_cndmask_b32_e32 v3, 0x7fc0, v1, vcc_lo
	v_add_co_u32 v0, vcc_lo, s8, v2
	v_add_co_ci_u32_e64 v1, null, s9, v4, vcc_lo
	s_cbranch_scc1 .LBB34_1968
; %bb.1814:
	s_and_b32 s3, 0xffff, s1
	s_mov_b32 s10, -1
	s_mov_b32 s4, 0
	s_cmp_gt_i32 s3, 25
	s_mov_b32 s0, 0
	s_cbranch_scc0 .LBB34_1847
; %bb.1815:
	s_cmp_gt_i32 s3, 28
	s_cbranch_scc0 .LBB34_1830
; %bb.1816:
	s_cmp_gt_i32 s3, 43
	;; [unrolled: 3-line block ×3, first 2 shown]
	s_cbranch_scc0 .LBB34_1820
; %bb.1818:
	s_mov_b32 s0, -1
	s_mov_b32 s10, 0
	s_cmp_eq_u32 s3, 46
	s_cbranch_scc0 .LBB34_1820
; %bb.1819:
	v_and_b32_e32 v4, 0xffff, v3
	s_mov_b32 s0, 0
	s_mov_b32 s6, -1
	global_store_dword v[0:1], v4, off
.LBB34_1820:
	s_and_b32 vcc_lo, exec_lo, s10
	s_cbranch_vccz .LBB34_1825
; %bb.1821:
	s_cmp_eq_u32 s3, 44
	s_mov_b32 s0, -1
	s_cbranch_scc0 .LBB34_1825
; %bb.1822:
	v_and_b32_e32 v4, 0xffff, v3
	v_mov_b32_e32 v5, 0xff
	s_mov_b32 s6, exec_lo
	v_bfe_u32 v6, v4, 7, 8
	v_cmpx_ne_u32_e32 0xff, v6
	s_cbranch_execz .LBB34_1824
; %bb.1823:
	v_lshlrev_b32_e32 v5, 16, v4
	v_and_b32_e32 v7, 64, v4
	v_lshrrev_b32_e32 v4, 7, v4
	v_and_or_b32 v5, 0x3f0000, v5, v6
	v_cmp_ne_u32_e32 vcc_lo, 0, v7
	v_cmp_ne_u32_e64 s0, 0, v5
	s_and_b32 s0, vcc_lo, s0
	v_cndmask_b32_e64 v5, 0, 1, s0
	v_add_nc_u32_e32 v5, v4, v5
.LBB34_1824:
	s_or_b32 exec_lo, exec_lo, s6
	s_mov_b32 s0, 0
	s_mov_b32 s6, -1
	global_store_byte v[0:1], v5, off
.LBB34_1825:
	s_mov_b32 s10, 0
.LBB34_1826:
	s_and_b32 vcc_lo, exec_lo, s10
	s_cbranch_vccz .LBB34_1829
; %bb.1827:
	s_cmp_eq_u32 s3, 29
	s_mov_b32 s0, -1
	s_cbranch_scc0 .LBB34_1829
; %bb.1828:
	v_lshlrev_b32_e32 v4, 16, v3
	s_mov_b32 s0, 0
	s_mov_b32 s6, -1
	v_trunc_f32_e32 v4, v4
	v_mul_f32_e32 v5, 0x2f800000, v4
	v_floor_f32_e32 v5, v5
	v_fmamk_f32 v4, v5, 0xcf800000, v4
	v_cvt_u32_f32_e32 v5, v5
	v_cvt_u32_f32_e32 v4, v4
	global_store_dwordx2 v[0:1], v[4:5], off
.LBB34_1829:
	s_mov_b32 s10, 0
.LBB34_1830:
	s_and_b32 vcc_lo, exec_lo, s10
	s_cbranch_vccz .LBB34_1846
; %bb.1831:
	s_cmp_lt_i32 s3, 27
	s_mov_b32 s6, -1
	s_cbranch_scc1 .LBB34_1837
; %bb.1832:
	s_cmp_gt_i32 s3, 27
	s_cbranch_scc0 .LBB34_1834
; %bb.1833:
	v_lshlrev_b32_e32 v4, 16, v3
	s_mov_b32 s6, 0
	v_cvt_u32_f32_e32 v4, v4
	global_store_dword v[0:1], v4, off
.LBB34_1834:
	s_andn2_b32 vcc_lo, exec_lo, s6
	s_cbranch_vccnz .LBB34_1836
; %bb.1835:
	v_lshlrev_b32_e32 v4, 16, v3
	v_cvt_u32_f32_e32 v4, v4
	global_store_short v[0:1], v4, off
.LBB34_1836:
	s_mov_b32 s6, 0
.LBB34_1837:
	s_andn2_b32 vcc_lo, exec_lo, s6
	s_cbranch_vccnz .LBB34_1845
; %bb.1838:
	v_lshlrev_b32_e32 v6, 16, v3
	v_mov_b32_e32 v7, 0x80
	s_mov_b32 s6, exec_lo
	v_and_b32_e32 v5, 0x7fffffff, v6
	v_cmpx_gt_u32_e32 0x43800000, v5
	s_cbranch_execz .LBB34_1844
; %bb.1839:
	v_and_b32_e32 v4, 0xffff, v3
	v_cmp_lt_u32_e32 vcc_lo, 0x3bffffff, v5
	s_mov_b32 s10, 0
                                        ; implicit-def: $vgpr5
	s_and_saveexec_b32 s11, vcc_lo
	s_xor_b32 s11, exec_lo, s11
	s_cbranch_execz .LBB34_2063
; %bb.1840:
	v_bfe_u32 v5, v4, 4, 1
	s_mov_b32 s10, exec_lo
	v_add3_u32 v5, v6, v5, 0x487ffff
                                        ; implicit-def: $vgpr6
	v_lshrrev_b32_e32 v5, 20, v5
	s_andn2_saveexec_b32 s11, s11
	s_cbranch_execnz .LBB34_2064
.LBB34_1841:
	s_or_b32 exec_lo, exec_lo, s11
	v_mov_b32_e32 v7, 0
	s_and_saveexec_b32 s11, s10
.LBB34_1842:
	v_lshrrev_b32_e32 v4, 8, v4
	v_and_or_b32 v7, 0x80, v4, v5
.LBB34_1843:
	s_or_b32 exec_lo, exec_lo, s11
.LBB34_1844:
	s_or_b32 exec_lo, exec_lo, s6
	global_store_byte v[0:1], v7, off
.LBB34_1845:
	s_mov_b32 s6, -1
.LBB34_1846:
	s_mov_b32 s10, 0
.LBB34_1847:
	s_and_b32 vcc_lo, exec_lo, s10
	s_cbranch_vccz .LBB34_1887
; %bb.1848:
	s_cmp_gt_i32 s3, 22
	s_mov_b32 s4, -1
	s_cbranch_scc0 .LBB34_1880
; %bb.1849:
	s_cmp_lt_i32 s3, 24
	s_cbranch_scc1 .LBB34_1869
; %bb.1850:
	s_cmp_gt_i32 s3, 24
	s_cbranch_scc0 .LBB34_1858
; %bb.1851:
	v_lshlrev_b32_e32 v6, 16, v3
	v_mov_b32_e32 v7, 0x80
	s_mov_b32 s4, exec_lo
	v_and_b32_e32 v5, 0x7fffffff, v6
	v_cmpx_gt_u32_e32 0x47800000, v5
	s_cbranch_execz .LBB34_1857
; %bb.1852:
	v_and_b32_e32 v4, 0xffff, v3
	v_cmp_lt_u32_e32 vcc_lo, 0x37ffffff, v5
	s_mov_b32 s6, 0
                                        ; implicit-def: $vgpr5
	s_and_saveexec_b32 s10, vcc_lo
	s_xor_b32 s10, exec_lo, s10
	s_cbranch_execz .LBB34_2066
; %bb.1853:
	v_bfe_u32 v5, v4, 5, 1
	s_mov_b32 s6, exec_lo
	v_add3_u32 v5, v6, v5, 0x88fffff
                                        ; implicit-def: $vgpr6
	v_lshrrev_b32_e32 v5, 21, v5
	s_andn2_saveexec_b32 s10, s10
	s_cbranch_execnz .LBB34_2067
.LBB34_1854:
	s_or_b32 exec_lo, exec_lo, s10
	v_mov_b32_e32 v7, 0
	s_and_saveexec_b32 s10, s6
.LBB34_1855:
	v_lshrrev_b32_e32 v4, 8, v4
	v_and_or_b32 v7, 0x80, v4, v5
.LBB34_1856:
	s_or_b32 exec_lo, exec_lo, s10
.LBB34_1857:
	s_or_b32 exec_lo, exec_lo, s4
	s_mov_b32 s4, 0
	global_store_byte v[0:1], v7, off
.LBB34_1858:
	s_and_b32 vcc_lo, exec_lo, s4
	s_cbranch_vccz .LBB34_1868
; %bb.1859:
	v_lshlrev_b32_e32 v6, 16, v3
	v_and_b32_e32 v4, 0xffff, v3
	s_mov_b32 s4, exec_lo
                                        ; implicit-def: $vgpr5
	v_and_b32_e32 v7, 0x7fffffff, v6
	v_cmpx_gt_u32_e32 0x43f00000, v7
	s_xor_b32 s4, exec_lo, s4
	s_cbranch_execz .LBB34_1865
; %bb.1860:
	s_mov_b32 s6, exec_lo
                                        ; implicit-def: $vgpr5
	v_cmpx_lt_u32_e32 0x3c7fffff, v7
	s_xor_b32 s6, exec_lo, s6
; %bb.1861:
	v_bfe_u32 v5, v4, 4, 1
	v_add3_u32 v5, v6, v5, 0x407ffff
	v_and_b32_e32 v6, 0xff00000, v5
	v_lshrrev_b32_e32 v5, 20, v5
	v_cmp_ne_u32_e32 vcc_lo, 0x7f00000, v6
                                        ; implicit-def: $vgpr6
	v_cndmask_b32_e32 v5, 0x7e, v5, vcc_lo
; %bb.1862:
	s_andn2_saveexec_b32 s6, s6
; %bb.1863:
	v_add_f32_e64 v5, 0x46800000, |v6|
; %bb.1864:
	s_or_b32 exec_lo, exec_lo, s6
                                        ; implicit-def: $vgpr7
.LBB34_1865:
	s_andn2_saveexec_b32 s4, s4
; %bb.1866:
	v_mov_b32_e32 v5, 0x7f
	v_cmp_lt_u32_e32 vcc_lo, 0x7f800000, v7
	v_cndmask_b32_e32 v5, 0x7e, v5, vcc_lo
; %bb.1867:
	s_or_b32 exec_lo, exec_lo, s4
	v_lshrrev_b32_e32 v4, 8, v4
	v_and_or_b32 v4, 0x80, v4, v5
	global_store_byte v[0:1], v4, off
.LBB34_1868:
	s_mov_b32 s4, 0
.LBB34_1869:
	s_andn2_b32 vcc_lo, exec_lo, s4
	s_cbranch_vccnz .LBB34_1879
; %bb.1870:
	v_lshlrev_b32_e32 v6, 16, v3
	v_and_b32_e32 v4, 0xffff, v3
	s_mov_b32 s4, exec_lo
                                        ; implicit-def: $vgpr5
	v_and_b32_e32 v7, 0x7fffffff, v6
	v_cmpx_gt_u32_e32 0x47800000, v7
	s_xor_b32 s4, exec_lo, s4
	s_cbranch_execz .LBB34_1876
; %bb.1871:
	s_mov_b32 s6, exec_lo
                                        ; implicit-def: $vgpr5
	v_cmpx_lt_u32_e32 0x387fffff, v7
	s_xor_b32 s6, exec_lo, s6
; %bb.1872:
	v_bfe_u32 v5, v4, 5, 1
	v_add3_u32 v5, v6, v5, 0x80fffff
                                        ; implicit-def: $vgpr6
	v_lshrrev_b32_e32 v5, 21, v5
; %bb.1873:
	s_andn2_saveexec_b32 s6, s6
; %bb.1874:
	v_add_f32_e64 v5, 0x43000000, |v6|
; %bb.1875:
	s_or_b32 exec_lo, exec_lo, s6
                                        ; implicit-def: $vgpr7
.LBB34_1876:
	s_andn2_saveexec_b32 s4, s4
; %bb.1877:
	v_mov_b32_e32 v5, 0x7f
	v_cmp_lt_u32_e32 vcc_lo, 0x7f800000, v7
	v_cndmask_b32_e32 v5, 0x7c, v5, vcc_lo
; %bb.1878:
	s_or_b32 exec_lo, exec_lo, s4
	v_lshrrev_b32_e32 v4, 8, v4
	v_and_or_b32 v4, 0x80, v4, v5
	global_store_byte v[0:1], v4, off
.LBB34_1879:
	s_mov_b32 s4, 0
	s_mov_b32 s6, -1
.LBB34_1880:
	s_andn2_b32 vcc_lo, exec_lo, s4
	s_mov_b32 s4, 0
	s_cbranch_vccnz .LBB34_1887
; %bb.1881:
	s_cmp_gt_i32 s3, 14
	s_mov_b32 s4, -1
	s_cbranch_scc0 .LBB34_1885
; %bb.1882:
	s_cmp_eq_u32 s3, 15
	s_mov_b32 s0, -1
	s_cbranch_scc0 .LBB34_1884
; %bb.1883:
	s_mov_b32 s0, 0
	s_mov_b32 s6, -1
	global_store_short v[0:1], v3, off
.LBB34_1884:
	s_mov_b32 s4, 0
.LBB34_1885:
	s_and_b32 vcc_lo, exec_lo, s4
	s_mov_b32 s4, 0
	s_cbranch_vccz .LBB34_1887
; %bb.1886:
	s_cmp_lg_u32 s3, 11
	s_mov_b32 s4, -1
	s_cselect_b32 s0, -1, 0
.LBB34_1887:
	s_and_b32 vcc_lo, exec_lo, s0
	s_cbranch_vccnz .LBB34_2065
; %bb.1888:
	s_andn2_b32 vcc_lo, exec_lo, s4
	s_cbranch_vccnz .LBB34_1890
.LBB34_1889:
	v_and_b32_e32 v4, 0x7fff, v3
	s_mov_b32 s6, -1
	v_cmp_ne_u16_e32 vcc_lo, 0, v4
	v_cndmask_b32_e64 v4, 0, 1, vcc_lo
	global_store_byte v[0:1], v4, off
.LBB34_1890:
.LBB34_1891:
	s_andn2_b32 vcc_lo, exec_lo, s6
	s_cbranch_vccnz .LBB34_2007
.LBB34_1892:
	v_mul_f32_e32 v0, v17, v17
	s_mov_b32 s0, 0xb94c1982
	s_mov_b32 s3, 0x37d75334
	v_lshlrev_b32_e32 v4, 30, v18
	v_and_b32_e32 v5, 1, v18
	v_fmaak_f32 v1, s0, v0, 0x3c0881c4
	v_fmaak_f32 v3, s3, v0, 0xbab64f3b
	v_add_nc_u32_e32 v2, s2, v2
	v_and_b32_e32 v4, 0x80000000, v4
	v_cmp_eq_u32_e32 vcc_lo, 0, v5
	v_fmaak_f32 v1, v0, v1, 0xbe2aaa9d
	v_fmaak_f32 v3, v0, v3, 0x3d2aabf7
	s_mov_b32 s3, 0
	s_cmp_lt_i32 s1, 11
	s_mov_b32 s0, -1
	v_mul_f32_e32 v1, v0, v1
	v_fmaak_f32 v3, v0, v3, 0xbf000004
	v_fmac_f32_e32 v17, v17, v1
	v_fma_f32 v0, v0, v3, 1.0
	v_xor_b32_e32 v1, v16, v4
	v_ashrrev_i32_e32 v4, 31, v2
	v_cndmask_b32_e32 v0, v0, v17, vcc_lo
	v_cmp_class_f32_e64 vcc_lo, v15, 0x1f8
	v_xor3_b32 v0, v1, v0, v15
	v_cndmask_b32_e32 v0, 0x7fc00000, v0, vcc_lo
	v_bfe_u32 v1, v0, 16, 1
	v_cmp_o_f32_e32 vcc_lo, v0, v0
	v_add3_u32 v1, v0, v1, 0x7fff
	v_lshrrev_b32_e32 v1, 16, v1
	v_cndmask_b32_e32 v3, 0x7fc0, v1, vcc_lo
	v_add_co_u32 v0, vcc_lo, s8, v2
	v_add_co_ci_u32_e64 v1, null, s9, v4, vcc_lo
	s_cbranch_scc1 .LBB34_2008
; %bb.1893:
	s_and_b32 s2, 0xffff, s1
	s_mov_b32 s4, -1
	s_cmp_gt_i32 s2, 25
	s_mov_b32 s0, 0
	s_cbranch_scc0 .LBB34_1926
; %bb.1894:
	s_cmp_gt_i32 s2, 28
	s_cbranch_scc0 .LBB34_1910
; %bb.1895:
	s_cmp_gt_i32 s2, 43
	;; [unrolled: 3-line block ×3, first 2 shown]
	s_cbranch_scc0 .LBB34_1900
; %bb.1897:
	s_cmp_eq_u32 s2, 46
	s_mov_b32 s0, -1
	s_cbranch_scc0 .LBB34_1899
; %bb.1898:
	v_and_b32_e32 v2, 0xffff, v3
	s_mov_b32 s0, 0
	global_store_dword v[0:1], v2, off
.LBB34_1899:
	s_mov_b32 s4, 0
.LBB34_1900:
	s_and_b32 vcc_lo, exec_lo, s4
	s_cbranch_vccz .LBB34_1905
; %bb.1901:
	s_cmp_eq_u32 s2, 44
	s_mov_b32 s0, -1
	s_cbranch_scc0 .LBB34_1905
; %bb.1902:
	v_and_b32_e32 v2, 0xffff, v3
	v_mov_b32_e32 v4, 0xff
	s_mov_b32 s4, exec_lo
	v_bfe_u32 v5, v2, 7, 8
	v_cmpx_ne_u32_e32 0xff, v5
	s_cbranch_execz .LBB34_1904
; %bb.1903:
	v_lshlrev_b32_e32 v4, 16, v2
	v_and_b32_e32 v6, 64, v2
	v_lshrrev_b32_e32 v2, 7, v2
	v_and_or_b32 v4, 0x3f0000, v4, v5
	v_cmp_ne_u32_e32 vcc_lo, 0, v6
	v_cmp_ne_u32_e64 s0, 0, v4
	s_and_b32 s0, vcc_lo, s0
	v_cndmask_b32_e64 v4, 0, 1, s0
	v_add_nc_u32_e32 v4, v2, v4
.LBB34_1904:
	s_or_b32 exec_lo, exec_lo, s4
	s_mov_b32 s0, 0
	global_store_byte v[0:1], v4, off
.LBB34_1905:
	s_mov_b32 s4, 0
.LBB34_1906:
	s_and_b32 vcc_lo, exec_lo, s4
	s_cbranch_vccz .LBB34_1909
; %bb.1907:
	s_cmp_eq_u32 s2, 29
	s_mov_b32 s0, -1
	s_cbranch_scc0 .LBB34_1909
; %bb.1908:
	v_lshlrev_b32_e32 v2, 16, v3
	s_mov_b32 s0, 0
	v_trunc_f32_e32 v2, v2
	v_mul_f32_e32 v4, 0x2f800000, v2
	v_floor_f32_e32 v4, v4
	v_fmamk_f32 v2, v4, 0xcf800000, v2
	v_cvt_u32_f32_e32 v5, v4
	v_cvt_u32_f32_e32 v4, v2
	global_store_dwordx2 v[0:1], v[4:5], off
.LBB34_1909:
	s_mov_b32 s4, 0
.LBB34_1910:
	s_and_b32 vcc_lo, exec_lo, s4
	s_cbranch_vccz .LBB34_1925
; %bb.1911:
	s_cmp_lt_i32 s2, 27
	s_mov_b32 s4, -1
	s_cbranch_scc1 .LBB34_1917
; %bb.1912:
	s_cmp_gt_i32 s2, 27
	s_cbranch_scc0 .LBB34_1914
; %bb.1913:
	v_lshlrev_b32_e32 v2, 16, v3
	s_mov_b32 s4, 0
	v_cvt_u32_f32_e32 v2, v2
	global_store_dword v[0:1], v2, off
.LBB34_1914:
	s_andn2_b32 vcc_lo, exec_lo, s4
	s_cbranch_vccnz .LBB34_1916
; %bb.1915:
	v_lshlrev_b32_e32 v2, 16, v3
	v_cvt_u32_f32_e32 v2, v2
	global_store_short v[0:1], v2, off
.LBB34_1916:
	s_mov_b32 s4, 0
.LBB34_1917:
	s_andn2_b32 vcc_lo, exec_lo, s4
	s_cbranch_vccnz .LBB34_1925
; %bb.1918:
	v_lshlrev_b32_e32 v5, 16, v3
	v_mov_b32_e32 v6, 0x80
	s_mov_b32 s4, exec_lo
	v_and_b32_e32 v4, 0x7fffffff, v5
	v_cmpx_gt_u32_e32 0x43800000, v4
	s_cbranch_execz .LBB34_1924
; %bb.1919:
	v_and_b32_e32 v2, 0xffff, v3
	v_cmp_lt_u32_e32 vcc_lo, 0x3bffffff, v4
	s_mov_b32 s6, 0
                                        ; implicit-def: $vgpr4
	s_and_saveexec_b32 s8, vcc_lo
	s_xor_b32 s8, exec_lo, s8
	s_cbranch_execz .LBB34_2068
; %bb.1920:
	v_bfe_u32 v4, v2, 4, 1
	s_mov_b32 s6, exec_lo
	v_add3_u32 v4, v5, v4, 0x487ffff
                                        ; implicit-def: $vgpr5
	v_lshrrev_b32_e32 v4, 20, v4
	s_andn2_saveexec_b32 s8, s8
	s_cbranch_execnz .LBB34_2069
.LBB34_1921:
	s_or_b32 exec_lo, exec_lo, s8
	v_mov_b32_e32 v6, 0
	s_and_saveexec_b32 s8, s6
.LBB34_1922:
	v_lshrrev_b32_e32 v2, 8, v2
	v_and_or_b32 v6, 0x80, v2, v4
.LBB34_1923:
	s_or_b32 exec_lo, exec_lo, s8
.LBB34_1924:
	s_or_b32 exec_lo, exec_lo, s4
	global_store_byte v[0:1], v6, off
.LBB34_1925:
	s_mov_b32 s4, 0
.LBB34_1926:
	s_and_b32 vcc_lo, exec_lo, s4
	s_cbranch_vccz .LBB34_1966
; %bb.1927:
	s_cmp_gt_i32 s2, 22
	s_mov_b32 s3, -1
	s_cbranch_scc0 .LBB34_1959
; %bb.1928:
	s_cmp_lt_i32 s2, 24
	s_cbranch_scc1 .LBB34_1948
; %bb.1929:
	s_cmp_gt_i32 s2, 24
	s_cbranch_scc0 .LBB34_1937
; %bb.1930:
	v_lshlrev_b32_e32 v5, 16, v3
	v_mov_b32_e32 v6, 0x80
	s_mov_b32 s3, exec_lo
	v_and_b32_e32 v4, 0x7fffffff, v5
	v_cmpx_gt_u32_e32 0x47800000, v4
	s_cbranch_execz .LBB34_1936
; %bb.1931:
	v_and_b32_e32 v2, 0xffff, v3
	v_cmp_lt_u32_e32 vcc_lo, 0x37ffffff, v4
	s_mov_b32 s4, 0
                                        ; implicit-def: $vgpr4
	s_and_saveexec_b32 s6, vcc_lo
	s_xor_b32 s6, exec_lo, s6
	s_cbranch_execz .LBB34_2071
; %bb.1932:
	v_bfe_u32 v4, v2, 5, 1
	s_mov_b32 s4, exec_lo
	v_add3_u32 v4, v5, v4, 0x88fffff
                                        ; implicit-def: $vgpr5
	v_lshrrev_b32_e32 v4, 21, v4
	s_andn2_saveexec_b32 s6, s6
	s_cbranch_execnz .LBB34_2072
.LBB34_1933:
	s_or_b32 exec_lo, exec_lo, s6
	v_mov_b32_e32 v6, 0
	s_and_saveexec_b32 s6, s4
.LBB34_1934:
	v_lshrrev_b32_e32 v2, 8, v2
	v_and_or_b32 v6, 0x80, v2, v4
.LBB34_1935:
	s_or_b32 exec_lo, exec_lo, s6
.LBB34_1936:
	s_or_b32 exec_lo, exec_lo, s3
	s_mov_b32 s3, 0
	global_store_byte v[0:1], v6, off
.LBB34_1937:
	s_and_b32 vcc_lo, exec_lo, s3
	s_cbranch_vccz .LBB34_1947
; %bb.1938:
	v_lshlrev_b32_e32 v5, 16, v3
	v_and_b32_e32 v2, 0xffff, v3
	s_mov_b32 s3, exec_lo
                                        ; implicit-def: $vgpr4
	v_and_b32_e32 v6, 0x7fffffff, v5
	v_cmpx_gt_u32_e32 0x43f00000, v6
	s_xor_b32 s3, exec_lo, s3
	s_cbranch_execz .LBB34_1944
; %bb.1939:
	s_mov_b32 s4, exec_lo
                                        ; implicit-def: $vgpr4
	v_cmpx_lt_u32_e32 0x3c7fffff, v6
	s_xor_b32 s4, exec_lo, s4
; %bb.1940:
	v_bfe_u32 v4, v2, 4, 1
	v_add3_u32 v4, v5, v4, 0x407ffff
	v_and_b32_e32 v5, 0xff00000, v4
	v_lshrrev_b32_e32 v4, 20, v4
	v_cmp_ne_u32_e32 vcc_lo, 0x7f00000, v5
                                        ; implicit-def: $vgpr5
	v_cndmask_b32_e32 v4, 0x7e, v4, vcc_lo
; %bb.1941:
	s_andn2_saveexec_b32 s4, s4
; %bb.1942:
	v_add_f32_e64 v4, 0x46800000, |v5|
; %bb.1943:
	s_or_b32 exec_lo, exec_lo, s4
                                        ; implicit-def: $vgpr6
.LBB34_1944:
	s_andn2_saveexec_b32 s3, s3
; %bb.1945:
	v_mov_b32_e32 v4, 0x7f
	v_cmp_lt_u32_e32 vcc_lo, 0x7f800000, v6
	v_cndmask_b32_e32 v4, 0x7e, v4, vcc_lo
; %bb.1946:
	s_or_b32 exec_lo, exec_lo, s3
	v_lshrrev_b32_e32 v2, 8, v2
	v_and_or_b32 v2, 0x80, v2, v4
	global_store_byte v[0:1], v2, off
.LBB34_1947:
	s_mov_b32 s3, 0
.LBB34_1948:
	s_andn2_b32 vcc_lo, exec_lo, s3
	s_cbranch_vccnz .LBB34_1958
; %bb.1949:
	v_lshlrev_b32_e32 v5, 16, v3
	v_and_b32_e32 v2, 0xffff, v3
	s_mov_b32 s3, exec_lo
                                        ; implicit-def: $vgpr4
	v_and_b32_e32 v6, 0x7fffffff, v5
	v_cmpx_gt_u32_e32 0x47800000, v6
	s_xor_b32 s3, exec_lo, s3
	s_cbranch_execz .LBB34_1955
; %bb.1950:
	s_mov_b32 s4, exec_lo
                                        ; implicit-def: $vgpr4
	v_cmpx_lt_u32_e32 0x387fffff, v6
	s_xor_b32 s4, exec_lo, s4
; %bb.1951:
	v_bfe_u32 v4, v2, 5, 1
	v_add3_u32 v4, v5, v4, 0x80fffff
                                        ; implicit-def: $vgpr5
	v_lshrrev_b32_e32 v4, 21, v4
; %bb.1952:
	s_andn2_saveexec_b32 s4, s4
; %bb.1953:
	v_add_f32_e64 v4, 0x43000000, |v5|
; %bb.1954:
	s_or_b32 exec_lo, exec_lo, s4
                                        ; implicit-def: $vgpr6
.LBB34_1955:
	s_andn2_saveexec_b32 s3, s3
; %bb.1956:
	v_mov_b32_e32 v4, 0x7f
	v_cmp_lt_u32_e32 vcc_lo, 0x7f800000, v6
	v_cndmask_b32_e32 v4, 0x7c, v4, vcc_lo
; %bb.1957:
	s_or_b32 exec_lo, exec_lo, s3
	v_lshrrev_b32_e32 v2, 8, v2
	v_and_or_b32 v2, 0x80, v2, v4
	global_store_byte v[0:1], v2, off
.LBB34_1958:
	s_mov_b32 s3, 0
.LBB34_1959:
	s_andn2_b32 vcc_lo, exec_lo, s3
	s_mov_b32 s3, 0
	s_cbranch_vccnz .LBB34_1966
; %bb.1960:
	s_cmp_gt_i32 s2, 14
	s_mov_b32 s3, -1
	s_cbranch_scc0 .LBB34_1964
; %bb.1961:
	s_cmp_eq_u32 s2, 15
	s_mov_b32 s0, -1
	s_cbranch_scc0 .LBB34_1963
; %bb.1962:
	s_mov_b32 s0, 0
	global_store_short v[0:1], v3, off
.LBB34_1963:
	s_mov_b32 s3, 0
.LBB34_1964:
	s_and_b32 vcc_lo, exec_lo, s3
	s_mov_b32 s3, 0
	s_cbranch_vccz .LBB34_1966
; %bb.1965:
	s_cmp_lg_u32 s2, 11
	s_mov_b32 s3, -1
	s_cselect_b32 s0, -1, 0
.LBB34_1966:
	s_and_b32 vcc_lo, exec_lo, s0
	s_cbranch_vccnz .LBB34_2070
.LBB34_1967:
	s_mov_b32 s0, 0
	s_branch .LBB34_2008
.LBB34_1968:
	s_and_b32 vcc_lo, exec_lo, s0
	s_cbranch_vccz .LBB34_1891
; %bb.1969:
	s_and_b32 s0, 0xffff, s1
	s_mov_b32 s3, -1
	s_cmp_lt_i32 s0, 5
	s_cbranch_scc1 .LBB34_1990
; %bb.1970:
	s_cmp_lt_i32 s0, 8
	s_cbranch_scc1 .LBB34_1980
; %bb.1971:
	s_cmp_lt_i32 s0, 9
	s_cbranch_scc1 .LBB34_1977
; %bb.1972:
	s_cmp_gt_i32 s0, 9
	s_cbranch_scc0 .LBB34_1974
; %bb.1973:
	v_lshlrev_b32_e32 v4, 16, v3
	v_mov_b32_e32 v6, 0
	s_mov_b32 s3, 0
	v_cvt_f64_f32_e32 v[4:5], v4
	v_mov_b32_e32 v7, v6
	global_store_dwordx4 v[0:1], v[4:7], off
.LBB34_1974:
	s_andn2_b32 vcc_lo, exec_lo, s3
	s_cbranch_vccnz .LBB34_1976
; %bb.1975:
	v_lshlrev_b32_e32 v4, 16, v3
	v_mov_b32_e32 v5, 0
	global_store_dwordx2 v[0:1], v[4:5], off
.LBB34_1976:
	s_mov_b32 s3, 0
.LBB34_1977:
	s_andn2_b32 vcc_lo, exec_lo, s3
	s_cbranch_vccnz .LBB34_1979
; %bb.1978:
	v_lshlrev_b32_e32 v4, 16, v3
	v_cvt_f16_f32_e32 v4, v4
	v_and_b32_e32 v4, 0xffff, v4
	global_store_dword v[0:1], v4, off
.LBB34_1979:
	s_mov_b32 s3, 0
.LBB34_1980:
	s_andn2_b32 vcc_lo, exec_lo, s3
	s_cbranch_vccnz .LBB34_1989
; %bb.1981:
	s_cmp_lt_i32 s0, 6
	s_mov_b32 s3, -1
	s_cbranch_scc1 .LBB34_1987
; %bb.1982:
	s_cmp_gt_i32 s0, 6
	s_cbranch_scc0 .LBB34_1984
; %bb.1983:
	v_lshlrev_b32_e32 v4, 16, v3
	s_mov_b32 s3, 0
	v_cvt_f64_f32_e32 v[4:5], v4
	global_store_dwordx2 v[0:1], v[4:5], off
.LBB34_1984:
	s_andn2_b32 vcc_lo, exec_lo, s3
	s_cbranch_vccnz .LBB34_1986
; %bb.1985:
	v_lshlrev_b32_e32 v4, 16, v3
	global_store_dword v[0:1], v4, off
.LBB34_1986:
	s_mov_b32 s3, 0
.LBB34_1987:
	s_andn2_b32 vcc_lo, exec_lo, s3
	s_cbranch_vccnz .LBB34_1989
; %bb.1988:
	v_lshlrev_b32_e32 v4, 16, v3
	v_cvt_f16_f32_e32 v4, v4
	global_store_short v[0:1], v4, off
.LBB34_1989:
	s_mov_b32 s3, 0
.LBB34_1990:
	s_andn2_b32 vcc_lo, exec_lo, s3
	s_cbranch_vccnz .LBB34_2006
; %bb.1991:
	s_cmp_lt_i32 s0, 2
	s_mov_b32 s3, -1
	s_cbranch_scc1 .LBB34_2001
; %bb.1992:
	s_cmp_lt_i32 s0, 3
	s_cbranch_scc1 .LBB34_1998
; %bb.1993:
	s_cmp_gt_i32 s0, 3
	s_cbranch_scc0 .LBB34_1995
; %bb.1994:
	v_lshlrev_b32_e32 v4, 16, v3
	s_mov_b32 s3, 0
	v_trunc_f32_e32 v4, v4
	v_mul_f32_e64 v5, 0x2f800000, |v4|
	v_ashrrev_i32_e32 v7, 31, v4
	v_floor_f32_e32 v5, v5
	v_fma_f32 v6, 0xcf800000, v5, |v4|
	v_cvt_u32_f32_e32 v5, v5
	v_cvt_u32_f32_e32 v4, v6
	v_xor_b32_e32 v5, v5, v7
	v_xor_b32_e32 v4, v4, v7
	v_sub_co_u32 v4, vcc_lo, v4, v7
	v_sub_co_ci_u32_e64 v5, null, v5, v7, vcc_lo
	global_store_dwordx2 v[0:1], v[4:5], off
.LBB34_1995:
	s_andn2_b32 vcc_lo, exec_lo, s3
	s_cbranch_vccnz .LBB34_1997
; %bb.1996:
	v_lshlrev_b32_e32 v4, 16, v3
	v_cvt_i32_f32_e32 v4, v4
	global_store_dword v[0:1], v4, off
.LBB34_1997:
	s_mov_b32 s3, 0
.LBB34_1998:
	s_andn2_b32 vcc_lo, exec_lo, s3
	s_cbranch_vccnz .LBB34_2000
; %bb.1999:
	v_lshlrev_b32_e32 v4, 16, v3
	v_cvt_i32_f32_e32 v4, v4
	global_store_short v[0:1], v4, off
.LBB34_2000:
	s_mov_b32 s3, 0
.LBB34_2001:
	s_andn2_b32 vcc_lo, exec_lo, s3
	s_cbranch_vccnz .LBB34_2006
; %bb.2002:
	v_lshlrev_b32_e32 v3, 16, v3
	s_cmp_gt_i32 s0, 0
	s_mov_b32 s0, -1
	s_cbranch_scc0 .LBB34_2004
; %bb.2003:
	v_cvt_i32_f32_e32 v4, v3
	s_mov_b32 s0, 0
	global_store_byte v[0:1], v4, off
.LBB34_2004:
	s_andn2_b32 vcc_lo, exec_lo, s0
	s_cbranch_vccnz .LBB34_2006
; %bb.2005:
	v_trunc_f32_e32 v3, v3
	v_mul_f32_e64 v4, 0x2f800000, |v3|
	v_floor_f32_e32 v4, v4
	v_fma_f32 v4, 0xcf800000, v4, |v3|
	v_ashrrev_i32_e32 v3, 31, v3
	v_cvt_u32_f32_e32 v4, v4
	v_xor_b32_e32 v4, v4, v3
	v_sub_nc_u32_e32 v3, v4, v3
	global_store_byte v[0:1], v3, off
.LBB34_2006:
	s_branch .LBB34_1892
.LBB34_2007:
	s_mov_b32 s0, 0
	s_mov_b32 s3, 0
                                        ; implicit-def: $sgpr1
                                        ; implicit-def: $vgpr0_vgpr1
                                        ; implicit-def: $vgpr3
.LBB34_2008:
	s_andn2_b32 s2, s12, exec_lo
	s_and_b32 s4, s5, exec_lo
	s_and_b32 s0, s0, exec_lo
	;; [unrolled: 1-line block ×3, first 2 shown]
	s_or_b32 s12, s2, s4
.LBB34_2009:
	s_or_b32 exec_lo, exec_lo, s7
	s_and_saveexec_b32 s2, s12
	s_cbranch_execz .LBB34_2012
; %bb.2010:
	; divergent unreachable
	s_or_b32 exec_lo, exec_lo, s2
	s_and_saveexec_b32 s2, s5
	s_xor_b32 s2, exec_lo, s2
	s_cbranch_execnz .LBB34_2013
.LBB34_2011:
	s_or_b32 exec_lo, exec_lo, s2
	s_and_saveexec_b32 s2, s0
	s_cbranch_execnz .LBB34_2014
	s_branch .LBB34_2051
.LBB34_2012:
	s_or_b32 exec_lo, exec_lo, s2
	s_and_saveexec_b32 s2, s5
	s_xor_b32 s2, exec_lo, s2
	s_cbranch_execz .LBB34_2011
.LBB34_2013:
	s_waitcnt vmcnt(0)
	v_and_b32_e32 v2, 0x7fff, v3
	v_cmp_ne_u16_e32 vcc_lo, 0, v2
	v_cndmask_b32_e64 v2, 0, 1, vcc_lo
	global_store_byte v[0:1], v2, off
	s_or_b32 exec_lo, exec_lo, s2
	s_and_saveexec_b32 s2, s0
	s_cbranch_execz .LBB34_2051
.LBB34_2014:
	s_sext_i32_i16 s2, s1
	s_mov_b32 s0, -1
	s_cmp_lt_i32 s2, 5
	s_cbranch_scc1 .LBB34_2035
; %bb.2015:
	s_cmp_lt_i32 s2, 8
	s_cbranch_scc1 .LBB34_2025
; %bb.2016:
	;; [unrolled: 3-line block ×3, first 2 shown]
	s_cmp_gt_i32 s2, 9
	s_cbranch_scc0 .LBB34_2019
; %bb.2018:
	s_waitcnt vmcnt(0)
	v_lshlrev_b32_e32 v2, 16, v3
	v_mov_b32_e32 v6, 0
	s_mov_b32 s0, 0
	v_cvt_f64_f32_e32 v[4:5], v2
	v_mov_b32_e32 v7, v6
	global_store_dwordx4 v[0:1], v[4:7], off
.LBB34_2019:
	s_andn2_b32 vcc_lo, exec_lo, s0
	s_cbranch_vccnz .LBB34_2021
; %bb.2020:
	s_waitcnt vmcnt(0)
	v_lshlrev_b32_e32 v4, 16, v3
	v_mov_b32_e32 v5, 0
	global_store_dwordx2 v[0:1], v[4:5], off
.LBB34_2021:
	s_mov_b32 s0, 0
.LBB34_2022:
	s_andn2_b32 vcc_lo, exec_lo, s0
	s_cbranch_vccnz .LBB34_2024
; %bb.2023:
	s_waitcnt vmcnt(0)
	v_lshlrev_b32_e32 v2, 16, v3
	v_cvt_f16_f32_e32 v2, v2
	v_and_b32_e32 v2, 0xffff, v2
	global_store_dword v[0:1], v2, off
.LBB34_2024:
	s_mov_b32 s0, 0
.LBB34_2025:
	s_andn2_b32 vcc_lo, exec_lo, s0
	s_cbranch_vccnz .LBB34_2034
; %bb.2026:
	s_sext_i32_i16 s2, s1
	s_mov_b32 s0, -1
	s_cmp_lt_i32 s2, 6
	s_cbranch_scc1 .LBB34_2032
; %bb.2027:
	s_cmp_gt_i32 s2, 6
	s_cbranch_scc0 .LBB34_2029
; %bb.2028:
	s_waitcnt vmcnt(0)
	v_lshlrev_b32_e32 v2, 16, v3
	s_mov_b32 s0, 0
	v_cvt_f64_f32_e32 v[4:5], v2
	global_store_dwordx2 v[0:1], v[4:5], off
.LBB34_2029:
	s_andn2_b32 vcc_lo, exec_lo, s0
	s_cbranch_vccnz .LBB34_2031
; %bb.2030:
	s_waitcnt vmcnt(0)
	v_lshlrev_b32_e32 v2, 16, v3
	global_store_dword v[0:1], v2, off
.LBB34_2031:
	s_mov_b32 s0, 0
.LBB34_2032:
	s_andn2_b32 vcc_lo, exec_lo, s0
	s_cbranch_vccnz .LBB34_2034
; %bb.2033:
	s_waitcnt vmcnt(0)
	v_lshlrev_b32_e32 v2, 16, v3
	v_cvt_f16_f32_e32 v2, v2
	global_store_short v[0:1], v2, off
.LBB34_2034:
	s_mov_b32 s0, 0
.LBB34_2035:
	s_andn2_b32 vcc_lo, exec_lo, s0
	s_cbranch_vccnz .LBB34_2051
; %bb.2036:
	s_sext_i32_i16 s2, s1
	s_mov_b32 s0, -1
	s_cmp_lt_i32 s2, 2
	s_cbranch_scc1 .LBB34_2046
; %bb.2037:
	s_cmp_lt_i32 s2, 3
	s_cbranch_scc1 .LBB34_2043
; %bb.2038:
	s_cmp_gt_i32 s2, 3
	s_cbranch_scc0 .LBB34_2040
; %bb.2039:
	s_waitcnt vmcnt(0)
	v_lshlrev_b32_e32 v2, 16, v3
	s_mov_b32 s0, 0
	v_trunc_f32_e32 v2, v2
	v_mul_f32_e64 v4, 0x2f800000, |v2|
	v_floor_f32_e32 v4, v4
	v_fma_f32 v5, 0xcf800000, v4, |v2|
	v_ashrrev_i32_e32 v2, 31, v2
	v_cvt_u32_f32_e32 v4, v4
	v_cvt_u32_f32_e32 v5, v5
	v_xor_b32_e32 v6, v4, v2
	v_xor_b32_e32 v5, v5, v2
	v_sub_co_u32 v4, vcc_lo, v5, v2
	v_sub_co_ci_u32_e64 v5, null, v6, v2, vcc_lo
	global_store_dwordx2 v[0:1], v[4:5], off
.LBB34_2040:
	s_andn2_b32 vcc_lo, exec_lo, s0
	s_cbranch_vccnz .LBB34_2042
; %bb.2041:
	s_waitcnt vmcnt(0)
	v_lshlrev_b32_e32 v2, 16, v3
	v_cvt_i32_f32_e32 v2, v2
	global_store_dword v[0:1], v2, off
.LBB34_2042:
	s_mov_b32 s0, 0
.LBB34_2043:
	s_andn2_b32 vcc_lo, exec_lo, s0
	s_cbranch_vccnz .LBB34_2045
; %bb.2044:
	s_waitcnt vmcnt(0)
	v_lshlrev_b32_e32 v2, 16, v3
	v_cvt_i32_f32_e32 v2, v2
	global_store_short v[0:1], v2, off
.LBB34_2045:
	s_mov_b32 s0, 0
.LBB34_2046:
	s_andn2_b32 vcc_lo, exec_lo, s0
	s_cbranch_vccnz .LBB34_2051
; %bb.2047:
	s_waitcnt vmcnt(0)
	v_lshlrev_b32_e32 v2, 16, v3
	s_sext_i32_i16 s0, s1
	s_cmp_gt_i32 s0, 0
	s_mov_b32 s0, -1
	s_cbranch_scc0 .LBB34_2049
; %bb.2048:
	v_cvt_i32_f32_e32 v3, v2
	s_mov_b32 s0, 0
	global_store_byte v[0:1], v3, off
.LBB34_2049:
	s_andn2_b32 vcc_lo, exec_lo, s0
	s_cbranch_vccnz .LBB34_2051
; %bb.2050:
	v_trunc_f32_e32 v2, v2
	v_mul_f32_e64 v3, 0x2f800000, |v2|
	v_floor_f32_e32 v3, v3
	v_fma_f32 v3, 0xcf800000, v3, |v2|
	v_ashrrev_i32_e32 v2, 31, v2
	v_cvt_u32_f32_e32 v3, v3
	v_xor_b32_e32 v3, v3, v2
	v_sub_nc_u32_e32 v2, v3, v2
	global_store_byte v[0:1], v2, off
	s_endpgm
.LBB34_2051:
	s_endpgm
.LBB34_2052:
	s_or_b32 s5, s5, exec_lo
	s_trap 2
	s_cbranch_execz .LBB34_1521
	s_branch .LBB34_1522
.LBB34_2053:
	s_andn2_saveexec_b32 s11, s11
	s_cbranch_execz .LBB34_1605
.LBB34_2054:
	v_add_f32_e64 v5, 0x46000000, |v6|
	s_andn2_b32 s10, s10, exec_lo
	v_and_b32_e32 v5, 0xff, v5
	v_cmp_ne_u32_e32 vcc_lo, 0, v5
	s_and_b32 s13, vcc_lo, exec_lo
	s_or_b32 s10, s10, s13
	s_or_b32 exec_lo, exec_lo, s11
	v_mov_b32_e32 v19, 0
	s_and_saveexec_b32 s11, s10
	s_cbranch_execnz .LBB34_1606
	s_branch .LBB34_1607
.LBB34_2055:
	s_or_b32 s5, s5, exec_lo
	s_trap 2
	s_cbranch_execz .LBB34_1653
	s_branch .LBB34_1654
.LBB34_2056:
	s_andn2_saveexec_b32 s10, s10
	s_cbranch_execz .LBB34_1618
.LBB34_2057:
	v_add_f32_e64 v5, 0x42800000, |v6|
	s_andn2_b32 s6, s6, exec_lo
	v_and_b32_e32 v5, 0xff, v5
	v_cmp_ne_u32_e32 vcc_lo, 0, v5
	s_and_b32 s11, vcc_lo, exec_lo
	s_or_b32 s6, s6, s11
	s_or_b32 exec_lo, exec_lo, s10
	v_mov_b32_e32 v19, 0
	s_and_saveexec_b32 s10, s6
	s_cbranch_execnz .LBB34_1619
	s_branch .LBB34_1620
.LBB34_2058:
	s_andn2_saveexec_b32 s11, s11
	s_cbranch_execz .LBB34_1723
.LBB34_2059:
	v_add_f32_e64 v5, 0x46000000, |v6|
	s_andn2_b32 s10, s10, exec_lo
	v_and_b32_e32 v5, 0xff, v5
	v_cmp_ne_u32_e32 vcc_lo, 0, v5
	s_and_b32 s13, vcc_lo, exec_lo
	s_or_b32 s10, s10, s13
	s_or_b32 exec_lo, exec_lo, s11
	v_mov_b32_e32 v7, 0
	s_and_saveexec_b32 s11, s10
	s_cbranch_execnz .LBB34_1724
	s_branch .LBB34_1725
.LBB34_2060:
	s_or_b32 s5, s5, exec_lo
	s_trap 2
	s_cbranch_execz .LBB34_1771
	s_branch .LBB34_1772
.LBB34_2061:
	s_andn2_saveexec_b32 s10, s10
	s_cbranch_execz .LBB34_1736
.LBB34_2062:
	v_add_f32_e64 v5, 0x42800000, |v6|
	s_andn2_b32 s6, s6, exec_lo
	v_and_b32_e32 v5, 0xff, v5
	v_cmp_ne_u32_e32 vcc_lo, 0, v5
	s_and_b32 s11, vcc_lo, exec_lo
	s_or_b32 s6, s6, s11
	s_or_b32 exec_lo, exec_lo, s10
	v_mov_b32_e32 v7, 0
	s_and_saveexec_b32 s10, s6
	s_cbranch_execnz .LBB34_1737
	s_branch .LBB34_1738
.LBB34_2063:
	s_andn2_saveexec_b32 s11, s11
	s_cbranch_execz .LBB34_1841
.LBB34_2064:
	v_add_f32_e64 v5, 0x46000000, |v6|
	s_andn2_b32 s10, s10, exec_lo
	v_and_b32_e32 v5, 0xff, v5
	v_cmp_ne_u32_e32 vcc_lo, 0, v5
	s_and_b32 s13, vcc_lo, exec_lo
	s_or_b32 s10, s10, s13
	s_or_b32 exec_lo, exec_lo, s11
	v_mov_b32_e32 v7, 0
	s_and_saveexec_b32 s11, s10
	s_cbranch_execnz .LBB34_1842
	s_branch .LBB34_1843
.LBB34_2065:
	s_or_b32 s5, s5, exec_lo
	s_trap 2
	s_cbranch_execz .LBB34_1889
	s_branch .LBB34_1890
.LBB34_2066:
	s_andn2_saveexec_b32 s10, s10
	s_cbranch_execz .LBB34_1854
.LBB34_2067:
	v_add_f32_e64 v5, 0x42800000, |v6|
	s_andn2_b32 s6, s6, exec_lo
	v_and_b32_e32 v5, 0xff, v5
	v_cmp_ne_u32_e32 vcc_lo, 0, v5
	s_and_b32 s11, vcc_lo, exec_lo
	s_or_b32 s6, s6, s11
	s_or_b32 exec_lo, exec_lo, s10
	v_mov_b32_e32 v7, 0
	s_and_saveexec_b32 s10, s6
	s_cbranch_execnz .LBB34_1855
	s_branch .LBB34_1856
.LBB34_2068:
	s_andn2_saveexec_b32 s8, s8
	s_cbranch_execz .LBB34_1921
.LBB34_2069:
	v_add_f32_e64 v4, 0x46000000, |v5|
	s_andn2_b32 s6, s6, exec_lo
	v_and_b32_e32 v4, 0xff, v4
	v_cmp_ne_u32_e32 vcc_lo, 0, v4
	s_and_b32 s9, vcc_lo, exec_lo
	s_or_b32 s6, s6, s9
	s_or_b32 exec_lo, exec_lo, s8
	v_mov_b32_e32 v6, 0
	s_and_saveexec_b32 s8, s6
	s_cbranch_execnz .LBB34_1922
	s_branch .LBB34_1923
.LBB34_2070:
	s_mov_b32 s3, 0
	s_or_b32 s5, s5, exec_lo
	s_trap 2
	s_branch .LBB34_1967
.LBB34_2071:
	s_andn2_saveexec_b32 s6, s6
	s_cbranch_execz .LBB34_1933
.LBB34_2072:
	v_add_f32_e64 v4, 0x42800000, |v5|
	s_andn2_b32 s4, s4, exec_lo
	v_and_b32_e32 v4, 0xff, v4
	v_cmp_ne_u32_e32 vcc_lo, 0, v4
	s_and_b32 s8, vcc_lo, exec_lo
	s_or_b32 s4, s4, s8
	s_or_b32 exec_lo, exec_lo, s6
	v_mov_b32_e32 v6, 0
	s_and_saveexec_b32 s6, s4
	s_cbranch_execnz .LBB34_1934
	s_branch .LBB34_1935
	.section	.rodata,"a",@progbits
	.p2align	6, 0x0
	.amdhsa_kernel _ZN2at6native32elementwise_kernel_manual_unrollILi128ELi4EZNS0_15gpu_kernel_implIZZZNS0_15sin_kernel_cudaERNS_18TensorIteratorBaseEENKUlvE0_clEvENKUlvE2_clEvEUlN3c108BFloat16EE_EEvS4_RKT_EUlibE_EEviT1_
		.amdhsa_group_segment_fixed_size 0
		.amdhsa_private_segment_fixed_size 0
		.amdhsa_kernarg_size 40
		.amdhsa_user_sgpr_count 6
		.amdhsa_user_sgpr_private_segment_buffer 1
		.amdhsa_user_sgpr_dispatch_ptr 0
		.amdhsa_user_sgpr_queue_ptr 0
		.amdhsa_user_sgpr_kernarg_segment_ptr 1
		.amdhsa_user_sgpr_dispatch_id 0
		.amdhsa_user_sgpr_flat_scratch_init 0
		.amdhsa_user_sgpr_private_segment_size 0
		.amdhsa_wavefront_size32 1
		.amdhsa_uses_dynamic_stack 0
		.amdhsa_system_sgpr_private_segment_wavefront_offset 0
		.amdhsa_system_sgpr_workgroup_id_x 1
		.amdhsa_system_sgpr_workgroup_id_y 0
		.amdhsa_system_sgpr_workgroup_id_z 0
		.amdhsa_system_sgpr_workgroup_info 0
		.amdhsa_system_vgpr_workitem_id 0
		.amdhsa_next_free_vgpr 27
		.amdhsa_next_free_sgpr 26
		.amdhsa_reserve_vcc 1
		.amdhsa_reserve_flat_scratch 0
		.amdhsa_float_round_mode_32 0
		.amdhsa_float_round_mode_16_64 0
		.amdhsa_float_denorm_mode_32 3
		.amdhsa_float_denorm_mode_16_64 3
		.amdhsa_dx10_clamp 1
		.amdhsa_ieee_mode 1
		.amdhsa_fp16_overflow 0
		.amdhsa_workgroup_processor_mode 1
		.amdhsa_memory_ordered 1
		.amdhsa_forward_progress 1
		.amdhsa_shared_vgpr_count 0
		.amdhsa_exception_fp_ieee_invalid_op 0
		.amdhsa_exception_fp_denorm_src 0
		.amdhsa_exception_fp_ieee_div_zero 0
		.amdhsa_exception_fp_ieee_overflow 0
		.amdhsa_exception_fp_ieee_underflow 0
		.amdhsa_exception_fp_ieee_inexact 0
		.amdhsa_exception_int_div_zero 0
	.end_amdhsa_kernel
	.section	.text._ZN2at6native32elementwise_kernel_manual_unrollILi128ELi4EZNS0_15gpu_kernel_implIZZZNS0_15sin_kernel_cudaERNS_18TensorIteratorBaseEENKUlvE0_clEvENKUlvE2_clEvEUlN3c108BFloat16EE_EEvS4_RKT_EUlibE_EEviT1_,"axG",@progbits,_ZN2at6native32elementwise_kernel_manual_unrollILi128ELi4EZNS0_15gpu_kernel_implIZZZNS0_15sin_kernel_cudaERNS_18TensorIteratorBaseEENKUlvE0_clEvENKUlvE2_clEvEUlN3c108BFloat16EE_EEvS4_RKT_EUlibE_EEviT1_,comdat
.Lfunc_end34:
	.size	_ZN2at6native32elementwise_kernel_manual_unrollILi128ELi4EZNS0_15gpu_kernel_implIZZZNS0_15sin_kernel_cudaERNS_18TensorIteratorBaseEENKUlvE0_clEvENKUlvE2_clEvEUlN3c108BFloat16EE_EEvS4_RKT_EUlibE_EEviT1_, .Lfunc_end34-_ZN2at6native32elementwise_kernel_manual_unrollILi128ELi4EZNS0_15gpu_kernel_implIZZZNS0_15sin_kernel_cudaERNS_18TensorIteratorBaseEENKUlvE0_clEvENKUlvE2_clEvEUlN3c108BFloat16EE_EEvS4_RKT_EUlibE_EEviT1_
                                        ; -- End function
	.set _ZN2at6native32elementwise_kernel_manual_unrollILi128ELi4EZNS0_15gpu_kernel_implIZZZNS0_15sin_kernel_cudaERNS_18TensorIteratorBaseEENKUlvE0_clEvENKUlvE2_clEvEUlN3c108BFloat16EE_EEvS4_RKT_EUlibE_EEviT1_.num_vgpr, 27
	.set _ZN2at6native32elementwise_kernel_manual_unrollILi128ELi4EZNS0_15gpu_kernel_implIZZZNS0_15sin_kernel_cudaERNS_18TensorIteratorBaseEENKUlvE0_clEvENKUlvE2_clEvEUlN3c108BFloat16EE_EEvS4_RKT_EUlibE_EEviT1_.num_agpr, 0
	.set _ZN2at6native32elementwise_kernel_manual_unrollILi128ELi4EZNS0_15gpu_kernel_implIZZZNS0_15sin_kernel_cudaERNS_18TensorIteratorBaseEENKUlvE0_clEvENKUlvE2_clEvEUlN3c108BFloat16EE_EEvS4_RKT_EUlibE_EEviT1_.numbered_sgpr, 26
	.set _ZN2at6native32elementwise_kernel_manual_unrollILi128ELi4EZNS0_15gpu_kernel_implIZZZNS0_15sin_kernel_cudaERNS_18TensorIteratorBaseEENKUlvE0_clEvENKUlvE2_clEvEUlN3c108BFloat16EE_EEvS4_RKT_EUlibE_EEviT1_.num_named_barrier, 0
	.set _ZN2at6native32elementwise_kernel_manual_unrollILi128ELi4EZNS0_15gpu_kernel_implIZZZNS0_15sin_kernel_cudaERNS_18TensorIteratorBaseEENKUlvE0_clEvENKUlvE2_clEvEUlN3c108BFloat16EE_EEvS4_RKT_EUlibE_EEviT1_.private_seg_size, 0
	.set _ZN2at6native32elementwise_kernel_manual_unrollILi128ELi4EZNS0_15gpu_kernel_implIZZZNS0_15sin_kernel_cudaERNS_18TensorIteratorBaseEENKUlvE0_clEvENKUlvE2_clEvEUlN3c108BFloat16EE_EEvS4_RKT_EUlibE_EEviT1_.uses_vcc, 1
	.set _ZN2at6native32elementwise_kernel_manual_unrollILi128ELi4EZNS0_15gpu_kernel_implIZZZNS0_15sin_kernel_cudaERNS_18TensorIteratorBaseEENKUlvE0_clEvENKUlvE2_clEvEUlN3c108BFloat16EE_EEvS4_RKT_EUlibE_EEviT1_.uses_flat_scratch, 0
	.set _ZN2at6native32elementwise_kernel_manual_unrollILi128ELi4EZNS0_15gpu_kernel_implIZZZNS0_15sin_kernel_cudaERNS_18TensorIteratorBaseEENKUlvE0_clEvENKUlvE2_clEvEUlN3c108BFloat16EE_EEvS4_RKT_EUlibE_EEviT1_.has_dyn_sized_stack, 0
	.set _ZN2at6native32elementwise_kernel_manual_unrollILi128ELi4EZNS0_15gpu_kernel_implIZZZNS0_15sin_kernel_cudaERNS_18TensorIteratorBaseEENKUlvE0_clEvENKUlvE2_clEvEUlN3c108BFloat16EE_EEvS4_RKT_EUlibE_EEviT1_.has_recursion, 0
	.set _ZN2at6native32elementwise_kernel_manual_unrollILi128ELi4EZNS0_15gpu_kernel_implIZZZNS0_15sin_kernel_cudaERNS_18TensorIteratorBaseEENKUlvE0_clEvENKUlvE2_clEvEUlN3c108BFloat16EE_EEvS4_RKT_EUlibE_EEviT1_.has_indirect_call, 0
	.section	.AMDGPU.csdata,"",@progbits
; Kernel info:
; codeLenInByte = 43120
; TotalNumSgprs: 28
; NumVgprs: 27
; ScratchSize: 0
; MemoryBound: 0
; FloatMode: 240
; IeeeMode: 1
; LDSByteSize: 0 bytes/workgroup (compile time only)
; SGPRBlocks: 0
; VGPRBlocks: 3
; NumSGPRsForWavesPerEU: 28
; NumVGPRsForWavesPerEU: 27
; Occupancy: 16
; WaveLimiterHint : 0
; COMPUTE_PGM_RSRC2:SCRATCH_EN: 0
; COMPUTE_PGM_RSRC2:USER_SGPR: 6
; COMPUTE_PGM_RSRC2:TRAP_HANDLER: 0
; COMPUTE_PGM_RSRC2:TGID_X_EN: 1
; COMPUTE_PGM_RSRC2:TGID_Y_EN: 0
; COMPUTE_PGM_RSRC2:TGID_Z_EN: 0
; COMPUTE_PGM_RSRC2:TIDIG_COMP_CNT: 0
	.section	.text._ZN2at6native32elementwise_kernel_manual_unrollILi128ELi4EZNS0_15gpu_kernel_implIZZZNS0_15sin_kernel_cudaERNS_18TensorIteratorBaseEENKUlvE0_clEvENKUlvE2_clEvEUlN3c108BFloat16EE_EEvS4_RKT_EUlibE0_EEviT1_,"axG",@progbits,_ZN2at6native32elementwise_kernel_manual_unrollILi128ELi4EZNS0_15gpu_kernel_implIZZZNS0_15sin_kernel_cudaERNS_18TensorIteratorBaseEENKUlvE0_clEvENKUlvE2_clEvEUlN3c108BFloat16EE_EEvS4_RKT_EUlibE0_EEviT1_,comdat
	.globl	_ZN2at6native32elementwise_kernel_manual_unrollILi128ELi4EZNS0_15gpu_kernel_implIZZZNS0_15sin_kernel_cudaERNS_18TensorIteratorBaseEENKUlvE0_clEvENKUlvE2_clEvEUlN3c108BFloat16EE_EEvS4_RKT_EUlibE0_EEviT1_ ; -- Begin function _ZN2at6native32elementwise_kernel_manual_unrollILi128ELi4EZNS0_15gpu_kernel_implIZZZNS0_15sin_kernel_cudaERNS_18TensorIteratorBaseEENKUlvE0_clEvENKUlvE2_clEvEUlN3c108BFloat16EE_EEvS4_RKT_EUlibE0_EEviT1_
	.p2align	8
	.type	_ZN2at6native32elementwise_kernel_manual_unrollILi128ELi4EZNS0_15gpu_kernel_implIZZZNS0_15sin_kernel_cudaERNS_18TensorIteratorBaseEENKUlvE0_clEvENKUlvE2_clEvEUlN3c108BFloat16EE_EEvS4_RKT_EUlibE0_EEviT1_,@function
_ZN2at6native32elementwise_kernel_manual_unrollILi128ELi4EZNS0_15gpu_kernel_implIZZZNS0_15sin_kernel_cudaERNS_18TensorIteratorBaseEENKUlvE0_clEvENKUlvE2_clEvEUlN3c108BFloat16EE_EEvS4_RKT_EUlibE0_EEviT1_: ; @_ZN2at6native32elementwise_kernel_manual_unrollILi128ELi4EZNS0_15gpu_kernel_implIZZZNS0_15sin_kernel_cudaERNS_18TensorIteratorBaseEENKUlvE0_clEvENKUlvE2_clEvEUlN3c108BFloat16EE_EEvS4_RKT_EUlibE0_EEviT1_
; %bb.0:
	s_clause 0x1
	s_load_dword s24, s[4:5], 0x8
	s_load_dword s33, s[4:5], 0x0
	v_lshl_or_b32 v8, s6, 9, v0
	s_add_u32 s2, s4, 8
	s_addc_u32 s3, s5, 0
	s_mov_b32 s1, -1
	s_mov_b32 s26, 0
	v_or_b32_e32 v15, 0x180, v8
	s_mov_b32 s12, 0
	s_mov_b32 s0, exec_lo
	s_waitcnt lgkmcnt(0)
	s_add_i32 s25, s24, -1
	s_cmp_gt_u32 s25, 1
	s_cselect_b32 s27, -1, 0
	v_cmpx_le_i32_e64 s33, v15
	s_xor_b32 s28, exec_lo, s0
	s_cbranch_execz .LBB35_1102
; %bb.1:
	v_mov_b32_e32 v0, 0
	s_clause 0x3
	s_load_dwordx4 s[16:19], s[2:3], 0x4
	s_load_dwordx2 s[6:7], s[2:3], 0x14
	s_load_dwordx4 s[12:15], s[2:3], 0xc4
	s_load_dwordx4 s[8:11], s[2:3], 0x148
	s_cmp_lg_u32 s24, 0
	s_mov_b32 s39, 0
	s_cselect_b32 s34, -1, 0
	global_load_ushort v0, v0, s[2:3] offset:345
	s_add_u32 s20, s2, 0xc4
	s_addc_u32 s21, s3, 0
	s_min_u32 s35, s25, 15
	s_cmp_gt_u32 s24, 1
	s_mov_b32 s37, 0
	s_cselect_b32 s31, -1, 0
	s_mov_b32 s36, 0
	s_mov_b32 s38, exec_lo
	s_waitcnt vmcnt(0)
	v_readfirstlane_b32 s29, v0
	s_and_b32 s0, 0xffff, s29
	s_lshr_b32 s30, s0, 8
	v_cmpx_gt_i32_e64 s33, v8
	s_cbranch_execz .LBB35_270
; %bb.2:
	s_andn2_b32 vcc_lo, exec_lo, s27
	s_cbranch_vccnz .LBB35_7
; %bb.3:
	s_andn2_b32 vcc_lo, exec_lo, s34
	s_cbranch_vccnz .LBB35_8
; %bb.4:
	s_add_i32 s37, s35, 1
	s_cmp_eq_u32 s25, 2
	s_cbranch_scc1 .LBB35_9
; %bb.5:
	v_mov_b32_e32 v2, 0
	v_mov_b32_e32 v0, 0
	;; [unrolled: 1-line block ×3, first 2 shown]
	s_and_b32 s36, s37, 28
	s_mov_b32 s40, 0
	s_mov_b64 s[0:1], s[2:3]
	s_mov_b64 s[22:23], s[20:21]
.LBB35_6:                               ; =>This Inner Loop Header: Depth=1
	s_clause 0x1
	s_load_dwordx8 s[44:51], s[0:1], 0x4
	s_load_dwordx4 s[60:63], s[0:1], 0x24
	s_load_dwordx8 s[52:59], s[22:23], 0x0
	s_add_u32 s0, s0, 48
	s_addc_u32 s1, s1, 0
	s_add_i32 s40, s40, 4
	s_add_u32 s22, s22, 32
	s_addc_u32 s23, s23, 0
	s_cmp_lg_u32 s36, s40
	s_waitcnt lgkmcnt(0)
	v_mul_hi_u32 v3, s45, v1
	v_add_nc_u32_e32 v3, v1, v3
	v_lshrrev_b32_e32 v3, s46, v3
	v_mul_hi_u32 v4, s48, v3
	v_mul_lo_u32 v6, v3, s44
	v_add_nc_u32_e32 v4, v3, v4
	v_sub_nc_u32_e32 v1, v1, v6
	v_lshrrev_b32_e32 v4, s49, v4
	v_mul_lo_u32 v6, v1, s52
	v_mul_lo_u32 v9, v1, s53
	v_mul_hi_u32 v5, s51, v4
	v_add_nc_u32_e32 v5, v4, v5
	v_lshrrev_b32_e32 v5, s60, v5
	v_mul_hi_u32 v7, s62, v5
	v_mul_lo_u32 v10, v5, s50
	v_add_nc_u32_e32 v1, v5, v7
	v_mul_lo_u32 v7, v4, s47
	v_sub_nc_u32_e32 v4, v4, v10
	v_lshrrev_b32_e32 v1, s63, v1
	v_mul_lo_u32 v10, v4, s56
	v_mul_lo_u32 v4, v4, s57
	v_sub_nc_u32_e32 v3, v3, v7
	v_mul_lo_u32 v11, v1, s61
	v_mul_lo_u32 v7, v3, s54
	;; [unrolled: 1-line block ×3, first 2 shown]
	v_sub_nc_u32_e32 v5, v5, v11
	v_add3_u32 v0, v6, v0, v7
	v_mul_lo_u32 v11, v5, s58
	v_mul_lo_u32 v5, v5, s59
	v_add3_u32 v2, v9, v2, v3
	v_add3_u32 v0, v10, v0, v11
	;; [unrolled: 1-line block ×3, first 2 shown]
	s_cbranch_scc1 .LBB35_6
	s_branch .LBB35_10
.LBB35_7:
                                        ; implicit-def: $vgpr0
                                        ; implicit-def: $vgpr2
	s_branch .LBB35_14
.LBB35_8:
	v_mov_b32_e32 v0, 0
	v_mov_b32_e32 v2, 0
	s_branch .LBB35_13
.LBB35_9:
	v_mov_b32_e32 v0, 0
	v_mov_b32_e32 v2, 0
	;; [unrolled: 1-line block ×3, first 2 shown]
.LBB35_10:
	s_and_b32 s37, s37, 3
	s_cmp_eq_u32 s37, 0
	s_cbranch_scc1 .LBB35_13
; %bb.11:
	s_lshl_b32 s0, s36, 3
	s_mul_i32 s22, s36, 12
	s_add_u32 s0, s2, s0
	s_addc_u32 s1, s3, 0
	s_add_u32 s0, s0, 0xc4
	s_addc_u32 s1, s1, 0
	;; [unrolled: 2-line block ×3, first 2 shown]
	.p2align	6
.LBB35_12:                              ; =>This Inner Loop Header: Depth=1
	s_clause 0x1
	s_load_dwordx2 s[40:41], s[22:23], 0x4
	s_load_dword s36, s[22:23], 0xc
	s_load_dwordx2 s[42:43], s[0:1], 0x0
	s_add_u32 s22, s22, 12
	s_addc_u32 s23, s23, 0
	s_add_u32 s0, s0, 8
	s_addc_u32 s1, s1, 0
	s_add_i32 s37, s37, -1
	s_cmp_lg_u32 s37, 0
	s_waitcnt lgkmcnt(0)
	v_mul_hi_u32 v3, s41, v1
	v_add_nc_u32_e32 v3, v1, v3
	v_lshrrev_b32_e32 v4, s36, v3
	v_mul_lo_u32 v3, v4, s40
	v_sub_nc_u32_e32 v3, v1, v3
	v_mad_u64_u32 v[0:1], null, v3, s42, v[0:1]
	v_mad_u64_u32 v[2:3], null, v3, s43, v[2:3]
	v_mov_b32_e32 v1, v4
	s_cbranch_scc1 .LBB35_12
.LBB35_13:
	s_cbranch_execnz .LBB35_16
.LBB35_14:
	s_waitcnt lgkmcnt(0)
	v_mul_hi_u32 v0, s17, v8
	s_andn2_b32 vcc_lo, exec_lo, s31
	v_add_nc_u32_e32 v0, v8, v0
	v_lshrrev_b32_e32 v1, s18, v0
	v_mul_lo_u32 v0, v1, s16
	v_sub_nc_u32_e32 v2, v8, v0
	v_mul_lo_u32 v0, v2, s12
	v_mul_lo_u32 v2, v2, s13
	s_cbranch_vccnz .LBB35_16
; %bb.15:
	v_mul_hi_u32 v3, s6, v1
	v_add_nc_u32_e32 v3, v1, v3
	v_lshrrev_b32_e32 v3, s7, v3
	v_mul_lo_u32 v3, v3, s19
	v_sub_nc_u32_e32 v3, v1, v3
	v_mad_u64_u32 v[0:1], null, v3, s14, v[0:1]
	v_mad_u64_u32 v[2:3], null, v3, s15, v[2:3]
.LBB35_16:
	s_waitcnt lgkmcnt(0)
	v_add_co_u32 v1, s0, s10, v2
	v_add_co_ci_u32_e64 v2, null, s11, 0, s0
	s_and_b32 s0, 0xffff, s30
	s_cmp_lt_i32 s0, 11
	s_cbranch_scc1 .LBB35_23
; %bb.17:
	s_cmp_gt_i32 s0, 25
	s_cbranch_scc0 .LBB35_75
; %bb.18:
	s_cmp_gt_i32 s0, 28
	s_cbranch_scc0 .LBB35_76
	;; [unrolled: 3-line block ×4, first 2 shown]
; %bb.21:
	s_cmp_eq_u32 s0, 46
	s_mov_b32 s23, 0
	s_cbranch_scc0 .LBB35_82
; %bb.22:
	global_load_dword v3, v[1:2], off
	s_mov_b32 s1, -1
	s_mov_b32 s22, 0
	s_branch .LBB35_84
.LBB35_23:
	s_mov_b32 s22, 0
	s_mov_b32 s1, 0
                                        ; implicit-def: $vgpr3
	s_cbranch_execnz .LBB35_220
.LBB35_24:
	s_andn2_b32 vcc_lo, exec_lo, s1
	s_cbranch_vccnz .LBB35_267
.LBB35_25:
	s_waitcnt vmcnt(0)
	v_lshlrev_b32_e32 v1, 16, v3
                                        ; implicit-def: $vgpr4
                                        ; implicit-def: $vgpr3
	s_mov_b32 s1, exec_lo
	v_and_b32_e32 v2, 0x7fffffff, v1
	v_cmpx_ngt_f32_e64 0x48000000, |v1|
	s_xor_b32 s23, exec_lo, s1
	s_cbranch_execz .LBB35_27
; %bb.26:
	s_mov_b32 s0, 0x7fffff
	v_mov_b32_e32 v5, 0
	v_and_or_b32 v14, v2, s0, 0x800000
	v_mad_u64_u32 v[3:4], null, 0xfe5163ab, v14, 0
	v_mad_u64_u32 v[6:7], null, 0x3c439041, v14, v[4:5]
	v_mov_b32_e32 v4, v7
	v_lshrrev_b32_e32 v7, 23, v2
	v_mad_u64_u32 v[9:10], null, 0xdb629599, v14, v[4:5]
	v_add_nc_u32_e32 v7, 0xffffff88, v7
	v_cmp_lt_u32_e32 vcc_lo, 63, v7
	v_mov_b32_e32 v4, v10
	v_cndmask_b32_e64 v13, 0, 0xffffffc0, vcc_lo
	v_mad_u64_u32 v[10:11], null, 0xf534ddc0, v14, v[4:5]
	v_cndmask_b32_e32 v3, v9, v3, vcc_lo
	v_add_nc_u32_e32 v7, v13, v7
	v_mov_b32_e32 v4, v11
	v_cmp_lt_u32_e64 s0, 31, v7
	v_cndmask_b32_e32 v6, v10, v6, vcc_lo
	v_mad_u64_u32 v[11:12], null, 0xfc2757d1, v14, v[4:5]
	v_cndmask_b32_e64 v15, 0, 0xffffffe0, s0
	v_cndmask_b32_e64 v3, v6, v3, s0
	v_add_nc_u32_e32 v7, v15, v7
	v_mov_b32_e32 v4, v12
	v_cmp_lt_u32_e64 s1, 31, v7
	v_mad_u64_u32 v[12:13], null, 0x4e441529, v14, v[4:5]
	v_mov_b32_e32 v4, v13
	v_cndmask_b32_e64 v13, 0, 0xffffffe0, s1
	v_mad_u64_u32 v[4:5], null, 0xa2f9836e, v14, v[4:5]
	v_cndmask_b32_e32 v14, v12, v10, vcc_lo
	v_add_nc_u32_e32 v7, v13, v7
	v_cndmask_b32_e32 v4, v4, v11, vcc_lo
	v_cndmask_b32_e32 v5, v5, v12, vcc_lo
	;; [unrolled: 1-line block ×3, first 2 shown]
	v_sub_nc_u32_e32 v12, 32, v7
	v_cmp_eq_u32_e32 vcc_lo, 0, v7
	v_cndmask_b32_e64 v10, v4, v14, s0
	v_cndmask_b32_e64 v4, v5, v4, s0
	v_cndmask_b32_e64 v5, v14, v11, s0
	v_cndmask_b32_e64 v11, v11, v6, s0
	v_cndmask_b32_e64 v4, v4, v10, s1
	v_cndmask_b32_e64 v10, v10, v5, s1
	v_cndmask_b32_e64 v5, v5, v11, s1
	v_cndmask_b32_e64 v3, v11, v3, s1
	v_alignbit_b32 v13, v4, v10, v12
	v_alignbit_b32 v9, v10, v5, v12
	;; [unrolled: 1-line block ×3, first 2 shown]
	v_cndmask_b32_e32 v4, v13, v4, vcc_lo
	v_cndmask_b32_e32 v6, v9, v10, vcc_lo
	;; [unrolled: 1-line block ×3, first 2 shown]
	v_bfe_u32 v7, v4, 29, 1
	v_alignbit_b32 v9, v4, v6, 30
	v_alignbit_b32 v6, v6, v5, 30
	;; [unrolled: 1-line block ×3, first 2 shown]
	v_sub_nc_u32_e32 v10, 0, v7
	v_xor_b32_e32 v9, v9, v10
	v_xor_b32_e32 v5, v6, v10
	v_xor_b32_e32 v3, v3, v10
	v_lshrrev_b32_e32 v10, 29, v4
	v_lshrrev_b32_e32 v4, 30, v4
	v_ffbh_u32_e32 v11, v9
	v_add_nc_u32_e32 v4, v7, v4
	v_min_u32_e32 v11, 32, v11
	v_sub_nc_u32_e32 v6, 31, v11
	v_lshlrev_b32_e32 v12, 23, v11
	v_alignbit_b32 v9, v9, v5, v6
	v_alignbit_b32 v3, v5, v3, v6
	v_lshlrev_b32_e32 v5, 31, v10
	v_alignbit_b32 v6, v9, v3, 9
	v_or_b32_e32 v10, 0.5, v5
	v_lshrrev_b32_e32 v9, 9, v9
	v_or_b32_e32 v5, 0x33000000, v5
	v_ffbh_u32_e32 v13, v6
	v_sub_nc_u32_e32 v10, v10, v12
	v_min_u32_e32 v12, 32, v13
	v_or_b32_e32 v9, v9, v10
	v_not_b32_e32 v10, v12
	v_mul_f32_e32 v13, 0x3fc90fda, v9
	v_add_lshl_u32 v11, v12, v11, 23
	v_alignbit_b32 v3, v6, v3, v10
	v_fma_f32 v6, 0x3fc90fda, v9, -v13
	v_sub_nc_u32_e32 v5, v5, v11
	v_lshrrev_b32_e32 v3, 9, v3
	v_fmamk_f32 v6, v9, 0x33a22168, v6
	v_or_b32_e32 v3, v5, v3
	v_fmac_f32_e32 v6, 0x3fc90fda, v3
	v_add_f32_e32 v3, v13, v6
.LBB35_27:
	s_andn2_saveexec_b32 s0, s23
; %bb.28:
	v_mul_f32_e64 v3, 0x3f22f983, |v1|
	v_rndne_f32_e32 v4, v3
	v_fma_f32 v3, 0xbfc90fda, v4, |v1|
	v_fmamk_f32 v3, v4, 0xb3a22168, v3
	v_fmamk_f32 v3, v4, 0xa7c234c4, v3
	v_cvt_i32_f32_e32 v4, v4
; %bb.29:
	s_or_b32 exec_lo, exec_lo, s0
	v_mul_f32_e32 v5, v3, v3
	s_mov_b32 s0, 0xb94c1982
	s_mov_b32 s1, 0x37d75334
	v_lshlrev_b32_e32 v9, 30, v4
	v_and_b32_e32 v4, 1, v4
	v_fmaak_f32 v6, s0, v5, 0x3c0881c4
	v_fmaak_f32 v7, s1, v5, 0xbab64f3b
	v_add_co_u32 v0, s1, s8, v0
	v_and_b32_e32 v9, 0x80000000, v9
	v_fmaak_f32 v6, v5, v6, 0xbe2aaa9d
	v_fmaak_f32 v7, v5, v7, 0x3d2aabf7
	v_cmp_eq_u32_e32 vcc_lo, 0, v4
	s_mov_b32 s0, 0
	v_xor_b32_e32 v2, v2, v9
	v_mul_f32_e32 v6, v5, v6
	v_fmaak_f32 v7, v5, v7, 0xbf000004
	s_mov_b32 s23, -1
	s_mov_b32 s36, 0
	v_fmac_f32_e32 v3, v3, v6
	v_fma_f32 v5, v5, v7, 1.0
	v_cndmask_b32_e32 v3, v5, v3, vcc_lo
	v_cmp_class_f32_e64 vcc_lo, v1, 0x1f8
	v_xor3_b32 v2, v2, v3, v1
	v_mov_b32_e32 v3, 0x7fc0
	v_cndmask_b32_e32 v1, 0x7fc00000, v2, vcc_lo
	v_bfe_u32 v2, v1, 16, 1
	v_cmp_o_f32_e32 vcc_lo, v1, v1
	v_add3_u32 v2, v1, v2, 0x7fff
	v_add_co_ci_u32_e64 v1, null, s9, 0, s1
	s_and_b32 s1, s29, 0xff
	v_cndmask_b32_sdwa v2, v3, v2, vcc_lo dst_sel:DWORD dst_unused:UNUSED_PAD src0_sel:DWORD src1_sel:WORD_1
	s_cmp_lt_i32 s1, 11
	s_cbranch_scc1 .LBB35_36
; %bb.30:
	s_and_b32 s23, 0xffff, s1
	s_cmp_gt_i32 s23, 25
	s_cbranch_scc0 .LBB35_77
; %bb.31:
	s_cmp_gt_i32 s23, 28
	s_cbranch_scc0 .LBB35_79
; %bb.32:
	;; [unrolled: 3-line block ×4, first 2 shown]
	s_mov_b32 s37, 0
	s_mov_b32 s0, -1
	s_cmp_eq_u32 s23, 46
	s_cbranch_scc0 .LBB35_88
; %bb.35:
	v_and_b32_e32 v3, 0xffff, v2
	s_mov_b32 s36, -1
	s_mov_b32 s0, 0
	global_store_dword v[0:1], v3, off
	s_branch .LBB35_88
.LBB35_36:
	s_and_b32 vcc_lo, exec_lo, s23
	s_cbranch_vccz .LBB35_157
; %bb.37:
	s_and_b32 s1, 0xffff, s1
	s_mov_b32 s23, -1
	s_cmp_lt_i32 s1, 5
	s_cbranch_scc1 .LBB35_58
; %bb.38:
	s_cmp_lt_i32 s1, 8
	s_cbranch_scc1 .LBB35_48
; %bb.39:
	;; [unrolled: 3-line block ×3, first 2 shown]
	s_cmp_gt_i32 s1, 9
	s_cbranch_scc0 .LBB35_42
; %bb.41:
	v_lshlrev_b32_e32 v3, 16, v2
	v_mov_b32_e32 v5, 0
	s_mov_b32 s23, 0
	v_cvt_f64_f32_e32 v[3:4], v3
	v_mov_b32_e32 v6, v5
	global_store_dwordx4 v[0:1], v[3:6], off
.LBB35_42:
	s_andn2_b32 vcc_lo, exec_lo, s23
	s_cbranch_vccnz .LBB35_44
; %bb.43:
	v_lshlrev_b32_e32 v3, 16, v2
	v_mov_b32_e32 v4, 0
	global_store_dwordx2 v[0:1], v[3:4], off
.LBB35_44:
	s_mov_b32 s23, 0
.LBB35_45:
	s_andn2_b32 vcc_lo, exec_lo, s23
	s_cbranch_vccnz .LBB35_47
; %bb.46:
	v_lshlrev_b32_e32 v3, 16, v2
	v_cvt_f16_f32_e32 v3, v3
	v_and_b32_e32 v3, 0xffff, v3
	global_store_dword v[0:1], v3, off
.LBB35_47:
	s_mov_b32 s23, 0
.LBB35_48:
	s_andn2_b32 vcc_lo, exec_lo, s23
	s_cbranch_vccnz .LBB35_57
; %bb.49:
	s_cmp_lt_i32 s1, 6
	s_mov_b32 s23, -1
	s_cbranch_scc1 .LBB35_55
; %bb.50:
	s_cmp_gt_i32 s1, 6
	s_cbranch_scc0 .LBB35_52
; %bb.51:
	v_lshlrev_b32_e32 v3, 16, v2
	s_mov_b32 s23, 0
	v_cvt_f64_f32_e32 v[3:4], v3
	global_store_dwordx2 v[0:1], v[3:4], off
.LBB35_52:
	s_andn2_b32 vcc_lo, exec_lo, s23
	s_cbranch_vccnz .LBB35_54
; %bb.53:
	v_lshlrev_b32_e32 v3, 16, v2
	global_store_dword v[0:1], v3, off
.LBB35_54:
	s_mov_b32 s23, 0
.LBB35_55:
	s_andn2_b32 vcc_lo, exec_lo, s23
	s_cbranch_vccnz .LBB35_57
; %bb.56:
	v_lshlrev_b32_e32 v3, 16, v2
	v_cvt_f16_f32_e32 v3, v3
	global_store_short v[0:1], v3, off
.LBB35_57:
	s_mov_b32 s23, 0
.LBB35_58:
	s_andn2_b32 vcc_lo, exec_lo, s23
	s_cbranch_vccnz .LBB35_74
; %bb.59:
	s_cmp_lt_i32 s1, 2
	s_mov_b32 s23, -1
	s_cbranch_scc1 .LBB35_69
; %bb.60:
	s_cmp_lt_i32 s1, 3
	s_cbranch_scc1 .LBB35_66
; %bb.61:
	s_cmp_gt_i32 s1, 3
	s_cbranch_scc0 .LBB35_63
; %bb.62:
	v_lshlrev_b32_e32 v3, 16, v2
	s_mov_b32 s23, 0
	v_trunc_f32_e32 v3, v3
	v_mul_f32_e64 v4, 0x2f800000, |v3|
	v_ashrrev_i32_e32 v6, 31, v3
	v_floor_f32_e32 v4, v4
	v_fma_f32 v5, 0xcf800000, v4, |v3|
	v_cvt_u32_f32_e32 v4, v4
	v_cvt_u32_f32_e32 v3, v5
	v_xor_b32_e32 v4, v4, v6
	v_xor_b32_e32 v3, v3, v6
	v_sub_co_u32 v3, vcc_lo, v3, v6
	v_sub_co_ci_u32_e64 v4, null, v4, v6, vcc_lo
	global_store_dwordx2 v[0:1], v[3:4], off
.LBB35_63:
	s_andn2_b32 vcc_lo, exec_lo, s23
	s_cbranch_vccnz .LBB35_65
; %bb.64:
	v_lshlrev_b32_e32 v3, 16, v2
	v_cvt_i32_f32_e32 v3, v3
	global_store_dword v[0:1], v3, off
.LBB35_65:
	s_mov_b32 s23, 0
.LBB35_66:
	s_andn2_b32 vcc_lo, exec_lo, s23
	s_cbranch_vccnz .LBB35_68
; %bb.67:
	v_lshlrev_b32_e32 v3, 16, v2
	v_cvt_i32_f32_e32 v3, v3
	global_store_short v[0:1], v3, off
.LBB35_68:
	s_mov_b32 s23, 0
.LBB35_69:
	s_andn2_b32 vcc_lo, exec_lo, s23
	s_cbranch_vccnz .LBB35_74
; %bb.70:
	s_cmp_gt_i32 s1, 0
	s_mov_b32 s1, -1
	s_cbranch_scc0 .LBB35_72
; %bb.71:
	v_lshlrev_b32_e32 v3, 16, v2
	s_mov_b32 s1, 0
	v_cvt_i32_f32_e32 v3, v3
	global_store_byte v[0:1], v3, off
.LBB35_72:
	s_andn2_b32 vcc_lo, exec_lo, s1
	s_cbranch_vccnz .LBB35_74
; %bb.73:
	v_lshlrev_b32_e32 v2, 16, v2
	v_trunc_f32_e32 v2, v2
	v_mul_f32_e64 v3, 0x2f800000, |v2|
	v_floor_f32_e32 v3, v3
	v_fma_f32 v3, 0xcf800000, v3, |v2|
	v_ashrrev_i32_e32 v2, 31, v2
	v_cvt_u32_f32_e32 v3, v3
	v_xor_b32_e32 v3, v3, v2
	v_sub_nc_u32_e32 v2, v3, v2
	global_store_byte v[0:1], v2, off
.LBB35_74:
	s_branch .LBB35_158
.LBB35_75:
	s_mov_b32 s22, 0
	s_mov_b32 s1, 0
                                        ; implicit-def: $vgpr3
	s_cbranch_execnz .LBB35_185
	s_branch .LBB35_219
.LBB35_76:
	s_mov_b32 s23, -1
	s_mov_b32 s22, 0
	s_mov_b32 s1, 0
                                        ; implicit-def: $vgpr3
	s_branch .LBB35_166
.LBB35_77:
	s_mov_b32 s37, -1
	s_branch .LBB35_115
.LBB35_78:
	s_mov_b32 s23, -1
	s_mov_b32 s22, 0
	s_mov_b32 s1, 0
                                        ; implicit-def: $vgpr3
	s_branch .LBB35_161
.LBB35_79:
	s_mov_b32 s37, -1
	s_branch .LBB35_98
.LBB35_80:
	s_mov_b32 s23, -1
	s_mov_b32 s22, 0
	s_branch .LBB35_83
.LBB35_81:
	s_mov_b32 s37, -1
	s_branch .LBB35_94
.LBB35_82:
	s_mov_b32 s22, -1
.LBB35_83:
	s_mov_b32 s1, 0
                                        ; implicit-def: $vgpr3
.LBB35_84:
	s_and_b32 vcc_lo, exec_lo, s23
	s_cbranch_vccz .LBB35_160
; %bb.85:
	s_cmp_eq_u32 s0, 44
	s_cbranch_scc0 .LBB35_159
; %bb.86:
	global_load_ubyte v3, v[1:2], off
	s_mov_b32 s22, 0
	s_mov_b32 s1, -1
	s_waitcnt vmcnt(0)
	v_lshlrev_b32_e32 v4, 23, v3
	v_cmp_ne_u32_e32 vcc_lo, 0xff, v3
	v_cndmask_b32_e32 v4, 0x7f800001, v4, vcc_lo
	v_cmp_ne_u32_e32 vcc_lo, 0, v3
	v_cndmask_b32_e32 v3, 0x400000, v4, vcc_lo
	v_mov_b32_e32 v4, 0x7fc0
	v_cmp_o_f32_e32 vcc_lo, v3, v3
	v_add_nc_u32_e32 v3, 0x7fff, v3
	v_cndmask_b32_sdwa v3, v4, v3, vcc_lo dst_sel:DWORD dst_unused:UNUSED_PAD src0_sel:DWORD src1_sel:WORD_1
	s_branch .LBB35_160
.LBB35_87:
	s_mov_b32 s37, -1
.LBB35_88:
	s_and_b32 vcc_lo, exec_lo, s37
	s_cbranch_vccz .LBB35_93
; %bb.89:
	s_cmp_eq_u32 s23, 44
	s_mov_b32 s0, -1
	s_cbranch_scc0 .LBB35_93
; %bb.90:
	v_and_b32_e32 v3, 0xffff, v2
	v_mov_b32_e32 v4, 0xff
	s_mov_b32 s36, exec_lo
	v_bfe_u32 v5, v3, 7, 8
	v_cmpx_ne_u32_e32 0xff, v5
	s_cbranch_execz .LBB35_92
; %bb.91:
	v_lshlrev_b32_e32 v4, 16, v3
	v_and_b32_e32 v6, 64, v3
	v_lshrrev_b32_e32 v3, 7, v3
	v_and_or_b32 v4, 0x3f0000, v4, v5
	v_cmp_ne_u32_e32 vcc_lo, 0, v6
	v_cmp_ne_u32_e64 s0, 0, v4
	s_and_b32 s0, vcc_lo, s0
	v_cndmask_b32_e64 v4, 0, 1, s0
	v_add_nc_u32_e32 v4, v3, v4
.LBB35_92:
	s_or_b32 exec_lo, exec_lo, s36
	s_mov_b32 s36, -1
	s_mov_b32 s0, 0
	global_store_byte v[0:1], v4, off
.LBB35_93:
	s_mov_b32 s37, 0
.LBB35_94:
	s_and_b32 vcc_lo, exec_lo, s37
	s_cbranch_vccz .LBB35_97
; %bb.95:
	s_cmp_eq_u32 s23, 29
	s_mov_b32 s0, -1
	s_cbranch_scc0 .LBB35_97
; %bb.96:
	v_lshlrev_b32_e32 v3, 16, v2
	s_mov_b32 s36, -1
	s_mov_b32 s0, 0
	s_mov_b32 s37, 0
	v_trunc_f32_e32 v3, v3
	v_mul_f32_e32 v4, 0x2f800000, v3
	v_floor_f32_e32 v4, v4
	v_fmamk_f32 v3, v4, 0xcf800000, v3
	v_cvt_u32_f32_e32 v4, v4
	v_cvt_u32_f32_e32 v3, v3
	global_store_dwordx2 v[0:1], v[3:4], off
	s_branch .LBB35_98
.LBB35_97:
	s_mov_b32 s37, 0
.LBB35_98:
	s_and_b32 vcc_lo, exec_lo, s37
	s_cbranch_vccz .LBB35_114
; %bb.99:
	s_cmp_lt_i32 s23, 27
	s_mov_b32 s36, -1
	s_cbranch_scc1 .LBB35_105
; %bb.100:
	s_cmp_gt_i32 s23, 27
	s_cbranch_scc0 .LBB35_102
; %bb.101:
	v_lshlrev_b32_e32 v3, 16, v2
	s_mov_b32 s36, 0
	v_cvt_u32_f32_e32 v3, v3
	global_store_dword v[0:1], v3, off
.LBB35_102:
	s_andn2_b32 vcc_lo, exec_lo, s36
	s_cbranch_vccnz .LBB35_104
; %bb.103:
	v_lshlrev_b32_e32 v3, 16, v2
	v_cvt_u32_f32_e32 v3, v3
	global_store_short v[0:1], v3, off
.LBB35_104:
	s_mov_b32 s36, 0
.LBB35_105:
	s_andn2_b32 vcc_lo, exec_lo, s36
	s_cbranch_vccnz .LBB35_113
; %bb.106:
	v_lshlrev_b32_e32 v5, 16, v2
	v_mov_b32_e32 v6, 0x80
	s_mov_b32 s36, exec_lo
	v_and_b32_e32 v4, 0x7fffffff, v5
	v_cmpx_gt_u32_e32 0x43800000, v4
	s_cbranch_execz .LBB35_112
; %bb.107:
	v_and_b32_e32 v3, 0xffff, v2
	v_cmp_lt_u32_e32 vcc_lo, 0x3bffffff, v4
	s_mov_b32 s37, 0
                                        ; implicit-def: $vgpr4
	s_and_saveexec_b32 s40, vcc_lo
	s_xor_b32 s40, exec_lo, s40
	s_cbranch_execz .LBB35_354
; %bb.108:
	v_bfe_u32 v4, v3, 4, 1
	s_mov_b32 s37, exec_lo
	v_add3_u32 v4, v5, v4, 0x487ffff
                                        ; implicit-def: $vgpr5
	v_lshrrev_b32_e32 v4, 20, v4
	s_andn2_saveexec_b32 s40, s40
	s_cbranch_execnz .LBB35_355
.LBB35_109:
	s_or_b32 exec_lo, exec_lo, s40
	v_mov_b32_e32 v6, 0
	s_and_saveexec_b32 s40, s37
.LBB35_110:
	v_lshrrev_b32_e32 v3, 8, v3
	v_and_or_b32 v6, 0x80, v3, v4
.LBB35_111:
	s_or_b32 exec_lo, exec_lo, s40
.LBB35_112:
	s_or_b32 exec_lo, exec_lo, s36
	global_store_byte v[0:1], v6, off
.LBB35_113:
	s_mov_b32 s36, -1
.LBB35_114:
	s_mov_b32 s37, 0
.LBB35_115:
	s_and_b32 vcc_lo, exec_lo, s37
	s_cbranch_vccz .LBB35_156
; %bb.116:
	s_cmp_gt_i32 s23, 22
	s_mov_b32 s37, -1
	s_cbranch_scc0 .LBB35_148
; %bb.117:
	s_cmp_lt_i32 s23, 24
	s_mov_b32 s36, -1
	s_cbranch_scc1 .LBB35_137
; %bb.118:
	s_cmp_gt_i32 s23, 24
	s_cbranch_scc0 .LBB35_126
; %bb.119:
	v_lshlrev_b32_e32 v5, 16, v2
	v_mov_b32_e32 v6, 0x80
	s_mov_b32 s36, exec_lo
	v_and_b32_e32 v4, 0x7fffffff, v5
	v_cmpx_gt_u32_e32 0x47800000, v4
	s_cbranch_execz .LBB35_125
; %bb.120:
	v_and_b32_e32 v3, 0xffff, v2
	v_cmp_lt_u32_e32 vcc_lo, 0x37ffffff, v4
	s_mov_b32 s37, 0
                                        ; implicit-def: $vgpr4
	s_and_saveexec_b32 s40, vcc_lo
	s_xor_b32 s40, exec_lo, s40
	s_cbranch_execz .LBB35_358
; %bb.121:
	v_bfe_u32 v4, v3, 5, 1
	s_mov_b32 s37, exec_lo
	v_add3_u32 v4, v5, v4, 0x88fffff
                                        ; implicit-def: $vgpr5
	v_lshrrev_b32_e32 v4, 21, v4
	s_andn2_saveexec_b32 s40, s40
	s_cbranch_execnz .LBB35_359
.LBB35_122:
	s_or_b32 exec_lo, exec_lo, s40
	v_mov_b32_e32 v6, 0
	s_and_saveexec_b32 s40, s37
.LBB35_123:
	v_lshrrev_b32_e32 v3, 8, v3
	v_and_or_b32 v6, 0x80, v3, v4
.LBB35_124:
	s_or_b32 exec_lo, exec_lo, s40
.LBB35_125:
	s_or_b32 exec_lo, exec_lo, s36
	s_mov_b32 s36, 0
	global_store_byte v[0:1], v6, off
.LBB35_126:
	s_and_b32 vcc_lo, exec_lo, s36
	s_cbranch_vccz .LBB35_136
; %bb.127:
	v_lshlrev_b32_e32 v5, 16, v2
	v_and_b32_e32 v3, 0xffff, v2
	s_mov_b32 s36, exec_lo
                                        ; implicit-def: $vgpr4
	v_and_b32_e32 v6, 0x7fffffff, v5
	v_cmpx_gt_u32_e32 0x43f00000, v6
	s_xor_b32 s36, exec_lo, s36
	s_cbranch_execz .LBB35_133
; %bb.128:
	s_mov_b32 s37, exec_lo
                                        ; implicit-def: $vgpr4
	v_cmpx_lt_u32_e32 0x3c7fffff, v6
	s_xor_b32 s37, exec_lo, s37
; %bb.129:
	v_bfe_u32 v4, v3, 4, 1
	v_add3_u32 v4, v5, v4, 0x407ffff
	v_and_b32_e32 v5, 0xff00000, v4
	v_lshrrev_b32_e32 v4, 20, v4
	v_cmp_ne_u32_e32 vcc_lo, 0x7f00000, v5
                                        ; implicit-def: $vgpr5
	v_cndmask_b32_e32 v4, 0x7e, v4, vcc_lo
; %bb.130:
	s_andn2_saveexec_b32 s37, s37
; %bb.131:
	v_add_f32_e64 v4, 0x46800000, |v5|
; %bb.132:
	s_or_b32 exec_lo, exec_lo, s37
                                        ; implicit-def: $vgpr6
.LBB35_133:
	s_andn2_saveexec_b32 s36, s36
; %bb.134:
	v_mov_b32_e32 v4, 0x7f
	v_cmp_lt_u32_e32 vcc_lo, 0x7f800000, v6
	v_cndmask_b32_e32 v4, 0x7e, v4, vcc_lo
; %bb.135:
	s_or_b32 exec_lo, exec_lo, s36
	v_lshrrev_b32_e32 v3, 8, v3
	v_and_or_b32 v3, 0x80, v3, v4
	global_store_byte v[0:1], v3, off
.LBB35_136:
	s_mov_b32 s36, 0
.LBB35_137:
	s_andn2_b32 vcc_lo, exec_lo, s36
	s_cbranch_vccnz .LBB35_147
; %bb.138:
	v_lshlrev_b32_e32 v5, 16, v2
	v_and_b32_e32 v3, 0xffff, v2
	s_mov_b32 s36, exec_lo
                                        ; implicit-def: $vgpr4
	v_and_b32_e32 v6, 0x7fffffff, v5
	v_cmpx_gt_u32_e32 0x47800000, v6
	s_xor_b32 s36, exec_lo, s36
	s_cbranch_execz .LBB35_144
; %bb.139:
	s_mov_b32 s37, exec_lo
                                        ; implicit-def: $vgpr4
	v_cmpx_lt_u32_e32 0x387fffff, v6
	s_xor_b32 s37, exec_lo, s37
; %bb.140:
	v_bfe_u32 v4, v3, 5, 1
	v_add3_u32 v4, v5, v4, 0x80fffff
                                        ; implicit-def: $vgpr5
	v_lshrrev_b32_e32 v4, 21, v4
; %bb.141:
	s_andn2_saveexec_b32 s37, s37
; %bb.142:
	v_add_f32_e64 v4, 0x43000000, |v5|
; %bb.143:
	s_or_b32 exec_lo, exec_lo, s37
                                        ; implicit-def: $vgpr6
.LBB35_144:
	s_andn2_saveexec_b32 s36, s36
; %bb.145:
	v_mov_b32_e32 v4, 0x7f
	v_cmp_lt_u32_e32 vcc_lo, 0x7f800000, v6
	v_cndmask_b32_e32 v4, 0x7c, v4, vcc_lo
; %bb.146:
	s_or_b32 exec_lo, exec_lo, s36
	v_lshrrev_b32_e32 v3, 8, v3
	v_and_or_b32 v3, 0x80, v3, v4
	global_store_byte v[0:1], v3, off
.LBB35_147:
	s_mov_b32 s37, 0
	s_mov_b32 s36, -1
.LBB35_148:
	s_andn2_b32 vcc_lo, exec_lo, s37
	s_cbranch_vccnz .LBB35_156
; %bb.149:
	s_cmp_gt_i32 s23, 14
	s_mov_b32 s37, -1
	s_cbranch_scc0 .LBB35_153
; %bb.150:
	s_cmp_eq_u32 s23, 15
	s_mov_b32 s0, -1
	s_cbranch_scc0 .LBB35_152
; %bb.151:
	s_mov_b32 s36, -1
	s_mov_b32 s0, 0
	global_store_short v[0:1], v2, off
.LBB35_152:
	s_mov_b32 s37, 0
.LBB35_153:
	s_and_b32 vcc_lo, exec_lo, s37
	s_cbranch_vccz .LBB35_156
; %bb.154:
	s_cmp_eq_u32 s23, 11
	s_mov_b32 s0, -1
	s_cbranch_scc0 .LBB35_156
; %bb.155:
	v_and_b32_e32 v3, 0x7fff, v2
	s_mov_b32 s0, 0
	s_mov_b32 s36, -1
	v_cmp_ne_u16_e32 vcc_lo, 0, v3
	v_cndmask_b32_e64 v3, 0, 1, vcc_lo
	global_store_byte v[0:1], v3, off
.LBB35_156:
.LBB35_157:
	s_andn2_b32 vcc_lo, exec_lo, s36
	s_cbranch_vccnz .LBB35_268
.LBB35_158:
	v_add_nc_u32_e32 v8, 0x80, v8
	s_mov_b32 s1, -1
	s_branch .LBB35_269
.LBB35_159:
	s_mov_b32 s22, -1
                                        ; implicit-def: $vgpr3
.LBB35_160:
	s_mov_b32 s23, 0
.LBB35_161:
	s_and_b32 vcc_lo, exec_lo, s23
	s_cbranch_vccz .LBB35_165
; %bb.162:
	s_cmp_eq_u32 s0, 29
	s_cbranch_scc0 .LBB35_164
; %bb.163:
	global_load_dwordx2 v[3:4], v[1:2], off
	s_mov_b32 s1, -1
	s_mov_b32 s22, 0
	s_mov_b32 s23, 0
	s_waitcnt vmcnt(0)
	v_ffbh_u32_e32 v5, v4
	v_min_u32_e32 v5, 32, v5
	v_lshlrev_b64 v[3:4], v5, v[3:4]
	v_min_u32_e32 v3, 1, v3
	v_or_b32_e32 v3, v4, v3
	v_sub_nc_u32_e32 v4, 32, v5
	v_cvt_f32_u32_e32 v3, v3
	v_ldexp_f32 v3, v3, v4
	v_bfe_u32 v4, v3, 16, 1
	v_add3_u32 v3, v3, v4, 0x7fff
	v_lshrrev_b32_e32 v3, 16, v3
	s_branch .LBB35_166
.LBB35_164:
	s_mov_b32 s22, -1
                                        ; implicit-def: $vgpr3
.LBB35_165:
	s_mov_b32 s23, 0
.LBB35_166:
	s_and_b32 vcc_lo, exec_lo, s23
	s_cbranch_vccz .LBB35_184
; %bb.167:
	s_cmp_lt_i32 s0, 27
	s_cbranch_scc1 .LBB35_170
; %bb.168:
	s_cmp_gt_i32 s0, 27
	s_cbranch_scc0 .LBB35_171
; %bb.169:
	global_load_dword v3, v[1:2], off
	s_mov_b32 s1, 0
	s_waitcnt vmcnt(0)
	v_cvt_f32_u32_e32 v3, v3
	v_bfe_u32 v4, v3, 16, 1
	v_add3_u32 v3, v3, v4, 0x7fff
	v_lshrrev_b32_e32 v3, 16, v3
	s_branch .LBB35_172
.LBB35_170:
	s_mov_b32 s1, -1
                                        ; implicit-def: $vgpr3
	s_branch .LBB35_175
.LBB35_171:
	s_mov_b32 s1, -1
                                        ; implicit-def: $vgpr3
.LBB35_172:
	s_andn2_b32 vcc_lo, exec_lo, s1
	s_cbranch_vccnz .LBB35_174
; %bb.173:
	global_load_ushort v3, v[1:2], off
	s_waitcnt vmcnt(0)
	v_cvt_f32_u32_e32 v3, v3
	v_bfe_u32 v4, v3, 16, 1
	v_add3_u32 v3, v3, v4, 0x7fff
	v_lshrrev_b32_e32 v3, 16, v3
.LBB35_174:
	s_mov_b32 s1, 0
.LBB35_175:
	s_andn2_b32 vcc_lo, exec_lo, s1
	s_cbranch_vccnz .LBB35_183
; %bb.176:
	global_load_ubyte v3, v[1:2], off
	s_mov_b32 s1, 0
	s_mov_b32 s23, exec_lo
	s_waitcnt vmcnt(0)
	v_cmpx_lt_i16_e32 0x7f, v3
	s_xor_b32 s23, exec_lo, s23
	s_cbranch_execz .LBB35_196
; %bb.177:
	s_mov_b32 s1, -1
	s_mov_b32 s36, exec_lo
	v_cmpx_eq_u16_e32 0x80, v3
; %bb.178:
	s_xor_b32 s1, exec_lo, -1
; %bb.179:
	s_or_b32 exec_lo, exec_lo, s36
	s_and_b32 s1, s1, exec_lo
	s_or_saveexec_b32 s23, s23
	v_mov_b32_e32 v4, 0x7f800001
	s_xor_b32 exec_lo, exec_lo, s23
	s_cbranch_execnz .LBB35_197
.LBB35_180:
	s_or_b32 exec_lo, exec_lo, s23
	s_and_saveexec_b32 s23, s1
	s_cbranch_execz .LBB35_182
.LBB35_181:
	v_and_b32_e32 v4, 0xffff, v3
	v_lshlrev_b32_e32 v3, 24, v3
	v_and_b32_e32 v5, 7, v4
	v_bfe_u32 v9, v4, 3, 4
	v_and_b32_e32 v3, 0x80000000, v3
	v_ffbh_u32_e32 v6, v5
	v_cmp_eq_u32_e32 vcc_lo, 0, v9
	v_min_u32_e32 v6, 32, v6
	v_subrev_nc_u32_e32 v7, 28, v6
	v_sub_nc_u32_e32 v6, 29, v6
	v_lshlrev_b32_e32 v4, v7, v4
	v_cndmask_b32_e32 v6, v9, v6, vcc_lo
	v_and_b32_e32 v4, 7, v4
	v_cndmask_b32_e32 v4, v5, v4, vcc_lo
	v_lshl_add_u32 v5, v6, 23, 0x3b800000
	v_lshlrev_b32_e32 v4, 20, v4
	v_or3_b32 v4, v3, v5, v4
.LBB35_182:
	s_or_b32 exec_lo, exec_lo, s23
	v_bfe_u32 v3, v4, 16, 1
	v_cmp_o_f32_e32 vcc_lo, v4, v4
	v_add3_u32 v3, v4, v3, 0x7fff
	v_mov_b32_e32 v4, 0x7fc0
	v_cndmask_b32_sdwa v3, v4, v3, vcc_lo dst_sel:DWORD dst_unused:UNUSED_PAD src0_sel:DWORD src1_sel:WORD_1
.LBB35_183:
	s_mov_b32 s1, -1
.LBB35_184:
	s_branch .LBB35_219
.LBB35_185:
	s_cmp_gt_i32 s0, 22
	s_cbranch_scc0 .LBB35_195
; %bb.186:
	s_cmp_lt_i32 s0, 24
	s_cbranch_scc1 .LBB35_198
; %bb.187:
	s_cmp_gt_i32 s0, 24
	s_cbranch_scc0 .LBB35_199
; %bb.188:
	global_load_ubyte v3, v[1:2], off
	s_mov_b32 s1, 0
	s_mov_b32 s23, exec_lo
	s_waitcnt vmcnt(0)
	v_cmpx_lt_i16_e32 0x7f, v3
	s_xor_b32 s23, exec_lo, s23
	s_cbranch_execz .LBB35_211
; %bb.189:
	s_mov_b32 s1, -1
	s_mov_b32 s36, exec_lo
	v_cmpx_eq_u16_e32 0x80, v3
; %bb.190:
	s_xor_b32 s1, exec_lo, -1
; %bb.191:
	s_or_b32 exec_lo, exec_lo, s36
	s_and_b32 s1, s1, exec_lo
	s_or_saveexec_b32 s23, s23
	v_mov_b32_e32 v4, 0x7f800001
	s_xor_b32 exec_lo, exec_lo, s23
	s_cbranch_execnz .LBB35_212
.LBB35_192:
	s_or_b32 exec_lo, exec_lo, s23
	s_and_saveexec_b32 s23, s1
	s_cbranch_execz .LBB35_194
.LBB35_193:
	v_and_b32_e32 v4, 0xffff, v3
	v_lshlrev_b32_e32 v3, 24, v3
	v_and_b32_e32 v5, 3, v4
	v_bfe_u32 v9, v4, 2, 5
	v_and_b32_e32 v3, 0x80000000, v3
	v_ffbh_u32_e32 v6, v5
	v_cmp_eq_u32_e32 vcc_lo, 0, v9
	v_min_u32_e32 v6, 32, v6
	v_subrev_nc_u32_e32 v7, 29, v6
	v_sub_nc_u32_e32 v6, 30, v6
	v_lshlrev_b32_e32 v4, v7, v4
	v_cndmask_b32_e32 v6, v9, v6, vcc_lo
	v_and_b32_e32 v4, 3, v4
	v_cndmask_b32_e32 v4, v5, v4, vcc_lo
	v_lshl_add_u32 v5, v6, 23, 0x37800000
	v_lshlrev_b32_e32 v4, 21, v4
	v_or3_b32 v4, v3, v5, v4
.LBB35_194:
	s_or_b32 exec_lo, exec_lo, s23
	v_bfe_u32 v3, v4, 16, 1
	v_cmp_o_f32_e32 vcc_lo, v4, v4
	s_mov_b32 s1, 0
	v_add3_u32 v3, v4, v3, 0x7fff
	v_mov_b32_e32 v4, 0x7fc0
	v_cndmask_b32_sdwa v3, v4, v3, vcc_lo dst_sel:DWORD dst_unused:UNUSED_PAD src0_sel:DWORD src1_sel:WORD_1
	s_branch .LBB35_200
.LBB35_195:
	s_mov_b32 s23, -1
                                        ; implicit-def: $vgpr3
	s_branch .LBB35_206
.LBB35_196:
	s_or_saveexec_b32 s23, s23
	v_mov_b32_e32 v4, 0x7f800001
	s_xor_b32 exec_lo, exec_lo, s23
	s_cbranch_execz .LBB35_180
.LBB35_197:
	v_cmp_ne_u16_e32 vcc_lo, 0, v3
	v_mov_b32_e32 v4, 0
	s_andn2_b32 s1, s1, exec_lo
	s_and_b32 s36, vcc_lo, exec_lo
	s_or_b32 s1, s1, s36
	s_or_b32 exec_lo, exec_lo, s23
	s_and_saveexec_b32 s23, s1
	s_cbranch_execnz .LBB35_181
	s_branch .LBB35_182
.LBB35_198:
	s_mov_b32 s1, -1
                                        ; implicit-def: $vgpr3
	s_branch .LBB35_203
.LBB35_199:
	s_mov_b32 s1, -1
                                        ; implicit-def: $vgpr3
.LBB35_200:
	s_and_b32 vcc_lo, exec_lo, s1
	s_cbranch_vccz .LBB35_202
; %bb.201:
	global_load_ubyte v3, v[1:2], off
	s_waitcnt vmcnt(0)
	v_lshlrev_b32_e32 v3, 24, v3
	v_and_b32_e32 v4, 0x7f000000, v3
	v_ffbh_u32_e32 v5, v4
	v_add_nc_u32_e32 v7, 0x1000000, v4
	v_cmp_ne_u32_e32 vcc_lo, 0, v4
	v_min_u32_e32 v5, 32, v5
	v_sub_nc_u32_e64 v5, v5, 4 clamp
	v_lshlrev_b32_e32 v6, v5, v4
	v_lshlrev_b32_e32 v5, 23, v5
	v_lshrrev_b32_e32 v6, 4, v6
	v_sub_nc_u32_e32 v5, v6, v5
	v_ashrrev_i32_e32 v6, 8, v7
	v_add_nc_u32_e32 v5, 0x3c000000, v5
	v_and_or_b32 v5, 0x7f800000, v6, v5
	v_cndmask_b32_e32 v4, 0, v5, vcc_lo
	v_and_or_b32 v3, 0x80000000, v3, v4
	v_bfe_u32 v4, v4, 16, 1
	v_cmp_o_f32_e32 vcc_lo, v3, v3
	v_add3_u32 v3, v3, v4, 0x7fff
	v_mov_b32_e32 v4, 0x7fc0
	v_cndmask_b32_sdwa v3, v4, v3, vcc_lo dst_sel:DWORD dst_unused:UNUSED_PAD src0_sel:DWORD src1_sel:WORD_1
.LBB35_202:
	s_mov_b32 s1, 0
.LBB35_203:
	s_andn2_b32 vcc_lo, exec_lo, s1
	s_cbranch_vccnz .LBB35_205
; %bb.204:
	global_load_ubyte v3, v[1:2], off
	s_waitcnt vmcnt(0)
	v_lshlrev_b32_e32 v4, 25, v3
	v_lshlrev_b16 v3, 8, v3
	v_lshrrev_b32_e32 v5, 4, v4
	v_and_or_b32 v6, 0x7f00, v3, 0.5
	v_cmp_gt_u32_e32 vcc_lo, 0x8000000, v4
	v_bfe_i32 v3, v3, 0, 16
	v_or_b32_e32 v5, 0x70000000, v5
	v_add_f32_e32 v6, -0.5, v6
	v_mul_f32_e32 v5, 0x7800000, v5
	v_cndmask_b32_e32 v4, v5, v6, vcc_lo
	v_and_or_b32 v3, 0x80000000, v3, v4
	v_bfe_u32 v4, v4, 16, 1
	v_cmp_o_f32_e32 vcc_lo, v3, v3
	v_add3_u32 v3, v3, v4, 0x7fff
	v_mov_b32_e32 v4, 0x7fc0
	v_cndmask_b32_sdwa v3, v4, v3, vcc_lo dst_sel:DWORD dst_unused:UNUSED_PAD src0_sel:DWORD src1_sel:WORD_1
.LBB35_205:
	s_mov_b32 s23, 0
	s_mov_b32 s1, -1
.LBB35_206:
	s_andn2_b32 vcc_lo, exec_lo, s23
	s_cbranch_vccnz .LBB35_219
; %bb.207:
	s_cmp_gt_i32 s0, 14
	s_cbranch_scc0 .LBB35_210
; %bb.208:
	s_cmp_eq_u32 s0, 15
	s_cbranch_scc0 .LBB35_213
; %bb.209:
	global_load_ushort v3, v[1:2], off
	s_mov_b32 s1, -1
	s_mov_b32 s22, 0
	s_branch .LBB35_214
.LBB35_210:
	s_mov_b32 s23, -1
                                        ; implicit-def: $vgpr3
	s_branch .LBB35_215
.LBB35_211:
	s_or_saveexec_b32 s23, s23
	v_mov_b32_e32 v4, 0x7f800001
	s_xor_b32 exec_lo, exec_lo, s23
	s_cbranch_execz .LBB35_192
.LBB35_212:
	v_cmp_ne_u16_e32 vcc_lo, 0, v3
	v_mov_b32_e32 v4, 0
	s_andn2_b32 s1, s1, exec_lo
	s_and_b32 s36, vcc_lo, exec_lo
	s_or_b32 s1, s1, s36
	s_or_b32 exec_lo, exec_lo, s23
	s_and_saveexec_b32 s23, s1
	s_cbranch_execnz .LBB35_193
	s_branch .LBB35_194
.LBB35_213:
	s_mov_b32 s22, -1
                                        ; implicit-def: $vgpr3
.LBB35_214:
	s_mov_b32 s23, 0
.LBB35_215:
	s_and_b32 vcc_lo, exec_lo, s23
	s_cbranch_vccz .LBB35_219
; %bb.216:
	s_cmp_eq_u32 s0, 11
	s_cbranch_scc0 .LBB35_218
; %bb.217:
	global_load_ubyte v3, v[1:2], off
	s_mov_b32 s22, 0
	s_mov_b32 s1, -1
	s_waitcnt vmcnt(0)
	v_cmp_ne_u16_e32 vcc_lo, 0, v3
	v_cndmask_b32_e64 v3, 0, 1.0, vcc_lo
	v_lshrrev_b32_e32 v3, 16, v3
	s_branch .LBB35_219
.LBB35_218:
	s_mov_b32 s22, -1
                                        ; implicit-def: $vgpr3
.LBB35_219:
	s_branch .LBB35_24
.LBB35_220:
	s_cmp_lt_i32 s0, 5
	s_cbranch_scc1 .LBB35_225
; %bb.221:
	s_cmp_lt_i32 s0, 8
	s_cbranch_scc1 .LBB35_226
; %bb.222:
	;; [unrolled: 3-line block ×3, first 2 shown]
	s_cmp_gt_i32 s0, 9
	s_cbranch_scc0 .LBB35_228
; %bb.224:
	global_load_dwordx2 v[3:4], v[1:2], off
	s_mov_b32 s1, 0
	s_waitcnt vmcnt(0)
	v_cvt_f32_f64_e32 v3, v[3:4]
	v_bfe_u32 v4, v3, 16, 1
	v_cmp_o_f32_e32 vcc_lo, v3, v3
	v_add3_u32 v3, v3, v4, 0x7fff
	v_mov_b32_e32 v4, 0x7fc0
	v_cndmask_b32_sdwa v3, v4, v3, vcc_lo dst_sel:DWORD dst_unused:UNUSED_PAD src0_sel:DWORD src1_sel:WORD_1
	s_branch .LBB35_229
.LBB35_225:
                                        ; implicit-def: $vgpr3
	s_branch .LBB35_247
.LBB35_226:
	s_mov_b32 s1, -1
                                        ; implicit-def: $vgpr3
	s_branch .LBB35_235
.LBB35_227:
	s_mov_b32 s1, -1
                                        ; implicit-def: $vgpr3
	s_branch .LBB35_232
.LBB35_228:
	s_mov_b32 s1, -1
                                        ; implicit-def: $vgpr3
.LBB35_229:
	s_andn2_b32 vcc_lo, exec_lo, s1
	s_cbranch_vccnz .LBB35_231
; %bb.230:
	global_load_dword v3, v[1:2], off
	s_waitcnt vmcnt(0)
	v_bfe_u32 v4, v3, 16, 1
	v_cmp_o_f32_e32 vcc_lo, v3, v3
	v_add3_u32 v3, v3, v4, 0x7fff
	v_mov_b32_e32 v4, 0x7fc0
	v_cndmask_b32_sdwa v3, v4, v3, vcc_lo dst_sel:DWORD dst_unused:UNUSED_PAD src0_sel:DWORD src1_sel:WORD_1
.LBB35_231:
	s_mov_b32 s1, 0
.LBB35_232:
	s_andn2_b32 vcc_lo, exec_lo, s1
	s_cbranch_vccnz .LBB35_234
; %bb.233:
	global_load_dword v3, v[1:2], off
	s_waitcnt vmcnt(0)
	v_cvt_f32_f16_e32 v4, v3
	v_cmp_o_f16_e32 vcc_lo, v3, v3
	v_bfe_u32 v5, v4, 16, 1
	v_add3_u32 v3, v4, v5, 0x7fff
	v_mov_b32_e32 v4, 0x7fc0
	v_cndmask_b32_sdwa v3, v4, v3, vcc_lo dst_sel:DWORD dst_unused:UNUSED_PAD src0_sel:DWORD src1_sel:WORD_1
.LBB35_234:
	s_mov_b32 s1, 0
.LBB35_235:
	s_andn2_b32 vcc_lo, exec_lo, s1
	s_cbranch_vccnz .LBB35_246
; %bb.236:
	s_cmp_lt_i32 s0, 6
	s_cbranch_scc1 .LBB35_239
; %bb.237:
	s_cmp_gt_i32 s0, 6
	s_cbranch_scc0 .LBB35_240
; %bb.238:
	global_load_dwordx2 v[3:4], v[1:2], off
	s_mov_b32 s1, 0
	s_waitcnt vmcnt(0)
	v_cvt_f32_f64_e32 v3, v[3:4]
	v_bfe_u32 v4, v3, 16, 1
	v_cmp_o_f32_e32 vcc_lo, v3, v3
	v_add3_u32 v3, v3, v4, 0x7fff
	v_mov_b32_e32 v4, 0x7fc0
	v_cndmask_b32_sdwa v3, v4, v3, vcc_lo dst_sel:DWORD dst_unused:UNUSED_PAD src0_sel:DWORD src1_sel:WORD_1
	s_branch .LBB35_241
.LBB35_239:
	s_mov_b32 s1, -1
                                        ; implicit-def: $vgpr3
	s_branch .LBB35_244
.LBB35_240:
	s_mov_b32 s1, -1
                                        ; implicit-def: $vgpr3
.LBB35_241:
	s_andn2_b32 vcc_lo, exec_lo, s1
	s_cbranch_vccnz .LBB35_243
; %bb.242:
	global_load_dword v3, v[1:2], off
	s_waitcnt vmcnt(0)
	v_bfe_u32 v4, v3, 16, 1
	v_cmp_o_f32_e32 vcc_lo, v3, v3
	v_add3_u32 v3, v3, v4, 0x7fff
	v_mov_b32_e32 v4, 0x7fc0
	v_cndmask_b32_sdwa v3, v4, v3, vcc_lo dst_sel:DWORD dst_unused:UNUSED_PAD src0_sel:DWORD src1_sel:WORD_1
.LBB35_243:
	s_mov_b32 s1, 0
.LBB35_244:
	s_andn2_b32 vcc_lo, exec_lo, s1
	s_cbranch_vccnz .LBB35_246
; %bb.245:
	global_load_ushort v3, v[1:2], off
	s_waitcnt vmcnt(0)
	v_cvt_f32_f16_e32 v4, v3
	v_cmp_o_f16_e32 vcc_lo, v3, v3
	v_bfe_u32 v5, v4, 16, 1
	v_add3_u32 v3, v4, v5, 0x7fff
	v_mov_b32_e32 v4, 0x7fc0
	v_cndmask_b32_sdwa v3, v4, v3, vcc_lo dst_sel:DWORD dst_unused:UNUSED_PAD src0_sel:DWORD src1_sel:WORD_1
.LBB35_246:
	s_cbranch_execnz .LBB35_266
.LBB35_247:
	s_cmp_lt_i32 s0, 2
	s_cbranch_scc1 .LBB35_251
; %bb.248:
	s_cmp_lt_i32 s0, 3
	s_cbranch_scc1 .LBB35_252
; %bb.249:
	s_cmp_gt_i32 s0, 3
	s_cbranch_scc0 .LBB35_253
; %bb.250:
	global_load_dwordx2 v[3:4], v[1:2], off
	s_mov_b32 s1, 0
	s_waitcnt vmcnt(0)
	v_xor_b32_e32 v5, v3, v4
	v_ffbh_i32_e32 v6, v4
	v_ashrrev_i32_e32 v5, 31, v5
	v_add_nc_u32_e32 v6, -1, v6
	v_add_nc_u32_e32 v5, 32, v5
	v_min_u32_e32 v5, v6, v5
	v_lshlrev_b64 v[3:4], v5, v[3:4]
	v_min_u32_e32 v3, 1, v3
	v_or_b32_e32 v3, v4, v3
	v_sub_nc_u32_e32 v4, 32, v5
	v_cvt_f32_i32_e32 v3, v3
	v_ldexp_f32 v3, v3, v4
	v_bfe_u32 v4, v3, 16, 1
	v_add3_u32 v3, v3, v4, 0x7fff
	v_lshrrev_b32_e32 v3, 16, v3
	s_branch .LBB35_254
.LBB35_251:
	s_mov_b32 s1, -1
                                        ; implicit-def: $vgpr3
	s_branch .LBB35_260
.LBB35_252:
	s_mov_b32 s1, -1
                                        ; implicit-def: $vgpr3
	s_branch .LBB35_257
.LBB35_253:
	s_mov_b32 s1, -1
                                        ; implicit-def: $vgpr3
.LBB35_254:
	s_andn2_b32 vcc_lo, exec_lo, s1
	s_cbranch_vccnz .LBB35_256
; %bb.255:
	global_load_dword v3, v[1:2], off
	s_waitcnt vmcnt(0)
	v_cvt_f32_i32_e32 v3, v3
	v_bfe_u32 v4, v3, 16, 1
	v_add3_u32 v3, v3, v4, 0x7fff
	v_lshrrev_b32_e32 v3, 16, v3
.LBB35_256:
	s_mov_b32 s1, 0
.LBB35_257:
	s_andn2_b32 vcc_lo, exec_lo, s1
	s_cbranch_vccnz .LBB35_259
; %bb.258:
	global_load_sshort v3, v[1:2], off
	s_waitcnt vmcnt(0)
	v_cvt_f32_i32_e32 v3, v3
	v_bfe_u32 v4, v3, 16, 1
	v_add3_u32 v3, v3, v4, 0x7fff
	v_lshrrev_b32_e32 v3, 16, v3
.LBB35_259:
	s_mov_b32 s1, 0
.LBB35_260:
	s_andn2_b32 vcc_lo, exec_lo, s1
	s_cbranch_vccnz .LBB35_266
; %bb.261:
	s_cmp_gt_i32 s0, 0
	s_mov_b32 s0, 0
	s_cbranch_scc0 .LBB35_263
; %bb.262:
	global_load_sbyte v3, v[1:2], off
	s_waitcnt vmcnt(0)
	v_cvt_f32_i32_e32 v3, v3
	v_bfe_u32 v4, v3, 16, 1
	v_add3_u32 v3, v3, v4, 0x7fff
	v_lshrrev_b32_e32 v3, 16, v3
	s_branch .LBB35_264
.LBB35_263:
	s_mov_b32 s0, -1
                                        ; implicit-def: $vgpr3
.LBB35_264:
	s_andn2_b32 vcc_lo, exec_lo, s0
	s_cbranch_vccnz .LBB35_266
; %bb.265:
	global_load_ubyte v1, v[1:2], off
	s_waitcnt vmcnt(0)
	v_cvt_f32_ubyte0_e32 v1, v1
	v_bfe_u32 v2, v1, 16, 1
	v_add3_u32 v1, v1, v2, 0x7fff
	v_lshrrev_b32_e32 v3, 16, v1
.LBB35_266:
	s_branch .LBB35_25
.LBB35_267:
	s_mov_b32 s0, 0
.LBB35_268:
	s_mov_b32 s1, 0
                                        ; implicit-def: $vgpr8
.LBB35_269:
	s_and_b32 s36, s0, exec_lo
	s_and_b32 s37, s22, exec_lo
	s_orn2_b32 s1, s1, exec_lo
.LBB35_270:
	s_or_b32 exec_lo, exec_lo, s38
	s_mov_b32 s22, 0
	s_mov_b32 s0, 0
                                        ; implicit-def: $vgpr1_vgpr2
                                        ; implicit-def: $vgpr0
                                        ; implicit-def: $vgpr4
	s_and_saveexec_b32 s38, s1
	s_cbranch_execz .LBB35_277
; %bb.271:
	s_mov_b32 s0, -1
	s_mov_b32 s39, s37
	s_mov_b32 s40, s36
	s_mov_b32 s41, exec_lo
	v_cmpx_gt_i32_e64 s33, v8
	s_cbranch_execz .LBB35_550
; %bb.272:
	s_andn2_b32 vcc_lo, exec_lo, s27
	s_cbranch_vccnz .LBB35_280
; %bb.273:
	s_andn2_b32 vcc_lo, exec_lo, s34
	s_cbranch_vccnz .LBB35_281
; %bb.274:
	s_add_i32 s40, s35, 1
	s_cmp_eq_u32 s25, 2
	s_cbranch_scc1 .LBB35_282
; %bb.275:
	v_mov_b32_e32 v2, 0
	v_mov_b32_e32 v0, 0
	;; [unrolled: 1-line block ×3, first 2 shown]
	s_and_b32 s39, s40, 28
	s_mov_b32 s42, 0
	s_mov_b64 s[0:1], s[2:3]
	s_mov_b64 s[22:23], s[20:21]
.LBB35_276:                             ; =>This Inner Loop Header: Depth=1
	s_clause 0x1
	s_load_dwordx8 s[44:51], s[0:1], 0x4
	s_load_dwordx4 s[60:63], s[0:1], 0x24
	s_load_dwordx8 s[52:59], s[22:23], 0x0
	s_add_u32 s0, s0, 48
	s_addc_u32 s1, s1, 0
	s_add_i32 s42, s42, 4
	s_add_u32 s22, s22, 32
	s_addc_u32 s23, s23, 0
	s_cmp_eq_u32 s39, s42
	s_waitcnt vmcnt(0) lgkmcnt(0)
	v_mul_hi_u32 v3, s45, v1
	v_add_nc_u32_e32 v3, v1, v3
	v_lshrrev_b32_e32 v3, s46, v3
	v_mul_hi_u32 v4, s48, v3
	v_mul_lo_u32 v6, v3, s44
	v_add_nc_u32_e32 v4, v3, v4
	v_sub_nc_u32_e32 v1, v1, v6
	v_lshrrev_b32_e32 v4, s49, v4
	v_mul_lo_u32 v6, v1, s52
	v_mul_lo_u32 v9, v1, s53
	v_mul_hi_u32 v5, s51, v4
	v_add_nc_u32_e32 v5, v4, v5
	v_lshrrev_b32_e32 v5, s60, v5
	v_mul_hi_u32 v7, s62, v5
	v_mul_lo_u32 v10, v5, s50
	v_add_nc_u32_e32 v1, v5, v7
	v_mul_lo_u32 v7, v4, s47
	v_sub_nc_u32_e32 v4, v4, v10
	v_lshrrev_b32_e32 v1, s63, v1
	v_mul_lo_u32 v10, v4, s56
	v_mul_lo_u32 v4, v4, s57
	v_sub_nc_u32_e32 v3, v3, v7
	v_mul_lo_u32 v11, v1, s61
	v_mul_lo_u32 v7, v3, s54
	;; [unrolled: 1-line block ×3, first 2 shown]
	v_sub_nc_u32_e32 v5, v5, v11
	v_add3_u32 v0, v6, v0, v7
	v_mul_lo_u32 v11, v5, s58
	v_mul_lo_u32 v5, v5, s59
	v_add3_u32 v2, v9, v2, v3
	v_add3_u32 v0, v10, v0, v11
	;; [unrolled: 1-line block ×3, first 2 shown]
	s_cbranch_scc0 .LBB35_276
	s_branch .LBB35_283
.LBB35_277:
	s_or_b32 exec_lo, exec_lo, s38
	s_waitcnt lgkmcnt(0)
	s_mov_b32 s6, 0
	s_and_saveexec_b32 s1, s37
	s_cbranch_execnz .LBB35_931
.LBB35_278:
	s_or_b32 exec_lo, exec_lo, s1
	s_and_saveexec_b32 s1, s39
	s_xor_b32 s1, exec_lo, s1
	s_cbranch_execz .LBB35_932
.LBB35_279:
	global_load_ubyte v3, v[1:2], off
	s_or_b32 s0, s0, exec_lo
	s_waitcnt vmcnt(0)
	v_cmp_ne_u16_e32 vcc_lo, 0, v3
	v_cndmask_b32_e64 v3, 0, 1.0, vcc_lo
	v_lshrrev_b32_e32 v4, 16, v3
	s_or_b32 exec_lo, exec_lo, s1
	s_and_saveexec_b32 s1, s22
	s_cbranch_execz .LBB35_978
	s_branch .LBB35_933
.LBB35_280:
                                        ; implicit-def: $vgpr0
                                        ; implicit-def: $vgpr2
	s_andn2_b32 vcc_lo, exec_lo, s0
	s_cbranch_vccz .LBB35_287
	s_branch .LBB35_289
.LBB35_281:
	v_mov_b32_e32 v0, 0
	v_mov_b32_e32 v2, 0
	s_branch .LBB35_286
.LBB35_282:
	v_mov_b32_e32 v0, 0
	v_mov_b32_e32 v2, 0
	;; [unrolled: 1-line block ×3, first 2 shown]
	s_mov_b32 s39, 0
.LBB35_283:
	s_and_b32 s40, s40, 3
	s_cmp_eq_u32 s40, 0
	s_cbranch_scc1 .LBB35_286
; %bb.284:
	s_lshl_b32 s0, s39, 3
	s_mul_i32 s22, s39, 12
	s_add_u32 s0, s2, s0
	s_addc_u32 s1, s3, 0
	s_add_u32 s0, s0, 0xc4
	s_addc_u32 s1, s1, 0
	;; [unrolled: 2-line block ×3, first 2 shown]
	.p2align	6
.LBB35_285:                             ; =>This Inner Loop Header: Depth=1
	s_clause 0x1
	s_load_dwordx2 s[42:43], s[22:23], 0x4
	s_load_dword s39, s[22:23], 0xc
	s_load_dwordx2 s[44:45], s[0:1], 0x0
	s_add_u32 s22, s22, 12
	s_addc_u32 s23, s23, 0
	s_add_u32 s0, s0, 8
	s_addc_u32 s1, s1, 0
	s_add_i32 s40, s40, -1
	s_cmp_lg_u32 s40, 0
	s_waitcnt vmcnt(0) lgkmcnt(0)
	v_mul_hi_u32 v3, s43, v1
	v_add_nc_u32_e32 v3, v1, v3
	v_lshrrev_b32_e32 v4, s39, v3
	v_mul_lo_u32 v3, v4, s42
	v_sub_nc_u32_e32 v3, v1, v3
	v_mad_u64_u32 v[0:1], null, v3, s44, v[0:1]
	v_mad_u64_u32 v[2:3], null, v3, s45, v[2:3]
	v_mov_b32_e32 v1, v4
	s_cbranch_scc1 .LBB35_285
.LBB35_286:
	s_cbranch_execnz .LBB35_289
.LBB35_287:
	s_waitcnt lgkmcnt(0)
	v_mul_hi_u32 v0, s17, v8
	s_andn2_b32 vcc_lo, exec_lo, s31
	v_add_nc_u32_e32 v0, v8, v0
	v_lshrrev_b32_e32 v1, s18, v0
	v_mul_lo_u32 v0, v1, s16
	v_sub_nc_u32_e32 v2, v8, v0
	v_mul_lo_u32 v0, v2, s12
	v_mul_lo_u32 v2, v2, s13
	s_cbranch_vccnz .LBB35_289
; %bb.288:
	s_waitcnt vmcnt(0)
	v_mul_hi_u32 v3, s6, v1
	v_add_nc_u32_e32 v3, v1, v3
	v_lshrrev_b32_e32 v3, s7, v3
	v_mul_lo_u32 v3, v3, s19
	v_sub_nc_u32_e32 v3, v1, v3
	v_mad_u64_u32 v[0:1], null, v3, s14, v[0:1]
	v_mad_u64_u32 v[2:3], null, v3, s15, v[2:3]
.LBB35_289:
	s_waitcnt lgkmcnt(0)
	v_add_co_u32 v1, s0, s10, v2
	v_add_co_ci_u32_e64 v2, null, s11, 0, s0
	s_and_b32 s0, 0xffff, s30
	s_cmp_lt_i32 s0, 11
	s_cbranch_scc1 .LBB35_296
; %bb.290:
	s_cmp_gt_i32 s0, 25
	s_cbranch_scc0 .LBB35_349
; %bb.291:
	s_cmp_gt_i32 s0, 28
	s_cbranch_scc0 .LBB35_350
	;; [unrolled: 3-line block ×4, first 2 shown]
; %bb.294:
	s_cmp_eq_u32 s0, 46
	s_mov_b32 s23, 0
	s_cbranch_scc0 .LBB35_360
; %bb.295:
	global_load_dword v3, v[1:2], off
	s_mov_b32 s1, -1
	s_mov_b32 s22, 0
	s_branch .LBB35_362
.LBB35_296:
	s_mov_b32 s1, 0
	s_mov_b32 s22, s37
                                        ; implicit-def: $vgpr3
	s_cbranch_execnz .LBB35_499
.LBB35_297:
	s_andn2_b32 vcc_lo, exec_lo, s1
	s_cbranch_vccnz .LBB35_547
.LBB35_298:
	s_waitcnt vmcnt(0)
	v_lshlrev_b32_e32 v1, 16, v3
                                        ; implicit-def: $vgpr4
                                        ; implicit-def: $vgpr3
	s_mov_b32 s1, exec_lo
	v_and_b32_e32 v2, 0x7fffffff, v1
	v_cmpx_ngt_f32_e64 0x48000000, |v1|
	s_xor_b32 s23, exec_lo, s1
	s_cbranch_execz .LBB35_300
; %bb.299:
	s_mov_b32 s0, 0x7fffff
	v_mov_b32_e32 v5, 0
	v_and_or_b32 v14, v2, s0, 0x800000
	v_mad_u64_u32 v[3:4], null, 0xfe5163ab, v14, 0
	v_mad_u64_u32 v[6:7], null, 0x3c439041, v14, v[4:5]
	v_mov_b32_e32 v4, v7
	v_lshrrev_b32_e32 v7, 23, v2
	v_mad_u64_u32 v[9:10], null, 0xdb629599, v14, v[4:5]
	v_add_nc_u32_e32 v7, 0xffffff88, v7
	v_cmp_lt_u32_e32 vcc_lo, 63, v7
	v_mov_b32_e32 v4, v10
	v_cndmask_b32_e64 v13, 0, 0xffffffc0, vcc_lo
	v_mad_u64_u32 v[10:11], null, 0xf534ddc0, v14, v[4:5]
	v_cndmask_b32_e32 v3, v9, v3, vcc_lo
	v_add_nc_u32_e32 v7, v13, v7
	v_mov_b32_e32 v4, v11
	v_cmp_lt_u32_e64 s0, 31, v7
	v_cndmask_b32_e32 v6, v10, v6, vcc_lo
	v_mad_u64_u32 v[11:12], null, 0xfc2757d1, v14, v[4:5]
	v_cndmask_b32_e64 v15, 0, 0xffffffe0, s0
	v_cndmask_b32_e64 v3, v6, v3, s0
	v_add_nc_u32_e32 v7, v15, v7
	v_mov_b32_e32 v4, v12
	v_cmp_lt_u32_e64 s1, 31, v7
	v_mad_u64_u32 v[12:13], null, 0x4e441529, v14, v[4:5]
	v_mov_b32_e32 v4, v13
	v_cndmask_b32_e64 v13, 0, 0xffffffe0, s1
	v_mad_u64_u32 v[4:5], null, 0xa2f9836e, v14, v[4:5]
	v_cndmask_b32_e32 v14, v12, v10, vcc_lo
	v_add_nc_u32_e32 v7, v13, v7
	v_cndmask_b32_e32 v4, v4, v11, vcc_lo
	v_cndmask_b32_e32 v5, v5, v12, vcc_lo
	;; [unrolled: 1-line block ×3, first 2 shown]
	v_sub_nc_u32_e32 v12, 32, v7
	v_cmp_eq_u32_e32 vcc_lo, 0, v7
	v_cndmask_b32_e64 v10, v4, v14, s0
	v_cndmask_b32_e64 v4, v5, v4, s0
	;; [unrolled: 1-line block ×8, first 2 shown]
	v_alignbit_b32 v13, v4, v10, v12
	v_alignbit_b32 v9, v10, v5, v12
	;; [unrolled: 1-line block ×3, first 2 shown]
	v_cndmask_b32_e32 v4, v13, v4, vcc_lo
	v_cndmask_b32_e32 v6, v9, v10, vcc_lo
	;; [unrolled: 1-line block ×3, first 2 shown]
	v_bfe_u32 v7, v4, 29, 1
	v_alignbit_b32 v9, v4, v6, 30
	v_alignbit_b32 v6, v6, v5, 30
	;; [unrolled: 1-line block ×3, first 2 shown]
	v_sub_nc_u32_e32 v10, 0, v7
	v_xor_b32_e32 v9, v9, v10
	v_xor_b32_e32 v5, v6, v10
	;; [unrolled: 1-line block ×3, first 2 shown]
	v_lshrrev_b32_e32 v10, 29, v4
	v_lshrrev_b32_e32 v4, 30, v4
	v_ffbh_u32_e32 v11, v9
	v_add_nc_u32_e32 v4, v7, v4
	v_min_u32_e32 v11, 32, v11
	v_sub_nc_u32_e32 v6, 31, v11
	v_lshlrev_b32_e32 v12, 23, v11
	v_alignbit_b32 v9, v9, v5, v6
	v_alignbit_b32 v3, v5, v3, v6
	v_lshlrev_b32_e32 v5, 31, v10
	v_alignbit_b32 v6, v9, v3, 9
	v_or_b32_e32 v10, 0.5, v5
	v_lshrrev_b32_e32 v9, 9, v9
	v_or_b32_e32 v5, 0x33000000, v5
	v_ffbh_u32_e32 v13, v6
	v_sub_nc_u32_e32 v10, v10, v12
	v_min_u32_e32 v12, 32, v13
	v_or_b32_e32 v9, v9, v10
	v_not_b32_e32 v10, v12
	v_mul_f32_e32 v13, 0x3fc90fda, v9
	v_add_lshl_u32 v11, v12, v11, 23
	v_alignbit_b32 v3, v6, v3, v10
	v_fma_f32 v6, 0x3fc90fda, v9, -v13
	v_sub_nc_u32_e32 v5, v5, v11
	v_lshrrev_b32_e32 v3, 9, v3
	v_fmamk_f32 v6, v9, 0x33a22168, v6
	v_or_b32_e32 v3, v5, v3
	v_fmac_f32_e32 v6, 0x3fc90fda, v3
	v_add_f32_e32 v3, v13, v6
.LBB35_300:
	s_andn2_saveexec_b32 s0, s23
; %bb.301:
	v_mul_f32_e64 v3, 0x3f22f983, |v1|
	v_rndne_f32_e32 v4, v3
	v_fma_f32 v3, 0xbfc90fda, v4, |v1|
	v_fmamk_f32 v3, v4, 0xb3a22168, v3
	v_fmamk_f32 v3, v4, 0xa7c234c4, v3
	v_cvt_i32_f32_e32 v4, v4
; %bb.302:
	s_or_b32 exec_lo, exec_lo, s0
	v_mul_f32_e32 v5, v3, v3
	s_mov_b32 s0, 0xb94c1982
	s_mov_b32 s1, 0x37d75334
	v_lshlrev_b32_e32 v9, 30, v4
	v_and_b32_e32 v4, 1, v4
	v_fmaak_f32 v6, s0, v5, 0x3c0881c4
	v_fmaak_f32 v7, s1, v5, 0xbab64f3b
	v_add_co_u32 v0, s0, s8, v0
	v_and_b32_e32 v9, 0x80000000, v9
	v_fmaak_f32 v6, v5, v6, 0xbe2aaa9d
	v_fmaak_f32 v7, v5, v7, 0x3d2aabf7
	v_cmp_eq_u32_e32 vcc_lo, 0, v4
	s_and_b32 s1, s29, 0xff
	v_xor_b32_e32 v2, v2, v9
	v_mul_f32_e32 v6, v5, v6
	v_fmaak_f32 v7, v5, v7, 0xbf000004
	s_mov_b32 s39, 0
	s_mov_b32 s23, -1
	s_cmp_lt_i32 s1, 11
	v_fmac_f32_e32 v3, v3, v6
	v_fma_f32 v5, v5, v7, 1.0
	v_cndmask_b32_e32 v3, v5, v3, vcc_lo
	v_cmp_class_f32_e64 vcc_lo, v1, 0x1f8
	v_xor3_b32 v2, v2, v3, v1
	v_mov_b32_e32 v3, 0x7fc0
	v_cndmask_b32_e32 v1, 0x7fc00000, v2, vcc_lo
	v_bfe_u32 v2, v1, 16, 1
	v_cmp_o_f32_e32 vcc_lo, v1, v1
	v_add3_u32 v2, v1, v2, 0x7fff
	v_add_co_ci_u32_e64 v1, null, s9, 0, s0
	s_mov_b32 s0, s36
	v_cndmask_b32_sdwa v2, v3, v2, vcc_lo dst_sel:DWORD dst_unused:UNUSED_PAD src0_sel:DWORD src1_sel:WORD_1
	s_cbranch_scc1 .LBB35_309
; %bb.303:
	s_and_b32 s23, 0xffff, s1
	s_cmp_gt_i32 s23, 25
	s_cbranch_scc0 .LBB35_351
; %bb.304:
	s_cmp_gt_i32 s23, 28
	s_cbranch_scc0 .LBB35_353
; %bb.305:
	;; [unrolled: 3-line block ×4, first 2 shown]
	s_mov_b32 s40, 0
	s_mov_b32 s0, -1
	s_cmp_eq_u32 s23, 46
	s_cbranch_scc0 .LBB35_366
; %bb.308:
	v_and_b32_e32 v3, 0xffff, v2
	s_mov_b32 s39, -1
	s_mov_b32 s0, 0
	global_store_dword v[0:1], v3, off
	s_branch .LBB35_366
.LBB35_309:
	s_and_b32 vcc_lo, exec_lo, s23
	s_cbranch_vccz .LBB35_435
; %bb.310:
	s_and_b32 s1, 0xffff, s1
	s_mov_b32 s23, -1
	s_cmp_lt_i32 s1, 5
	s_cbranch_scc1 .LBB35_331
; %bb.311:
	s_cmp_lt_i32 s1, 8
	s_cbranch_scc1 .LBB35_321
; %bb.312:
	;; [unrolled: 3-line block ×3, first 2 shown]
	s_cmp_gt_i32 s1, 9
	s_cbranch_scc0 .LBB35_315
; %bb.314:
	v_lshlrev_b32_e32 v3, 16, v2
	v_mov_b32_e32 v5, 0
	s_mov_b32 s23, 0
	v_cvt_f64_f32_e32 v[3:4], v3
	v_mov_b32_e32 v6, v5
	global_store_dwordx4 v[0:1], v[3:6], off
.LBB35_315:
	s_andn2_b32 vcc_lo, exec_lo, s23
	s_cbranch_vccnz .LBB35_317
; %bb.316:
	v_lshlrev_b32_e32 v3, 16, v2
	v_mov_b32_e32 v4, 0
	global_store_dwordx2 v[0:1], v[3:4], off
.LBB35_317:
	s_mov_b32 s23, 0
.LBB35_318:
	s_andn2_b32 vcc_lo, exec_lo, s23
	s_cbranch_vccnz .LBB35_320
; %bb.319:
	v_lshlrev_b32_e32 v3, 16, v2
	v_cvt_f16_f32_e32 v3, v3
	v_and_b32_e32 v3, 0xffff, v3
	global_store_dword v[0:1], v3, off
.LBB35_320:
	s_mov_b32 s23, 0
.LBB35_321:
	s_andn2_b32 vcc_lo, exec_lo, s23
	s_cbranch_vccnz .LBB35_330
; %bb.322:
	s_cmp_lt_i32 s1, 6
	s_mov_b32 s23, -1
	s_cbranch_scc1 .LBB35_328
; %bb.323:
	s_cmp_gt_i32 s1, 6
	s_cbranch_scc0 .LBB35_325
; %bb.324:
	v_lshlrev_b32_e32 v3, 16, v2
	s_mov_b32 s23, 0
	v_cvt_f64_f32_e32 v[3:4], v3
	global_store_dwordx2 v[0:1], v[3:4], off
.LBB35_325:
	s_andn2_b32 vcc_lo, exec_lo, s23
	s_cbranch_vccnz .LBB35_327
; %bb.326:
	v_lshlrev_b32_e32 v3, 16, v2
	global_store_dword v[0:1], v3, off
.LBB35_327:
	s_mov_b32 s23, 0
.LBB35_328:
	s_andn2_b32 vcc_lo, exec_lo, s23
	s_cbranch_vccnz .LBB35_330
; %bb.329:
	v_lshlrev_b32_e32 v3, 16, v2
	v_cvt_f16_f32_e32 v3, v3
	global_store_short v[0:1], v3, off
.LBB35_330:
	s_mov_b32 s23, 0
.LBB35_331:
	s_andn2_b32 vcc_lo, exec_lo, s23
	s_cbranch_vccnz .LBB35_347
; %bb.332:
	s_cmp_lt_i32 s1, 2
	s_mov_b32 s23, -1
	s_cbranch_scc1 .LBB35_342
; %bb.333:
	s_cmp_lt_i32 s1, 3
	s_cbranch_scc1 .LBB35_339
; %bb.334:
	s_cmp_gt_i32 s1, 3
	s_cbranch_scc0 .LBB35_336
; %bb.335:
	v_lshlrev_b32_e32 v3, 16, v2
	s_mov_b32 s23, 0
	v_trunc_f32_e32 v3, v3
	v_mul_f32_e64 v4, 0x2f800000, |v3|
	v_ashrrev_i32_e32 v6, 31, v3
	v_floor_f32_e32 v4, v4
	v_fma_f32 v5, 0xcf800000, v4, |v3|
	v_cvt_u32_f32_e32 v4, v4
	v_cvt_u32_f32_e32 v3, v5
	v_xor_b32_e32 v4, v4, v6
	v_xor_b32_e32 v3, v3, v6
	v_sub_co_u32 v3, vcc_lo, v3, v6
	v_sub_co_ci_u32_e64 v4, null, v4, v6, vcc_lo
	global_store_dwordx2 v[0:1], v[3:4], off
.LBB35_336:
	s_andn2_b32 vcc_lo, exec_lo, s23
	s_cbranch_vccnz .LBB35_338
; %bb.337:
	v_lshlrev_b32_e32 v3, 16, v2
	v_cvt_i32_f32_e32 v3, v3
	global_store_dword v[0:1], v3, off
.LBB35_338:
	s_mov_b32 s23, 0
.LBB35_339:
	s_andn2_b32 vcc_lo, exec_lo, s23
	s_cbranch_vccnz .LBB35_341
; %bb.340:
	v_lshlrev_b32_e32 v3, 16, v2
	v_cvt_i32_f32_e32 v3, v3
	global_store_short v[0:1], v3, off
.LBB35_341:
	s_mov_b32 s23, 0
.LBB35_342:
	s_andn2_b32 vcc_lo, exec_lo, s23
	s_cbranch_vccnz .LBB35_347
; %bb.343:
	v_lshlrev_b32_e32 v2, 16, v2
	s_cmp_gt_i32 s1, 0
	s_mov_b32 s1, -1
	s_cbranch_scc0 .LBB35_345
; %bb.344:
	v_cvt_i32_f32_e32 v3, v2
	s_mov_b32 s1, 0
	global_store_byte v[0:1], v3, off
.LBB35_345:
	s_andn2_b32 vcc_lo, exec_lo, s1
	s_cbranch_vccnz .LBB35_347
; %bb.346:
	v_trunc_f32_e32 v2, v2
	v_mul_f32_e64 v3, 0x2f800000, |v2|
	v_floor_f32_e32 v3, v3
	v_fma_f32 v3, 0xcf800000, v3, |v2|
	v_ashrrev_i32_e32 v2, 31, v2
	v_cvt_u32_f32_e32 v3, v3
	v_xor_b32_e32 v3, v3, v2
	v_sub_nc_u32_e32 v2, v3, v2
	global_store_byte v[0:1], v2, off
.LBB35_347:
	s_branch .LBB35_436
.LBB35_348:
	s_mov_b32 s1, 0
	s_branch .LBB35_548
.LBB35_349:
	s_mov_b32 s23, -1
	s_mov_b32 s1, 0
	s_mov_b32 s22, s37
                                        ; implicit-def: $vgpr3
	s_branch .LBB35_463
.LBB35_350:
	s_mov_b32 s23, -1
	s_mov_b32 s1, 0
	s_mov_b32 s22, s37
                                        ; implicit-def: $vgpr3
	s_branch .LBB35_444
.LBB35_351:
	s_mov_b32 s40, -1
	s_mov_b32 s0, s36
	s_branch .LBB35_393
.LBB35_352:
	s_mov_b32 s23, -1
	s_mov_b32 s1, 0
	s_mov_b32 s22, s37
                                        ; implicit-def: $vgpr3
	s_branch .LBB35_439
.LBB35_353:
	s_mov_b32 s40, -1
	s_mov_b32 s0, s36
	s_branch .LBB35_376
.LBB35_354:
	s_andn2_saveexec_b32 s40, s40
	s_cbranch_execz .LBB35_109
.LBB35_355:
	v_add_f32_e64 v4, 0x46000000, |v5|
	s_andn2_b32 s37, s37, exec_lo
	v_and_b32_e32 v4, 0xff, v4
	v_cmp_ne_u32_e32 vcc_lo, 0, v4
	s_and_b32 s41, vcc_lo, exec_lo
	s_or_b32 s37, s37, s41
	s_or_b32 exec_lo, exec_lo, s40
	v_mov_b32_e32 v6, 0
	s_and_saveexec_b32 s40, s37
	s_cbranch_execnz .LBB35_110
	s_branch .LBB35_111
.LBB35_356:
	s_mov_b32 s23, -1
	s_mov_b32 s1, 0
	s_mov_b32 s22, s37
	s_branch .LBB35_361
.LBB35_357:
	s_mov_b32 s40, -1
	s_mov_b32 s0, s36
	s_branch .LBB35_372
.LBB35_358:
	s_andn2_saveexec_b32 s40, s40
	s_cbranch_execz .LBB35_122
.LBB35_359:
	v_add_f32_e64 v4, 0x42800000, |v5|
	s_andn2_b32 s37, s37, exec_lo
	v_and_b32_e32 v4, 0xff, v4
	v_cmp_ne_u32_e32 vcc_lo, 0, v4
	s_and_b32 s41, vcc_lo, exec_lo
	s_or_b32 s37, s37, s41
	s_or_b32 exec_lo, exec_lo, s40
	v_mov_b32_e32 v6, 0
	s_and_saveexec_b32 s40, s37
	s_cbranch_execnz .LBB35_123
	s_branch .LBB35_124
.LBB35_360:
	s_mov_b32 s22, -1
	s_mov_b32 s1, 0
.LBB35_361:
                                        ; implicit-def: $vgpr3
.LBB35_362:
	s_and_b32 vcc_lo, exec_lo, s23
	s_cbranch_vccz .LBB35_438
; %bb.363:
	s_cmp_eq_u32 s0, 44
	s_cbranch_scc0 .LBB35_437
; %bb.364:
	global_load_ubyte v3, v[1:2], off
	s_mov_b32 s22, 0
	s_mov_b32 s1, -1
	s_waitcnt vmcnt(0)
	v_lshlrev_b32_e32 v4, 23, v3
	v_cmp_ne_u32_e32 vcc_lo, 0xff, v3
	v_cndmask_b32_e32 v4, 0x7f800001, v4, vcc_lo
	v_cmp_ne_u32_e32 vcc_lo, 0, v3
	v_cndmask_b32_e32 v3, 0x400000, v4, vcc_lo
	v_mov_b32_e32 v4, 0x7fc0
	v_cmp_o_f32_e32 vcc_lo, v3, v3
	v_add_nc_u32_e32 v3, 0x7fff, v3
	v_cndmask_b32_sdwa v3, v4, v3, vcc_lo dst_sel:DWORD dst_unused:UNUSED_PAD src0_sel:DWORD src1_sel:WORD_1
	s_branch .LBB35_438
.LBB35_365:
	s_mov_b32 s40, -1
	s_mov_b32 s0, s36
.LBB35_366:
	s_and_b32 vcc_lo, exec_lo, s40
	s_cbranch_vccz .LBB35_371
; %bb.367:
	s_cmp_eq_u32 s23, 44
	s_mov_b32 s0, -1
	s_cbranch_scc0 .LBB35_371
; %bb.368:
	v_and_b32_e32 v3, 0xffff, v2
	v_mov_b32_e32 v4, 0xff
	s_mov_b32 s39, exec_lo
	v_bfe_u32 v5, v3, 7, 8
	v_cmpx_ne_u32_e32 0xff, v5
	s_cbranch_execz .LBB35_370
; %bb.369:
	v_lshlrev_b32_e32 v4, 16, v3
	v_and_b32_e32 v6, 64, v3
	v_lshrrev_b32_e32 v3, 7, v3
	v_and_or_b32 v4, 0x3f0000, v4, v5
	v_cmp_ne_u32_e32 vcc_lo, 0, v6
	v_cmp_ne_u32_e64 s0, 0, v4
	s_and_b32 s0, vcc_lo, s0
	v_cndmask_b32_e64 v4, 0, 1, s0
	v_add_nc_u32_e32 v4, v3, v4
.LBB35_370:
	s_or_b32 exec_lo, exec_lo, s39
	s_mov_b32 s39, -1
	s_mov_b32 s0, 0
	global_store_byte v[0:1], v4, off
.LBB35_371:
	s_mov_b32 s40, 0
.LBB35_372:
	s_and_b32 vcc_lo, exec_lo, s40
	s_cbranch_vccz .LBB35_375
; %bb.373:
	s_cmp_eq_u32 s23, 29
	s_mov_b32 s0, -1
	s_cbranch_scc0 .LBB35_375
; %bb.374:
	v_lshlrev_b32_e32 v3, 16, v2
	s_mov_b32 s39, -1
	s_mov_b32 s0, 0
	s_mov_b32 s40, 0
	v_trunc_f32_e32 v3, v3
	v_mul_f32_e32 v4, 0x2f800000, v3
	v_floor_f32_e32 v4, v4
	v_fmamk_f32 v3, v4, 0xcf800000, v3
	v_cvt_u32_f32_e32 v4, v4
	v_cvt_u32_f32_e32 v3, v3
	global_store_dwordx2 v[0:1], v[3:4], off
	s_branch .LBB35_376
.LBB35_375:
	s_mov_b32 s40, 0
.LBB35_376:
	s_and_b32 vcc_lo, exec_lo, s40
	s_cbranch_vccz .LBB35_392
; %bb.377:
	s_cmp_lt_i32 s23, 27
	s_mov_b32 s39, -1
	s_cbranch_scc1 .LBB35_383
; %bb.378:
	s_cmp_gt_i32 s23, 27
	s_cbranch_scc0 .LBB35_380
; %bb.379:
	v_lshlrev_b32_e32 v3, 16, v2
	s_mov_b32 s39, 0
	v_cvt_u32_f32_e32 v3, v3
	global_store_dword v[0:1], v3, off
.LBB35_380:
	s_andn2_b32 vcc_lo, exec_lo, s39
	s_cbranch_vccnz .LBB35_382
; %bb.381:
	v_lshlrev_b32_e32 v3, 16, v2
	v_cvt_u32_f32_e32 v3, v3
	global_store_short v[0:1], v3, off
.LBB35_382:
	s_mov_b32 s39, 0
.LBB35_383:
	s_andn2_b32 vcc_lo, exec_lo, s39
	s_cbranch_vccnz .LBB35_391
; %bb.384:
	v_lshlrev_b32_e32 v5, 16, v2
	v_mov_b32_e32 v6, 0x80
	s_mov_b32 s39, exec_lo
	v_and_b32_e32 v4, 0x7fffffff, v5
	v_cmpx_gt_u32_e32 0x43800000, v4
	s_cbranch_execz .LBB35_390
; %bb.385:
	v_and_b32_e32 v3, 0xffff, v2
	v_cmp_lt_u32_e32 vcc_lo, 0x3bffffff, v4
	s_mov_b32 s40, 0
                                        ; implicit-def: $vgpr4
	s_and_saveexec_b32 s42, vcc_lo
	s_xor_b32 s42, exec_lo, s42
	s_cbranch_execz .LBB35_578
; %bb.386:
	v_bfe_u32 v4, v3, 4, 1
	s_mov_b32 s40, exec_lo
	v_add3_u32 v4, v5, v4, 0x487ffff
                                        ; implicit-def: $vgpr5
	v_lshrrev_b32_e32 v4, 20, v4
	s_andn2_saveexec_b32 s42, s42
	s_cbranch_execnz .LBB35_579
.LBB35_387:
	s_or_b32 exec_lo, exec_lo, s42
	v_mov_b32_e32 v6, 0
	s_and_saveexec_b32 s42, s40
.LBB35_388:
	v_lshrrev_b32_e32 v3, 8, v3
	v_and_or_b32 v6, 0x80, v3, v4
.LBB35_389:
	s_or_b32 exec_lo, exec_lo, s42
.LBB35_390:
	s_or_b32 exec_lo, exec_lo, s39
	global_store_byte v[0:1], v6, off
.LBB35_391:
	s_mov_b32 s39, -1
.LBB35_392:
	s_mov_b32 s40, 0
.LBB35_393:
	s_and_b32 vcc_lo, exec_lo, s40
	s_cbranch_vccz .LBB35_434
; %bb.394:
	s_cmp_gt_i32 s23, 22
	s_mov_b32 s40, -1
	s_cbranch_scc0 .LBB35_426
; %bb.395:
	s_cmp_lt_i32 s23, 24
	s_mov_b32 s39, -1
	s_cbranch_scc1 .LBB35_415
; %bb.396:
	s_cmp_gt_i32 s23, 24
	s_cbranch_scc0 .LBB35_404
; %bb.397:
	v_lshlrev_b32_e32 v5, 16, v2
	v_mov_b32_e32 v6, 0x80
	s_mov_b32 s39, exec_lo
	v_and_b32_e32 v4, 0x7fffffff, v5
	v_cmpx_gt_u32_e32 0x47800000, v4
	s_cbranch_execz .LBB35_403
; %bb.398:
	v_and_b32_e32 v3, 0xffff, v2
	v_cmp_lt_u32_e32 vcc_lo, 0x37ffffff, v4
	s_mov_b32 s40, 0
                                        ; implicit-def: $vgpr4
	s_and_saveexec_b32 s42, vcc_lo
	s_xor_b32 s42, exec_lo, s42
	s_cbranch_execz .LBB35_581
; %bb.399:
	v_bfe_u32 v4, v3, 5, 1
	s_mov_b32 s40, exec_lo
	v_add3_u32 v4, v5, v4, 0x88fffff
                                        ; implicit-def: $vgpr5
	v_lshrrev_b32_e32 v4, 21, v4
	s_andn2_saveexec_b32 s42, s42
	s_cbranch_execnz .LBB35_582
.LBB35_400:
	s_or_b32 exec_lo, exec_lo, s42
	v_mov_b32_e32 v6, 0
	s_and_saveexec_b32 s42, s40
.LBB35_401:
	v_lshrrev_b32_e32 v3, 8, v3
	v_and_or_b32 v6, 0x80, v3, v4
.LBB35_402:
	s_or_b32 exec_lo, exec_lo, s42
.LBB35_403:
	s_or_b32 exec_lo, exec_lo, s39
	s_mov_b32 s39, 0
	global_store_byte v[0:1], v6, off
.LBB35_404:
	s_and_b32 vcc_lo, exec_lo, s39
	s_cbranch_vccz .LBB35_414
; %bb.405:
	v_lshlrev_b32_e32 v5, 16, v2
	v_and_b32_e32 v3, 0xffff, v2
	s_mov_b32 s39, exec_lo
                                        ; implicit-def: $vgpr4
	v_and_b32_e32 v6, 0x7fffffff, v5
	v_cmpx_gt_u32_e32 0x43f00000, v6
	s_xor_b32 s39, exec_lo, s39
	s_cbranch_execz .LBB35_411
; %bb.406:
	s_mov_b32 s40, exec_lo
                                        ; implicit-def: $vgpr4
	v_cmpx_lt_u32_e32 0x3c7fffff, v6
	s_xor_b32 s40, exec_lo, s40
; %bb.407:
	v_bfe_u32 v4, v3, 4, 1
	v_add3_u32 v4, v5, v4, 0x407ffff
	v_and_b32_e32 v5, 0xff00000, v4
	v_lshrrev_b32_e32 v4, 20, v4
	v_cmp_ne_u32_e32 vcc_lo, 0x7f00000, v5
                                        ; implicit-def: $vgpr5
	v_cndmask_b32_e32 v4, 0x7e, v4, vcc_lo
; %bb.408:
	s_andn2_saveexec_b32 s40, s40
; %bb.409:
	v_add_f32_e64 v4, 0x46800000, |v5|
; %bb.410:
	s_or_b32 exec_lo, exec_lo, s40
                                        ; implicit-def: $vgpr6
.LBB35_411:
	s_andn2_saveexec_b32 s39, s39
; %bb.412:
	v_mov_b32_e32 v4, 0x7f
	v_cmp_lt_u32_e32 vcc_lo, 0x7f800000, v6
	v_cndmask_b32_e32 v4, 0x7e, v4, vcc_lo
; %bb.413:
	s_or_b32 exec_lo, exec_lo, s39
	v_lshrrev_b32_e32 v3, 8, v3
	v_and_or_b32 v3, 0x80, v3, v4
	global_store_byte v[0:1], v3, off
.LBB35_414:
	s_mov_b32 s39, 0
.LBB35_415:
	s_andn2_b32 vcc_lo, exec_lo, s39
	s_cbranch_vccnz .LBB35_425
; %bb.416:
	v_lshlrev_b32_e32 v5, 16, v2
	v_and_b32_e32 v3, 0xffff, v2
	s_mov_b32 s39, exec_lo
                                        ; implicit-def: $vgpr4
	v_and_b32_e32 v6, 0x7fffffff, v5
	v_cmpx_gt_u32_e32 0x47800000, v6
	s_xor_b32 s39, exec_lo, s39
	s_cbranch_execz .LBB35_422
; %bb.417:
	s_mov_b32 s40, exec_lo
                                        ; implicit-def: $vgpr4
	v_cmpx_lt_u32_e32 0x387fffff, v6
	s_xor_b32 s40, exec_lo, s40
; %bb.418:
	v_bfe_u32 v4, v3, 5, 1
	v_add3_u32 v4, v5, v4, 0x80fffff
                                        ; implicit-def: $vgpr5
	v_lshrrev_b32_e32 v4, 21, v4
; %bb.419:
	s_andn2_saveexec_b32 s40, s40
; %bb.420:
	v_add_f32_e64 v4, 0x43000000, |v5|
; %bb.421:
	s_or_b32 exec_lo, exec_lo, s40
                                        ; implicit-def: $vgpr6
.LBB35_422:
	s_andn2_saveexec_b32 s39, s39
; %bb.423:
	v_mov_b32_e32 v4, 0x7f
	v_cmp_lt_u32_e32 vcc_lo, 0x7f800000, v6
	v_cndmask_b32_e32 v4, 0x7c, v4, vcc_lo
; %bb.424:
	s_or_b32 exec_lo, exec_lo, s39
	v_lshrrev_b32_e32 v3, 8, v3
	v_and_or_b32 v3, 0x80, v3, v4
	global_store_byte v[0:1], v3, off
.LBB35_425:
	s_mov_b32 s40, 0
	s_mov_b32 s39, -1
.LBB35_426:
	s_andn2_b32 vcc_lo, exec_lo, s40
	s_cbranch_vccnz .LBB35_434
; %bb.427:
	s_cmp_gt_i32 s23, 14
	s_mov_b32 s40, -1
	s_cbranch_scc0 .LBB35_431
; %bb.428:
	s_cmp_eq_u32 s23, 15
	s_mov_b32 s0, -1
	s_cbranch_scc0 .LBB35_430
; %bb.429:
	s_mov_b32 s39, -1
	s_mov_b32 s0, 0
	global_store_short v[0:1], v2, off
.LBB35_430:
	s_mov_b32 s40, 0
.LBB35_431:
	s_and_b32 vcc_lo, exec_lo, s40
	s_cbranch_vccz .LBB35_434
; %bb.432:
	s_cmp_eq_u32 s23, 11
	s_mov_b32 s0, -1
	s_cbranch_scc0 .LBB35_434
; %bb.433:
	v_and_b32_e32 v3, 0x7fff, v2
	s_mov_b32 s0, 0
	s_mov_b32 s39, -1
	v_cmp_ne_u16_e32 vcc_lo, 0, v3
	v_cndmask_b32_e64 v3, 0, 1, vcc_lo
	global_store_byte v[0:1], v3, off
.LBB35_434:
.LBB35_435:
	s_andn2_b32 vcc_lo, exec_lo, s39
	s_cbranch_vccnz .LBB35_348
.LBB35_436:
	v_add_nc_u32_e32 v8, 0x80, v8
	s_mov_b32 s1, -1
	s_branch .LBB35_549
.LBB35_437:
	s_mov_b32 s22, -1
                                        ; implicit-def: $vgpr3
.LBB35_438:
	s_mov_b32 s23, 0
.LBB35_439:
	s_and_b32 vcc_lo, exec_lo, s23
	s_cbranch_vccz .LBB35_443
; %bb.440:
	s_cmp_eq_u32 s0, 29
	s_cbranch_scc0 .LBB35_442
; %bb.441:
	global_load_dwordx2 v[3:4], v[1:2], off
	s_mov_b32 s1, -1
	s_mov_b32 s22, 0
	s_mov_b32 s23, 0
	s_waitcnt vmcnt(0)
	v_ffbh_u32_e32 v5, v4
	v_min_u32_e32 v5, 32, v5
	v_lshlrev_b64 v[3:4], v5, v[3:4]
	v_min_u32_e32 v3, 1, v3
	v_or_b32_e32 v3, v4, v3
	v_sub_nc_u32_e32 v4, 32, v5
	v_cvt_f32_u32_e32 v3, v3
	v_ldexp_f32 v3, v3, v4
	v_bfe_u32 v4, v3, 16, 1
	v_add3_u32 v3, v3, v4, 0x7fff
	v_lshrrev_b32_e32 v3, 16, v3
	s_branch .LBB35_444
.LBB35_442:
	s_mov_b32 s22, -1
                                        ; implicit-def: $vgpr3
.LBB35_443:
	s_mov_b32 s23, 0
.LBB35_444:
	s_and_b32 vcc_lo, exec_lo, s23
	s_cbranch_vccz .LBB35_462
; %bb.445:
	s_cmp_lt_i32 s0, 27
	s_cbranch_scc1 .LBB35_448
; %bb.446:
	s_cmp_gt_i32 s0, 27
	s_cbranch_scc0 .LBB35_449
; %bb.447:
	global_load_dword v3, v[1:2], off
	s_mov_b32 s1, 0
	s_waitcnt vmcnt(0)
	v_cvt_f32_u32_e32 v3, v3
	v_bfe_u32 v4, v3, 16, 1
	v_add3_u32 v3, v3, v4, 0x7fff
	v_lshrrev_b32_e32 v3, 16, v3
	s_branch .LBB35_450
.LBB35_448:
	s_mov_b32 s1, -1
                                        ; implicit-def: $vgpr3
	s_branch .LBB35_453
.LBB35_449:
	s_mov_b32 s1, -1
                                        ; implicit-def: $vgpr3
.LBB35_450:
	s_andn2_b32 vcc_lo, exec_lo, s1
	s_cbranch_vccnz .LBB35_452
; %bb.451:
	global_load_ushort v3, v[1:2], off
	s_waitcnt vmcnt(0)
	v_cvt_f32_u32_e32 v3, v3
	v_bfe_u32 v4, v3, 16, 1
	v_add3_u32 v3, v3, v4, 0x7fff
	v_lshrrev_b32_e32 v3, 16, v3
.LBB35_452:
	s_mov_b32 s1, 0
.LBB35_453:
	s_andn2_b32 vcc_lo, exec_lo, s1
	s_cbranch_vccnz .LBB35_461
; %bb.454:
	global_load_ubyte v3, v[1:2], off
	s_mov_b32 s1, 0
	s_mov_b32 s23, exec_lo
	s_waitcnt vmcnt(0)
	v_cmpx_lt_i16_e32 0x7f, v3
	s_xor_b32 s23, exec_lo, s23
	s_cbranch_execz .LBB35_475
; %bb.455:
	s_mov_b32 s1, -1
	s_mov_b32 s39, exec_lo
	v_cmpx_eq_u16_e32 0x80, v3
; %bb.456:
	s_xor_b32 s1, exec_lo, -1
; %bb.457:
	s_or_b32 exec_lo, exec_lo, s39
	s_and_b32 s1, s1, exec_lo
	s_or_saveexec_b32 s23, s23
	v_mov_b32_e32 v4, 0x7f800001
	s_xor_b32 exec_lo, exec_lo, s23
	s_cbranch_execnz .LBB35_476
.LBB35_458:
	s_or_b32 exec_lo, exec_lo, s23
	s_and_saveexec_b32 s23, s1
	s_cbranch_execz .LBB35_460
.LBB35_459:
	v_and_b32_e32 v4, 0xffff, v3
	v_lshlrev_b32_e32 v3, 24, v3
	v_and_b32_e32 v5, 7, v4
	v_bfe_u32 v9, v4, 3, 4
	v_and_b32_e32 v3, 0x80000000, v3
	v_ffbh_u32_e32 v6, v5
	v_cmp_eq_u32_e32 vcc_lo, 0, v9
	v_min_u32_e32 v6, 32, v6
	v_subrev_nc_u32_e32 v7, 28, v6
	v_sub_nc_u32_e32 v6, 29, v6
	v_lshlrev_b32_e32 v4, v7, v4
	v_cndmask_b32_e32 v6, v9, v6, vcc_lo
	v_and_b32_e32 v4, 7, v4
	v_cndmask_b32_e32 v4, v5, v4, vcc_lo
	v_lshl_add_u32 v5, v6, 23, 0x3b800000
	v_lshlrev_b32_e32 v4, 20, v4
	v_or3_b32 v4, v3, v5, v4
.LBB35_460:
	s_or_b32 exec_lo, exec_lo, s23
	v_bfe_u32 v3, v4, 16, 1
	v_cmp_o_f32_e32 vcc_lo, v4, v4
	v_add3_u32 v3, v4, v3, 0x7fff
	v_mov_b32_e32 v4, 0x7fc0
	v_cndmask_b32_sdwa v3, v4, v3, vcc_lo dst_sel:DWORD dst_unused:UNUSED_PAD src0_sel:DWORD src1_sel:WORD_1
.LBB35_461:
	s_mov_b32 s1, -1
.LBB35_462:
	s_mov_b32 s23, 0
.LBB35_463:
	s_and_b32 vcc_lo, exec_lo, s23
	s_cbranch_vccz .LBB35_498
; %bb.464:
	s_cmp_gt_i32 s0, 22
	s_cbranch_scc0 .LBB35_474
; %bb.465:
	s_cmp_lt_i32 s0, 24
	s_cbranch_scc1 .LBB35_477
; %bb.466:
	s_cmp_gt_i32 s0, 24
	s_cbranch_scc0 .LBB35_478
; %bb.467:
	global_load_ubyte v3, v[1:2], off
	s_mov_b32 s1, 0
	s_mov_b32 s23, exec_lo
	s_waitcnt vmcnt(0)
	v_cmpx_lt_i16_e32 0x7f, v3
	s_xor_b32 s23, exec_lo, s23
	s_cbranch_execz .LBB35_490
; %bb.468:
	s_mov_b32 s1, -1
	s_mov_b32 s39, exec_lo
	v_cmpx_eq_u16_e32 0x80, v3
; %bb.469:
	s_xor_b32 s1, exec_lo, -1
; %bb.470:
	s_or_b32 exec_lo, exec_lo, s39
	s_and_b32 s1, s1, exec_lo
	s_or_saveexec_b32 s23, s23
	v_mov_b32_e32 v4, 0x7f800001
	s_xor_b32 exec_lo, exec_lo, s23
	s_cbranch_execnz .LBB35_491
.LBB35_471:
	s_or_b32 exec_lo, exec_lo, s23
	s_and_saveexec_b32 s23, s1
	s_cbranch_execz .LBB35_473
.LBB35_472:
	v_and_b32_e32 v4, 0xffff, v3
	v_lshlrev_b32_e32 v3, 24, v3
	v_and_b32_e32 v5, 3, v4
	v_bfe_u32 v9, v4, 2, 5
	v_and_b32_e32 v3, 0x80000000, v3
	v_ffbh_u32_e32 v6, v5
	v_cmp_eq_u32_e32 vcc_lo, 0, v9
	v_min_u32_e32 v6, 32, v6
	v_subrev_nc_u32_e32 v7, 29, v6
	v_sub_nc_u32_e32 v6, 30, v6
	v_lshlrev_b32_e32 v4, v7, v4
	v_cndmask_b32_e32 v6, v9, v6, vcc_lo
	v_and_b32_e32 v4, 3, v4
	v_cndmask_b32_e32 v4, v5, v4, vcc_lo
	v_lshl_add_u32 v5, v6, 23, 0x37800000
	v_lshlrev_b32_e32 v4, 21, v4
	v_or3_b32 v4, v3, v5, v4
.LBB35_473:
	s_or_b32 exec_lo, exec_lo, s23
	v_bfe_u32 v3, v4, 16, 1
	v_cmp_o_f32_e32 vcc_lo, v4, v4
	s_mov_b32 s1, 0
	v_add3_u32 v3, v4, v3, 0x7fff
	v_mov_b32_e32 v4, 0x7fc0
	v_cndmask_b32_sdwa v3, v4, v3, vcc_lo dst_sel:DWORD dst_unused:UNUSED_PAD src0_sel:DWORD src1_sel:WORD_1
	s_branch .LBB35_479
.LBB35_474:
	s_mov_b32 s23, -1
                                        ; implicit-def: $vgpr3
	s_branch .LBB35_485
.LBB35_475:
	s_or_saveexec_b32 s23, s23
	v_mov_b32_e32 v4, 0x7f800001
	s_xor_b32 exec_lo, exec_lo, s23
	s_cbranch_execz .LBB35_458
.LBB35_476:
	v_cmp_ne_u16_e32 vcc_lo, 0, v3
	v_mov_b32_e32 v4, 0
	s_andn2_b32 s1, s1, exec_lo
	s_and_b32 s39, vcc_lo, exec_lo
	s_or_b32 s1, s1, s39
	s_or_b32 exec_lo, exec_lo, s23
	s_and_saveexec_b32 s23, s1
	s_cbranch_execnz .LBB35_459
	s_branch .LBB35_460
.LBB35_477:
	s_mov_b32 s1, -1
                                        ; implicit-def: $vgpr3
	s_branch .LBB35_482
.LBB35_478:
	s_mov_b32 s1, -1
                                        ; implicit-def: $vgpr3
.LBB35_479:
	s_and_b32 vcc_lo, exec_lo, s1
	s_cbranch_vccz .LBB35_481
; %bb.480:
	global_load_ubyte v3, v[1:2], off
	s_waitcnt vmcnt(0)
	v_lshlrev_b32_e32 v3, 24, v3
	v_and_b32_e32 v4, 0x7f000000, v3
	v_ffbh_u32_e32 v5, v4
	v_add_nc_u32_e32 v7, 0x1000000, v4
	v_cmp_ne_u32_e32 vcc_lo, 0, v4
	v_min_u32_e32 v5, 32, v5
	v_sub_nc_u32_e64 v5, v5, 4 clamp
	v_lshlrev_b32_e32 v6, v5, v4
	v_lshlrev_b32_e32 v5, 23, v5
	v_lshrrev_b32_e32 v6, 4, v6
	v_sub_nc_u32_e32 v5, v6, v5
	v_ashrrev_i32_e32 v6, 8, v7
	v_add_nc_u32_e32 v5, 0x3c000000, v5
	v_and_or_b32 v5, 0x7f800000, v6, v5
	v_cndmask_b32_e32 v4, 0, v5, vcc_lo
	v_and_or_b32 v3, 0x80000000, v3, v4
	v_bfe_u32 v4, v4, 16, 1
	v_cmp_o_f32_e32 vcc_lo, v3, v3
	v_add3_u32 v3, v3, v4, 0x7fff
	v_mov_b32_e32 v4, 0x7fc0
	v_cndmask_b32_sdwa v3, v4, v3, vcc_lo dst_sel:DWORD dst_unused:UNUSED_PAD src0_sel:DWORD src1_sel:WORD_1
.LBB35_481:
	s_mov_b32 s1, 0
.LBB35_482:
	s_andn2_b32 vcc_lo, exec_lo, s1
	s_cbranch_vccnz .LBB35_484
; %bb.483:
	global_load_ubyte v3, v[1:2], off
	s_waitcnt vmcnt(0)
	v_lshlrev_b32_e32 v4, 25, v3
	v_lshlrev_b16 v3, 8, v3
	v_lshrrev_b32_e32 v5, 4, v4
	v_and_or_b32 v6, 0x7f00, v3, 0.5
	v_cmp_gt_u32_e32 vcc_lo, 0x8000000, v4
	v_bfe_i32 v3, v3, 0, 16
	v_or_b32_e32 v5, 0x70000000, v5
	v_add_f32_e32 v6, -0.5, v6
	v_mul_f32_e32 v5, 0x7800000, v5
	v_cndmask_b32_e32 v4, v5, v6, vcc_lo
	v_and_or_b32 v3, 0x80000000, v3, v4
	v_bfe_u32 v4, v4, 16, 1
	v_cmp_o_f32_e32 vcc_lo, v3, v3
	v_add3_u32 v3, v3, v4, 0x7fff
	v_mov_b32_e32 v4, 0x7fc0
	v_cndmask_b32_sdwa v3, v4, v3, vcc_lo dst_sel:DWORD dst_unused:UNUSED_PAD src0_sel:DWORD src1_sel:WORD_1
.LBB35_484:
	s_mov_b32 s23, 0
	s_mov_b32 s1, -1
.LBB35_485:
	s_andn2_b32 vcc_lo, exec_lo, s23
	s_cbranch_vccnz .LBB35_498
; %bb.486:
	s_cmp_gt_i32 s0, 14
	s_cbranch_scc0 .LBB35_489
; %bb.487:
	s_cmp_eq_u32 s0, 15
	s_cbranch_scc0 .LBB35_492
; %bb.488:
	global_load_ushort v3, v[1:2], off
	s_mov_b32 s1, -1
	s_mov_b32 s22, 0
	s_branch .LBB35_493
.LBB35_489:
	s_mov_b32 s23, -1
                                        ; implicit-def: $vgpr3
	s_branch .LBB35_494
.LBB35_490:
	s_or_saveexec_b32 s23, s23
	v_mov_b32_e32 v4, 0x7f800001
	s_xor_b32 exec_lo, exec_lo, s23
	s_cbranch_execz .LBB35_471
.LBB35_491:
	v_cmp_ne_u16_e32 vcc_lo, 0, v3
	v_mov_b32_e32 v4, 0
	s_andn2_b32 s1, s1, exec_lo
	s_and_b32 s39, vcc_lo, exec_lo
	s_or_b32 s1, s1, s39
	s_or_b32 exec_lo, exec_lo, s23
	s_and_saveexec_b32 s23, s1
	s_cbranch_execnz .LBB35_472
	s_branch .LBB35_473
.LBB35_492:
	s_mov_b32 s22, -1
                                        ; implicit-def: $vgpr3
.LBB35_493:
	s_mov_b32 s23, 0
.LBB35_494:
	s_and_b32 vcc_lo, exec_lo, s23
	s_cbranch_vccz .LBB35_498
; %bb.495:
	s_cmp_eq_u32 s0, 11
	s_cbranch_scc0 .LBB35_497
; %bb.496:
	global_load_ubyte v3, v[1:2], off
	s_mov_b32 s22, 0
	s_mov_b32 s1, -1
	s_waitcnt vmcnt(0)
	v_cmp_ne_u16_e32 vcc_lo, 0, v3
	v_cndmask_b32_e64 v3, 0, 1.0, vcc_lo
	v_lshrrev_b32_e32 v3, 16, v3
	s_branch .LBB35_498
.LBB35_497:
	s_mov_b32 s22, -1
                                        ; implicit-def: $vgpr3
.LBB35_498:
	s_branch .LBB35_297
.LBB35_499:
	s_cmp_lt_i32 s0, 5
	s_cbranch_scc1 .LBB35_504
; %bb.500:
	s_cmp_lt_i32 s0, 8
	s_cbranch_scc1 .LBB35_505
; %bb.501:
	;; [unrolled: 3-line block ×3, first 2 shown]
	s_cmp_gt_i32 s0, 9
	s_cbranch_scc0 .LBB35_507
; %bb.503:
	global_load_dwordx2 v[3:4], v[1:2], off
	s_mov_b32 s1, 0
	s_waitcnt vmcnt(0)
	v_cvt_f32_f64_e32 v3, v[3:4]
	v_bfe_u32 v4, v3, 16, 1
	v_cmp_o_f32_e32 vcc_lo, v3, v3
	v_add3_u32 v3, v3, v4, 0x7fff
	v_mov_b32_e32 v4, 0x7fc0
	v_cndmask_b32_sdwa v3, v4, v3, vcc_lo dst_sel:DWORD dst_unused:UNUSED_PAD src0_sel:DWORD src1_sel:WORD_1
	s_branch .LBB35_508
.LBB35_504:
	s_mov_b32 s1, -1
                                        ; implicit-def: $vgpr3
	s_branch .LBB35_526
.LBB35_505:
	s_mov_b32 s1, -1
                                        ; implicit-def: $vgpr3
	s_branch .LBB35_514
.LBB35_506:
	s_mov_b32 s1, -1
                                        ; implicit-def: $vgpr3
	s_branch .LBB35_511
.LBB35_507:
	s_mov_b32 s1, -1
                                        ; implicit-def: $vgpr3
.LBB35_508:
	s_andn2_b32 vcc_lo, exec_lo, s1
	s_cbranch_vccnz .LBB35_510
; %bb.509:
	global_load_dword v3, v[1:2], off
	s_waitcnt vmcnt(0)
	v_bfe_u32 v4, v3, 16, 1
	v_cmp_o_f32_e32 vcc_lo, v3, v3
	v_add3_u32 v3, v3, v4, 0x7fff
	v_mov_b32_e32 v4, 0x7fc0
	v_cndmask_b32_sdwa v3, v4, v3, vcc_lo dst_sel:DWORD dst_unused:UNUSED_PAD src0_sel:DWORD src1_sel:WORD_1
.LBB35_510:
	s_mov_b32 s1, 0
.LBB35_511:
	s_andn2_b32 vcc_lo, exec_lo, s1
	s_cbranch_vccnz .LBB35_513
; %bb.512:
	global_load_dword v3, v[1:2], off
	s_waitcnt vmcnt(0)
	v_cvt_f32_f16_e32 v4, v3
	v_cmp_o_f16_e32 vcc_lo, v3, v3
	v_bfe_u32 v5, v4, 16, 1
	v_add3_u32 v3, v4, v5, 0x7fff
	v_mov_b32_e32 v4, 0x7fc0
	v_cndmask_b32_sdwa v3, v4, v3, vcc_lo dst_sel:DWORD dst_unused:UNUSED_PAD src0_sel:DWORD src1_sel:WORD_1
.LBB35_513:
	s_mov_b32 s1, 0
.LBB35_514:
	s_andn2_b32 vcc_lo, exec_lo, s1
	s_cbranch_vccnz .LBB35_525
; %bb.515:
	s_cmp_lt_i32 s0, 6
	s_cbranch_scc1 .LBB35_518
; %bb.516:
	s_cmp_gt_i32 s0, 6
	s_cbranch_scc0 .LBB35_519
; %bb.517:
	global_load_dwordx2 v[3:4], v[1:2], off
	s_mov_b32 s1, 0
	s_waitcnt vmcnt(0)
	v_cvt_f32_f64_e32 v3, v[3:4]
	v_bfe_u32 v4, v3, 16, 1
	v_cmp_o_f32_e32 vcc_lo, v3, v3
	v_add3_u32 v3, v3, v4, 0x7fff
	v_mov_b32_e32 v4, 0x7fc0
	v_cndmask_b32_sdwa v3, v4, v3, vcc_lo dst_sel:DWORD dst_unused:UNUSED_PAD src0_sel:DWORD src1_sel:WORD_1
	s_branch .LBB35_520
.LBB35_518:
	s_mov_b32 s1, -1
                                        ; implicit-def: $vgpr3
	s_branch .LBB35_523
.LBB35_519:
	s_mov_b32 s1, -1
                                        ; implicit-def: $vgpr3
.LBB35_520:
	s_andn2_b32 vcc_lo, exec_lo, s1
	s_cbranch_vccnz .LBB35_522
; %bb.521:
	global_load_dword v3, v[1:2], off
	s_waitcnt vmcnt(0)
	v_bfe_u32 v4, v3, 16, 1
	v_cmp_o_f32_e32 vcc_lo, v3, v3
	v_add3_u32 v3, v3, v4, 0x7fff
	v_mov_b32_e32 v4, 0x7fc0
	v_cndmask_b32_sdwa v3, v4, v3, vcc_lo dst_sel:DWORD dst_unused:UNUSED_PAD src0_sel:DWORD src1_sel:WORD_1
.LBB35_522:
	s_mov_b32 s1, 0
.LBB35_523:
	s_andn2_b32 vcc_lo, exec_lo, s1
	s_cbranch_vccnz .LBB35_525
; %bb.524:
	global_load_ushort v3, v[1:2], off
	s_waitcnt vmcnt(0)
	v_cvt_f32_f16_e32 v4, v3
	v_cmp_o_f16_e32 vcc_lo, v3, v3
	v_bfe_u32 v5, v4, 16, 1
	v_add3_u32 v3, v4, v5, 0x7fff
	v_mov_b32_e32 v4, 0x7fc0
	v_cndmask_b32_sdwa v3, v4, v3, vcc_lo dst_sel:DWORD dst_unused:UNUSED_PAD src0_sel:DWORD src1_sel:WORD_1
.LBB35_525:
	s_mov_b32 s1, 0
.LBB35_526:
	s_andn2_b32 vcc_lo, exec_lo, s1
	s_cbranch_vccnz .LBB35_546
; %bb.527:
	s_cmp_lt_i32 s0, 2
	s_cbranch_scc1 .LBB35_531
; %bb.528:
	s_cmp_lt_i32 s0, 3
	s_cbranch_scc1 .LBB35_532
; %bb.529:
	s_cmp_gt_i32 s0, 3
	s_cbranch_scc0 .LBB35_533
; %bb.530:
	global_load_dwordx2 v[3:4], v[1:2], off
	s_mov_b32 s1, 0
	s_waitcnt vmcnt(0)
	v_xor_b32_e32 v5, v3, v4
	v_ffbh_i32_e32 v6, v4
	v_ashrrev_i32_e32 v5, 31, v5
	v_add_nc_u32_e32 v6, -1, v6
	v_add_nc_u32_e32 v5, 32, v5
	v_min_u32_e32 v5, v6, v5
	v_lshlrev_b64 v[3:4], v5, v[3:4]
	v_min_u32_e32 v3, 1, v3
	v_or_b32_e32 v3, v4, v3
	v_sub_nc_u32_e32 v4, 32, v5
	v_cvt_f32_i32_e32 v3, v3
	v_ldexp_f32 v3, v3, v4
	v_bfe_u32 v4, v3, 16, 1
	v_add3_u32 v3, v3, v4, 0x7fff
	v_lshrrev_b32_e32 v3, 16, v3
	s_branch .LBB35_534
.LBB35_531:
	s_mov_b32 s1, -1
                                        ; implicit-def: $vgpr3
	s_branch .LBB35_540
.LBB35_532:
	s_mov_b32 s1, -1
                                        ; implicit-def: $vgpr3
	s_branch .LBB35_537
.LBB35_533:
	s_mov_b32 s1, -1
                                        ; implicit-def: $vgpr3
.LBB35_534:
	s_andn2_b32 vcc_lo, exec_lo, s1
	s_cbranch_vccnz .LBB35_536
; %bb.535:
	global_load_dword v3, v[1:2], off
	s_waitcnt vmcnt(0)
	v_cvt_f32_i32_e32 v3, v3
	v_bfe_u32 v4, v3, 16, 1
	v_add3_u32 v3, v3, v4, 0x7fff
	v_lshrrev_b32_e32 v3, 16, v3
.LBB35_536:
	s_mov_b32 s1, 0
.LBB35_537:
	s_andn2_b32 vcc_lo, exec_lo, s1
	s_cbranch_vccnz .LBB35_539
; %bb.538:
	global_load_sshort v3, v[1:2], off
	s_waitcnt vmcnt(0)
	v_cvt_f32_i32_e32 v3, v3
	v_bfe_u32 v4, v3, 16, 1
	v_add3_u32 v3, v3, v4, 0x7fff
	v_lshrrev_b32_e32 v3, 16, v3
.LBB35_539:
	s_mov_b32 s1, 0
.LBB35_540:
	s_andn2_b32 vcc_lo, exec_lo, s1
	s_cbranch_vccnz .LBB35_546
; %bb.541:
	s_cmp_gt_i32 s0, 0
	s_mov_b32 s0, 0
	s_cbranch_scc0 .LBB35_543
; %bb.542:
	global_load_sbyte v3, v[1:2], off
	s_waitcnt vmcnt(0)
	v_cvt_f32_i32_e32 v3, v3
	v_bfe_u32 v4, v3, 16, 1
	v_add3_u32 v3, v3, v4, 0x7fff
	v_lshrrev_b32_e32 v3, 16, v3
	s_branch .LBB35_544
.LBB35_543:
	s_mov_b32 s0, -1
                                        ; implicit-def: $vgpr3
.LBB35_544:
	s_andn2_b32 vcc_lo, exec_lo, s0
	s_cbranch_vccnz .LBB35_546
; %bb.545:
	global_load_ubyte v1, v[1:2], off
	s_waitcnt vmcnt(0)
	v_cvt_f32_ubyte0_e32 v1, v1
	v_bfe_u32 v2, v1, 16, 1
	v_add3_u32 v1, v1, v2, 0x7fff
	v_lshrrev_b32_e32 v3, 16, v1
.LBB35_546:
	s_branch .LBB35_298
.LBB35_547:
	s_mov_b32 s1, 0
	s_mov_b32 s0, s36
.LBB35_548:
                                        ; implicit-def: $vgpr8
.LBB35_549:
	s_andn2_b32 s23, s36, exec_lo
	s_and_b32 s0, s0, exec_lo
	s_andn2_b32 s39, s37, exec_lo
	s_and_b32 s22, s22, exec_lo
	s_or_b32 s40, s23, s0
	s_or_b32 s39, s39, s22
	s_orn2_b32 s0, s1, exec_lo
.LBB35_550:
	s_or_b32 exec_lo, exec_lo, s41
	s_mov_b32 s1, 0
	s_mov_b32 s23, 0
	;; [unrolled: 1-line block ×3, first 2 shown]
                                        ; implicit-def: $vgpr1_vgpr2
                                        ; implicit-def: $vgpr0
                                        ; implicit-def: $vgpr4
	s_and_saveexec_b32 s41, s0
	s_cbranch_execz .LBB35_930
; %bb.551:
	s_mov_b32 s44, -1
	s_mov_b32 s22, s39
	s_mov_b32 s23, s40
	s_mov_b32 s42, exec_lo
	v_cmpx_gt_i32_e64 s33, v8
	s_cbranch_execz .LBB35_829
; %bb.552:
	s_andn2_b32 vcc_lo, exec_lo, s27
	s_cbranch_vccnz .LBB35_557
; %bb.553:
	s_andn2_b32 vcc_lo, exec_lo, s34
	s_cbranch_vccnz .LBB35_558
; %bb.554:
	s_add_i32 s44, s35, 1
	s_cmp_eq_u32 s25, 2
	s_cbranch_scc1 .LBB35_559
; %bb.555:
	v_mov_b32_e32 v2, 0
	v_mov_b32_e32 v0, 0
	;; [unrolled: 1-line block ×3, first 2 shown]
	s_and_b32 s43, s44, 28
	s_mov_b32 s45, 0
	s_mov_b64 s[0:1], s[2:3]
	s_mov_b64 s[22:23], s[20:21]
.LBB35_556:                             ; =>This Inner Loop Header: Depth=1
	s_clause 0x1
	s_load_dwordx8 s[48:55], s[0:1], 0x4
	s_load_dwordx4 s[64:67], s[0:1], 0x24
	s_load_dwordx8 s[56:63], s[22:23], 0x0
	s_add_u32 s0, s0, 48
	s_addc_u32 s1, s1, 0
	s_add_i32 s45, s45, 4
	s_add_u32 s22, s22, 32
	s_addc_u32 s23, s23, 0
	s_cmp_eq_u32 s43, s45
	s_waitcnt vmcnt(0) lgkmcnt(0)
	v_mul_hi_u32 v3, s49, v1
	v_add_nc_u32_e32 v3, v1, v3
	v_lshrrev_b32_e32 v3, s50, v3
	v_mul_hi_u32 v4, s52, v3
	v_mul_lo_u32 v6, v3, s48
	v_add_nc_u32_e32 v4, v3, v4
	v_sub_nc_u32_e32 v1, v1, v6
	v_lshrrev_b32_e32 v4, s53, v4
	v_mul_lo_u32 v6, v1, s56
	v_mul_lo_u32 v9, v1, s57
	v_mul_hi_u32 v5, s55, v4
	v_add_nc_u32_e32 v5, v4, v5
	v_lshrrev_b32_e32 v5, s64, v5
	v_mul_hi_u32 v7, s66, v5
	v_mul_lo_u32 v10, v5, s54
	v_add_nc_u32_e32 v1, v5, v7
	v_mul_lo_u32 v7, v4, s51
	v_sub_nc_u32_e32 v4, v4, v10
	v_lshrrev_b32_e32 v1, s67, v1
	v_mul_lo_u32 v10, v4, s60
	v_mul_lo_u32 v4, v4, s61
	v_sub_nc_u32_e32 v3, v3, v7
	v_mul_lo_u32 v11, v1, s65
	v_mul_lo_u32 v7, v3, s58
	;; [unrolled: 1-line block ×3, first 2 shown]
	v_sub_nc_u32_e32 v5, v5, v11
	v_add3_u32 v0, v6, v0, v7
	v_mul_lo_u32 v11, v5, s62
	v_mul_lo_u32 v5, v5, s63
	v_add3_u32 v2, v9, v2, v3
	v_add3_u32 v0, v10, v0, v11
	;; [unrolled: 1-line block ×3, first 2 shown]
	s_cbranch_scc0 .LBB35_556
	s_branch .LBB35_560
.LBB35_557:
	s_mov_b32 s0, -1
                                        ; implicit-def: $vgpr0
                                        ; implicit-def: $vgpr2
	s_branch .LBB35_564
.LBB35_558:
	v_mov_b32_e32 v0, 0
	v_mov_b32_e32 v2, 0
	s_branch .LBB35_563
.LBB35_559:
	v_mov_b32_e32 v0, 0
	v_mov_b32_e32 v2, 0
	;; [unrolled: 1-line block ×3, first 2 shown]
	s_mov_b32 s43, 0
.LBB35_560:
	s_and_b32 s44, s44, 3
	s_cmp_eq_u32 s44, 0
	s_cbranch_scc1 .LBB35_563
; %bb.561:
	s_lshl_b32 s0, s43, 3
	s_mul_i32 s22, s43, 12
	s_add_u32 s0, s2, s0
	s_addc_u32 s1, s3, 0
	s_add_u32 s0, s0, 0xc4
	s_addc_u32 s1, s1, 0
	;; [unrolled: 2-line block ×3, first 2 shown]
	.p2align	6
.LBB35_562:                             ; =>This Inner Loop Header: Depth=1
	s_clause 0x1
	s_load_dwordx2 s[46:47], s[22:23], 0x4
	s_load_dword s43, s[22:23], 0xc
	s_load_dwordx2 s[48:49], s[0:1], 0x0
	s_add_u32 s22, s22, 12
	s_addc_u32 s23, s23, 0
	s_add_u32 s0, s0, 8
	s_addc_u32 s1, s1, 0
	s_add_i32 s44, s44, -1
	s_cmp_lg_u32 s44, 0
	s_waitcnt vmcnt(0) lgkmcnt(0)
	v_mul_hi_u32 v3, s47, v1
	v_add_nc_u32_e32 v3, v1, v3
	v_lshrrev_b32_e32 v4, s43, v3
	v_mul_lo_u32 v3, v4, s46
	v_sub_nc_u32_e32 v3, v1, v3
	v_mad_u64_u32 v[0:1], null, v3, s48, v[0:1]
	v_mad_u64_u32 v[2:3], null, v3, s49, v[2:3]
	v_mov_b32_e32 v1, v4
	s_cbranch_scc1 .LBB35_562
.LBB35_563:
	s_mov_b32 s0, 0
.LBB35_564:
	s_andn2_b32 vcc_lo, exec_lo, s0
	s_cbranch_vccnz .LBB35_567
; %bb.565:
	s_waitcnt lgkmcnt(0)
	v_mul_hi_u32 v0, s17, v8
	s_andn2_b32 vcc_lo, exec_lo, s31
	v_add_nc_u32_e32 v0, v8, v0
	v_lshrrev_b32_e32 v1, s18, v0
	v_mul_lo_u32 v0, v1, s16
	v_sub_nc_u32_e32 v2, v8, v0
	v_mul_lo_u32 v0, v2, s12
	v_mul_lo_u32 v2, v2, s13
	s_cbranch_vccnz .LBB35_567
; %bb.566:
	s_waitcnt vmcnt(0)
	v_mul_hi_u32 v3, s6, v1
	v_add_nc_u32_e32 v3, v1, v3
	v_lshrrev_b32_e32 v3, s7, v3
	v_mul_lo_u32 v3, v3, s19
	v_sub_nc_u32_e32 v3, v1, v3
	v_mad_u64_u32 v[0:1], null, v3, s14, v[0:1]
	v_mad_u64_u32 v[2:3], null, v3, s15, v[2:3]
.LBB35_567:
	s_waitcnt lgkmcnt(0)
	v_add_co_u32 v1, s0, s10, v2
	v_add_co_ci_u32_e64 v2, null, s11, 0, s0
	s_and_b32 s0, 0xffff, s30
	s_cmp_lt_i32 s0, 11
	s_cbranch_scc1 .LBB35_574
; %bb.568:
	s_cmp_gt_i32 s0, 25
	s_cbranch_scc0 .LBB35_575
; %bb.569:
	s_cmp_gt_i32 s0, 28
	s_cbranch_scc0 .LBB35_576
; %bb.570:
	s_cmp_gt_i32 s0, 43
	s_cbranch_scc0 .LBB35_577
; %bb.571:
	s_cmp_gt_i32 s0, 45
	s_cbranch_scc0 .LBB35_580
; %bb.572:
	s_cmp_eq_u32 s0, 46
	s_mov_b32 s23, 0
	s_cbranch_scc0 .LBB35_583
; %bb.573:
	global_load_dword v3, v[1:2], off
	s_mov_b32 s1, -1
	s_mov_b32 s22, 0
	s_branch .LBB35_585
.LBB35_574:
	s_mov_b32 s23, -1
	s_mov_b32 s1, 0
	s_mov_b32 s22, s39
                                        ; implicit-def: $vgpr3
	s_branch .LBB35_650
.LBB35_575:
	s_mov_b32 s23, -1
	s_mov_b32 s1, 0
	s_mov_b32 s22, s39
                                        ; implicit-def: $vgpr3
	s_branch .LBB35_614
.LBB35_576:
	s_mov_b32 s23, -1
	s_mov_b32 s1, 0
	s_mov_b32 s22, s39
                                        ; implicit-def: $vgpr3
	s_branch .LBB35_595
.LBB35_577:
	s_mov_b32 s23, -1
	s_mov_b32 s1, 0
	s_mov_b32 s22, s39
                                        ; implicit-def: $vgpr3
	s_branch .LBB35_590
.LBB35_578:
	s_andn2_saveexec_b32 s42, s42
	s_cbranch_execz .LBB35_387
.LBB35_579:
	v_add_f32_e64 v4, 0x46000000, |v5|
	s_andn2_b32 s40, s40, exec_lo
	v_and_b32_e32 v4, 0xff, v4
	v_cmp_ne_u32_e32 vcc_lo, 0, v4
	s_and_b32 s43, vcc_lo, exec_lo
	s_or_b32 s40, s40, s43
	s_or_b32 exec_lo, exec_lo, s42
	v_mov_b32_e32 v6, 0
	s_and_saveexec_b32 s42, s40
	s_cbranch_execnz .LBB35_388
	s_branch .LBB35_389
.LBB35_580:
	s_mov_b32 s23, -1
	s_mov_b32 s1, 0
	s_mov_b32 s22, s39
	s_branch .LBB35_584
.LBB35_581:
	s_andn2_saveexec_b32 s42, s42
	s_cbranch_execz .LBB35_400
.LBB35_582:
	v_add_f32_e64 v4, 0x42800000, |v5|
	s_andn2_b32 s40, s40, exec_lo
	v_and_b32_e32 v4, 0xff, v4
	v_cmp_ne_u32_e32 vcc_lo, 0, v4
	s_and_b32 s43, vcc_lo, exec_lo
	s_or_b32 s40, s40, s43
	s_or_b32 exec_lo, exec_lo, s42
	v_mov_b32_e32 v6, 0
	s_and_saveexec_b32 s42, s40
	s_cbranch_execnz .LBB35_401
	s_branch .LBB35_402
.LBB35_583:
	s_mov_b32 s22, -1
	s_mov_b32 s1, 0
.LBB35_584:
                                        ; implicit-def: $vgpr3
.LBB35_585:
	s_and_b32 vcc_lo, exec_lo, s23
	s_cbranch_vccz .LBB35_589
; %bb.586:
	s_cmp_eq_u32 s0, 44
	s_cbranch_scc0 .LBB35_588
; %bb.587:
	global_load_ubyte v3, v[1:2], off
	s_mov_b32 s22, 0
	s_mov_b32 s1, -1
	s_waitcnt vmcnt(0)
	v_lshlrev_b32_e32 v4, 23, v3
	v_cmp_ne_u32_e32 vcc_lo, 0xff, v3
	v_cndmask_b32_e32 v4, 0x7f800001, v4, vcc_lo
	v_cmp_ne_u32_e32 vcc_lo, 0, v3
	v_cndmask_b32_e32 v3, 0x400000, v4, vcc_lo
	v_mov_b32_e32 v4, 0x7fc0
	v_cmp_o_f32_e32 vcc_lo, v3, v3
	v_add_nc_u32_e32 v3, 0x7fff, v3
	v_cndmask_b32_sdwa v3, v4, v3, vcc_lo dst_sel:DWORD dst_unused:UNUSED_PAD src0_sel:DWORD src1_sel:WORD_1
	s_branch .LBB35_589
.LBB35_588:
	s_mov_b32 s22, -1
                                        ; implicit-def: $vgpr3
.LBB35_589:
	s_mov_b32 s23, 0
.LBB35_590:
	s_and_b32 vcc_lo, exec_lo, s23
	s_cbranch_vccz .LBB35_594
; %bb.591:
	s_cmp_eq_u32 s0, 29
	s_cbranch_scc0 .LBB35_593
; %bb.592:
	global_load_dwordx2 v[3:4], v[1:2], off
	s_mov_b32 s1, -1
	s_mov_b32 s22, 0
	s_mov_b32 s23, 0
	s_waitcnt vmcnt(0)
	v_ffbh_u32_e32 v5, v4
	v_min_u32_e32 v5, 32, v5
	v_lshlrev_b64 v[3:4], v5, v[3:4]
	v_min_u32_e32 v3, 1, v3
	v_or_b32_e32 v3, v4, v3
	v_sub_nc_u32_e32 v4, 32, v5
	v_cvt_f32_u32_e32 v3, v3
	v_ldexp_f32 v3, v3, v4
	v_bfe_u32 v4, v3, 16, 1
	v_add3_u32 v3, v3, v4, 0x7fff
	v_lshrrev_b32_e32 v3, 16, v3
	s_branch .LBB35_595
.LBB35_593:
	s_mov_b32 s22, -1
                                        ; implicit-def: $vgpr3
.LBB35_594:
	s_mov_b32 s23, 0
.LBB35_595:
	s_and_b32 vcc_lo, exec_lo, s23
	s_cbranch_vccz .LBB35_613
; %bb.596:
	s_cmp_lt_i32 s0, 27
	s_cbranch_scc1 .LBB35_599
; %bb.597:
	s_cmp_gt_i32 s0, 27
	s_cbranch_scc0 .LBB35_600
; %bb.598:
	global_load_dword v3, v[1:2], off
	s_mov_b32 s1, 0
	s_waitcnt vmcnt(0)
	v_cvt_f32_u32_e32 v3, v3
	v_bfe_u32 v4, v3, 16, 1
	v_add3_u32 v3, v3, v4, 0x7fff
	v_lshrrev_b32_e32 v3, 16, v3
	s_branch .LBB35_601
.LBB35_599:
	s_mov_b32 s1, -1
                                        ; implicit-def: $vgpr3
	s_branch .LBB35_604
.LBB35_600:
	s_mov_b32 s1, -1
                                        ; implicit-def: $vgpr3
.LBB35_601:
	s_andn2_b32 vcc_lo, exec_lo, s1
	s_cbranch_vccnz .LBB35_603
; %bb.602:
	global_load_ushort v3, v[1:2], off
	s_waitcnt vmcnt(0)
	v_cvt_f32_u32_e32 v3, v3
	v_bfe_u32 v4, v3, 16, 1
	v_add3_u32 v3, v3, v4, 0x7fff
	v_lshrrev_b32_e32 v3, 16, v3
.LBB35_603:
	s_mov_b32 s1, 0
.LBB35_604:
	s_andn2_b32 vcc_lo, exec_lo, s1
	s_cbranch_vccnz .LBB35_612
; %bb.605:
	global_load_ubyte v3, v[1:2], off
	s_mov_b32 s1, 0
	s_mov_b32 s23, exec_lo
	s_waitcnt vmcnt(0)
	v_cmpx_lt_i16_e32 0x7f, v3
	s_xor_b32 s23, exec_lo, s23
	s_cbranch_execz .LBB35_626
; %bb.606:
	s_mov_b32 s1, -1
	s_mov_b32 s43, exec_lo
	v_cmpx_eq_u16_e32 0x80, v3
; %bb.607:
	s_xor_b32 s1, exec_lo, -1
; %bb.608:
	s_or_b32 exec_lo, exec_lo, s43
	s_and_b32 s1, s1, exec_lo
	s_or_saveexec_b32 s23, s23
	v_mov_b32_e32 v4, 0x7f800001
	s_xor_b32 exec_lo, exec_lo, s23
	s_cbranch_execnz .LBB35_627
.LBB35_609:
	s_or_b32 exec_lo, exec_lo, s23
	s_and_saveexec_b32 s23, s1
	s_cbranch_execz .LBB35_611
.LBB35_610:
	v_and_b32_e32 v4, 0xffff, v3
	v_lshlrev_b32_e32 v3, 24, v3
	v_and_b32_e32 v5, 7, v4
	v_bfe_u32 v9, v4, 3, 4
	v_and_b32_e32 v3, 0x80000000, v3
	v_ffbh_u32_e32 v6, v5
	v_cmp_eq_u32_e32 vcc_lo, 0, v9
	v_min_u32_e32 v6, 32, v6
	v_subrev_nc_u32_e32 v7, 28, v6
	v_sub_nc_u32_e32 v6, 29, v6
	v_lshlrev_b32_e32 v4, v7, v4
	v_cndmask_b32_e32 v6, v9, v6, vcc_lo
	v_and_b32_e32 v4, 7, v4
	v_cndmask_b32_e32 v4, v5, v4, vcc_lo
	v_lshl_add_u32 v5, v6, 23, 0x3b800000
	v_lshlrev_b32_e32 v4, 20, v4
	v_or3_b32 v4, v3, v5, v4
.LBB35_611:
	s_or_b32 exec_lo, exec_lo, s23
	v_bfe_u32 v3, v4, 16, 1
	v_cmp_o_f32_e32 vcc_lo, v4, v4
	v_add3_u32 v3, v4, v3, 0x7fff
	v_mov_b32_e32 v4, 0x7fc0
	v_cndmask_b32_sdwa v3, v4, v3, vcc_lo dst_sel:DWORD dst_unused:UNUSED_PAD src0_sel:DWORD src1_sel:WORD_1
.LBB35_612:
	s_mov_b32 s1, -1
.LBB35_613:
	s_mov_b32 s23, 0
.LBB35_614:
	s_and_b32 vcc_lo, exec_lo, s23
	s_cbranch_vccz .LBB35_649
; %bb.615:
	s_cmp_gt_i32 s0, 22
	s_cbranch_scc0 .LBB35_625
; %bb.616:
	s_cmp_lt_i32 s0, 24
	s_cbranch_scc1 .LBB35_628
; %bb.617:
	s_cmp_gt_i32 s0, 24
	s_cbranch_scc0 .LBB35_629
; %bb.618:
	global_load_ubyte v3, v[1:2], off
	s_mov_b32 s1, 0
	s_mov_b32 s23, exec_lo
	s_waitcnt vmcnt(0)
	v_cmpx_lt_i16_e32 0x7f, v3
	s_xor_b32 s23, exec_lo, s23
	s_cbranch_execz .LBB35_641
; %bb.619:
	s_mov_b32 s1, -1
	s_mov_b32 s43, exec_lo
	v_cmpx_eq_u16_e32 0x80, v3
; %bb.620:
	s_xor_b32 s1, exec_lo, -1
; %bb.621:
	s_or_b32 exec_lo, exec_lo, s43
	s_and_b32 s1, s1, exec_lo
	s_or_saveexec_b32 s23, s23
	v_mov_b32_e32 v4, 0x7f800001
	s_xor_b32 exec_lo, exec_lo, s23
	s_cbranch_execnz .LBB35_642
.LBB35_622:
	s_or_b32 exec_lo, exec_lo, s23
	s_and_saveexec_b32 s23, s1
	s_cbranch_execz .LBB35_624
.LBB35_623:
	v_and_b32_e32 v4, 0xffff, v3
	v_lshlrev_b32_e32 v3, 24, v3
	v_and_b32_e32 v5, 3, v4
	v_bfe_u32 v9, v4, 2, 5
	v_and_b32_e32 v3, 0x80000000, v3
	v_ffbh_u32_e32 v6, v5
	v_cmp_eq_u32_e32 vcc_lo, 0, v9
	v_min_u32_e32 v6, 32, v6
	v_subrev_nc_u32_e32 v7, 29, v6
	v_sub_nc_u32_e32 v6, 30, v6
	v_lshlrev_b32_e32 v4, v7, v4
	v_cndmask_b32_e32 v6, v9, v6, vcc_lo
	v_and_b32_e32 v4, 3, v4
	v_cndmask_b32_e32 v4, v5, v4, vcc_lo
	v_lshl_add_u32 v5, v6, 23, 0x37800000
	v_lshlrev_b32_e32 v4, 21, v4
	v_or3_b32 v4, v3, v5, v4
.LBB35_624:
	s_or_b32 exec_lo, exec_lo, s23
	v_bfe_u32 v3, v4, 16, 1
	v_cmp_o_f32_e32 vcc_lo, v4, v4
	s_mov_b32 s1, 0
	v_add3_u32 v3, v4, v3, 0x7fff
	v_mov_b32_e32 v4, 0x7fc0
	v_cndmask_b32_sdwa v3, v4, v3, vcc_lo dst_sel:DWORD dst_unused:UNUSED_PAD src0_sel:DWORD src1_sel:WORD_1
	s_branch .LBB35_630
.LBB35_625:
	s_mov_b32 s23, -1
                                        ; implicit-def: $vgpr3
	s_branch .LBB35_636
.LBB35_626:
	s_or_saveexec_b32 s23, s23
	v_mov_b32_e32 v4, 0x7f800001
	s_xor_b32 exec_lo, exec_lo, s23
	s_cbranch_execz .LBB35_609
.LBB35_627:
	v_cmp_ne_u16_e32 vcc_lo, 0, v3
	v_mov_b32_e32 v4, 0
	s_andn2_b32 s1, s1, exec_lo
	s_and_b32 s43, vcc_lo, exec_lo
	s_or_b32 s1, s1, s43
	s_or_b32 exec_lo, exec_lo, s23
	s_and_saveexec_b32 s23, s1
	s_cbranch_execnz .LBB35_610
	s_branch .LBB35_611
.LBB35_628:
	s_mov_b32 s1, -1
                                        ; implicit-def: $vgpr3
	s_branch .LBB35_633
.LBB35_629:
	s_mov_b32 s1, -1
                                        ; implicit-def: $vgpr3
.LBB35_630:
	s_and_b32 vcc_lo, exec_lo, s1
	s_cbranch_vccz .LBB35_632
; %bb.631:
	global_load_ubyte v3, v[1:2], off
	s_waitcnt vmcnt(0)
	v_lshlrev_b32_e32 v3, 24, v3
	v_and_b32_e32 v4, 0x7f000000, v3
	v_ffbh_u32_e32 v5, v4
	v_add_nc_u32_e32 v7, 0x1000000, v4
	v_cmp_ne_u32_e32 vcc_lo, 0, v4
	v_min_u32_e32 v5, 32, v5
	v_sub_nc_u32_e64 v5, v5, 4 clamp
	v_lshlrev_b32_e32 v6, v5, v4
	v_lshlrev_b32_e32 v5, 23, v5
	v_lshrrev_b32_e32 v6, 4, v6
	v_sub_nc_u32_e32 v5, v6, v5
	v_ashrrev_i32_e32 v6, 8, v7
	v_add_nc_u32_e32 v5, 0x3c000000, v5
	v_and_or_b32 v5, 0x7f800000, v6, v5
	v_cndmask_b32_e32 v4, 0, v5, vcc_lo
	v_and_or_b32 v3, 0x80000000, v3, v4
	v_bfe_u32 v4, v4, 16, 1
	v_cmp_o_f32_e32 vcc_lo, v3, v3
	v_add3_u32 v3, v3, v4, 0x7fff
	v_mov_b32_e32 v4, 0x7fc0
	v_cndmask_b32_sdwa v3, v4, v3, vcc_lo dst_sel:DWORD dst_unused:UNUSED_PAD src0_sel:DWORD src1_sel:WORD_1
.LBB35_632:
	s_mov_b32 s1, 0
.LBB35_633:
	s_andn2_b32 vcc_lo, exec_lo, s1
	s_cbranch_vccnz .LBB35_635
; %bb.634:
	global_load_ubyte v3, v[1:2], off
	s_waitcnt vmcnt(0)
	v_lshlrev_b32_e32 v4, 25, v3
	v_lshlrev_b16 v3, 8, v3
	v_lshrrev_b32_e32 v5, 4, v4
	v_and_or_b32 v6, 0x7f00, v3, 0.5
	v_cmp_gt_u32_e32 vcc_lo, 0x8000000, v4
	v_bfe_i32 v3, v3, 0, 16
	v_or_b32_e32 v5, 0x70000000, v5
	v_add_f32_e32 v6, -0.5, v6
	v_mul_f32_e32 v5, 0x7800000, v5
	v_cndmask_b32_e32 v4, v5, v6, vcc_lo
	v_and_or_b32 v3, 0x80000000, v3, v4
	v_bfe_u32 v4, v4, 16, 1
	v_cmp_o_f32_e32 vcc_lo, v3, v3
	v_add3_u32 v3, v3, v4, 0x7fff
	v_mov_b32_e32 v4, 0x7fc0
	v_cndmask_b32_sdwa v3, v4, v3, vcc_lo dst_sel:DWORD dst_unused:UNUSED_PAD src0_sel:DWORD src1_sel:WORD_1
.LBB35_635:
	s_mov_b32 s23, 0
	s_mov_b32 s1, -1
.LBB35_636:
	s_andn2_b32 vcc_lo, exec_lo, s23
	s_cbranch_vccnz .LBB35_649
; %bb.637:
	s_cmp_gt_i32 s0, 14
	s_cbranch_scc0 .LBB35_640
; %bb.638:
	s_cmp_eq_u32 s0, 15
	s_cbranch_scc0 .LBB35_643
; %bb.639:
	global_load_ushort v3, v[1:2], off
	s_mov_b32 s1, -1
	s_mov_b32 s22, 0
	s_branch .LBB35_644
.LBB35_640:
	s_mov_b32 s23, -1
                                        ; implicit-def: $vgpr3
	s_branch .LBB35_645
.LBB35_641:
	s_or_saveexec_b32 s23, s23
	v_mov_b32_e32 v4, 0x7f800001
	s_xor_b32 exec_lo, exec_lo, s23
	s_cbranch_execz .LBB35_622
.LBB35_642:
	v_cmp_ne_u16_e32 vcc_lo, 0, v3
	v_mov_b32_e32 v4, 0
	s_andn2_b32 s1, s1, exec_lo
	s_and_b32 s43, vcc_lo, exec_lo
	s_or_b32 s1, s1, s43
	s_or_b32 exec_lo, exec_lo, s23
	s_and_saveexec_b32 s23, s1
	s_cbranch_execnz .LBB35_623
	s_branch .LBB35_624
.LBB35_643:
	s_mov_b32 s22, -1
                                        ; implicit-def: $vgpr3
.LBB35_644:
	s_mov_b32 s23, 0
.LBB35_645:
	s_and_b32 vcc_lo, exec_lo, s23
	s_cbranch_vccz .LBB35_649
; %bb.646:
	s_cmp_eq_u32 s0, 11
	s_cbranch_scc0 .LBB35_648
; %bb.647:
	global_load_ubyte v3, v[1:2], off
	s_mov_b32 s22, 0
	s_mov_b32 s1, -1
	s_waitcnt vmcnt(0)
	v_cmp_ne_u16_e32 vcc_lo, 0, v3
	v_cndmask_b32_e64 v3, 0, 1.0, vcc_lo
	v_lshrrev_b32_e32 v3, 16, v3
	s_branch .LBB35_649
.LBB35_648:
	s_mov_b32 s22, -1
                                        ; implicit-def: $vgpr3
.LBB35_649:
	s_mov_b32 s23, 0
.LBB35_650:
	s_and_b32 vcc_lo, exec_lo, s23
	s_cbranch_vccz .LBB35_699
; %bb.651:
	s_cmp_lt_i32 s0, 5
	s_cbranch_scc1 .LBB35_656
; %bb.652:
	s_cmp_lt_i32 s0, 8
	s_cbranch_scc1 .LBB35_657
	;; [unrolled: 3-line block ×3, first 2 shown]
; %bb.654:
	s_cmp_gt_i32 s0, 9
	s_cbranch_scc0 .LBB35_659
; %bb.655:
	global_load_dwordx2 v[3:4], v[1:2], off
	s_mov_b32 s1, 0
	s_waitcnt vmcnt(0)
	v_cvt_f32_f64_e32 v3, v[3:4]
	v_bfe_u32 v4, v3, 16, 1
	v_cmp_o_f32_e32 vcc_lo, v3, v3
	v_add3_u32 v3, v3, v4, 0x7fff
	v_mov_b32_e32 v4, 0x7fc0
	v_cndmask_b32_sdwa v3, v4, v3, vcc_lo dst_sel:DWORD dst_unused:UNUSED_PAD src0_sel:DWORD src1_sel:WORD_1
	s_branch .LBB35_660
.LBB35_656:
	s_mov_b32 s1, -1
                                        ; implicit-def: $vgpr3
	s_branch .LBB35_678
.LBB35_657:
	s_mov_b32 s1, -1
                                        ; implicit-def: $vgpr3
	s_branch .LBB35_666
.LBB35_658:
	s_mov_b32 s1, -1
                                        ; implicit-def: $vgpr3
	s_branch .LBB35_663
.LBB35_659:
	s_mov_b32 s1, -1
                                        ; implicit-def: $vgpr3
.LBB35_660:
	s_andn2_b32 vcc_lo, exec_lo, s1
	s_cbranch_vccnz .LBB35_662
; %bb.661:
	global_load_dword v3, v[1:2], off
	s_waitcnt vmcnt(0)
	v_bfe_u32 v4, v3, 16, 1
	v_cmp_o_f32_e32 vcc_lo, v3, v3
	v_add3_u32 v3, v3, v4, 0x7fff
	v_mov_b32_e32 v4, 0x7fc0
	v_cndmask_b32_sdwa v3, v4, v3, vcc_lo dst_sel:DWORD dst_unused:UNUSED_PAD src0_sel:DWORD src1_sel:WORD_1
.LBB35_662:
	s_mov_b32 s1, 0
.LBB35_663:
	s_andn2_b32 vcc_lo, exec_lo, s1
	s_cbranch_vccnz .LBB35_665
; %bb.664:
	global_load_dword v3, v[1:2], off
	s_waitcnt vmcnt(0)
	v_cvt_f32_f16_e32 v4, v3
	v_cmp_o_f16_e32 vcc_lo, v3, v3
	v_bfe_u32 v5, v4, 16, 1
	v_add3_u32 v3, v4, v5, 0x7fff
	v_mov_b32_e32 v4, 0x7fc0
	v_cndmask_b32_sdwa v3, v4, v3, vcc_lo dst_sel:DWORD dst_unused:UNUSED_PAD src0_sel:DWORD src1_sel:WORD_1
.LBB35_665:
	s_mov_b32 s1, 0
.LBB35_666:
	s_andn2_b32 vcc_lo, exec_lo, s1
	s_cbranch_vccnz .LBB35_677
; %bb.667:
	s_cmp_lt_i32 s0, 6
	s_cbranch_scc1 .LBB35_670
; %bb.668:
	s_cmp_gt_i32 s0, 6
	s_cbranch_scc0 .LBB35_671
; %bb.669:
	global_load_dwordx2 v[3:4], v[1:2], off
	s_mov_b32 s1, 0
	s_waitcnt vmcnt(0)
	v_cvt_f32_f64_e32 v3, v[3:4]
	v_bfe_u32 v4, v3, 16, 1
	v_cmp_o_f32_e32 vcc_lo, v3, v3
	v_add3_u32 v3, v3, v4, 0x7fff
	v_mov_b32_e32 v4, 0x7fc0
	v_cndmask_b32_sdwa v3, v4, v3, vcc_lo dst_sel:DWORD dst_unused:UNUSED_PAD src0_sel:DWORD src1_sel:WORD_1
	s_branch .LBB35_672
.LBB35_670:
	s_mov_b32 s1, -1
                                        ; implicit-def: $vgpr3
	s_branch .LBB35_675
.LBB35_671:
	s_mov_b32 s1, -1
                                        ; implicit-def: $vgpr3
.LBB35_672:
	s_andn2_b32 vcc_lo, exec_lo, s1
	s_cbranch_vccnz .LBB35_674
; %bb.673:
	global_load_dword v3, v[1:2], off
	s_waitcnt vmcnt(0)
	v_bfe_u32 v4, v3, 16, 1
	v_cmp_o_f32_e32 vcc_lo, v3, v3
	v_add3_u32 v3, v3, v4, 0x7fff
	v_mov_b32_e32 v4, 0x7fc0
	v_cndmask_b32_sdwa v3, v4, v3, vcc_lo dst_sel:DWORD dst_unused:UNUSED_PAD src0_sel:DWORD src1_sel:WORD_1
.LBB35_674:
	s_mov_b32 s1, 0
.LBB35_675:
	s_andn2_b32 vcc_lo, exec_lo, s1
	s_cbranch_vccnz .LBB35_677
; %bb.676:
	global_load_ushort v3, v[1:2], off
	s_waitcnt vmcnt(0)
	v_cvt_f32_f16_e32 v4, v3
	v_cmp_o_f16_e32 vcc_lo, v3, v3
	v_bfe_u32 v5, v4, 16, 1
	v_add3_u32 v3, v4, v5, 0x7fff
	v_mov_b32_e32 v4, 0x7fc0
	v_cndmask_b32_sdwa v3, v4, v3, vcc_lo dst_sel:DWORD dst_unused:UNUSED_PAD src0_sel:DWORD src1_sel:WORD_1
.LBB35_677:
	s_mov_b32 s1, 0
.LBB35_678:
	s_andn2_b32 vcc_lo, exec_lo, s1
	s_cbranch_vccnz .LBB35_698
; %bb.679:
	s_cmp_lt_i32 s0, 2
	s_cbranch_scc1 .LBB35_683
; %bb.680:
	s_cmp_lt_i32 s0, 3
	s_cbranch_scc1 .LBB35_684
; %bb.681:
	s_cmp_gt_i32 s0, 3
	s_cbranch_scc0 .LBB35_685
; %bb.682:
	global_load_dwordx2 v[3:4], v[1:2], off
	s_mov_b32 s1, 0
	s_waitcnt vmcnt(0)
	v_xor_b32_e32 v5, v3, v4
	v_ffbh_i32_e32 v6, v4
	v_ashrrev_i32_e32 v5, 31, v5
	v_add_nc_u32_e32 v6, -1, v6
	v_add_nc_u32_e32 v5, 32, v5
	v_min_u32_e32 v5, v6, v5
	v_lshlrev_b64 v[3:4], v5, v[3:4]
	v_min_u32_e32 v3, 1, v3
	v_or_b32_e32 v3, v4, v3
	v_sub_nc_u32_e32 v4, 32, v5
	v_cvt_f32_i32_e32 v3, v3
	v_ldexp_f32 v3, v3, v4
	v_bfe_u32 v4, v3, 16, 1
	v_add3_u32 v3, v3, v4, 0x7fff
	v_lshrrev_b32_e32 v3, 16, v3
	s_branch .LBB35_686
.LBB35_683:
	s_mov_b32 s1, -1
                                        ; implicit-def: $vgpr3
	s_branch .LBB35_692
.LBB35_684:
	s_mov_b32 s1, -1
                                        ; implicit-def: $vgpr3
	s_branch .LBB35_689
.LBB35_685:
	s_mov_b32 s1, -1
                                        ; implicit-def: $vgpr3
.LBB35_686:
	s_andn2_b32 vcc_lo, exec_lo, s1
	s_cbranch_vccnz .LBB35_688
; %bb.687:
	global_load_dword v3, v[1:2], off
	s_waitcnt vmcnt(0)
	v_cvt_f32_i32_e32 v3, v3
	v_bfe_u32 v4, v3, 16, 1
	v_add3_u32 v3, v3, v4, 0x7fff
	v_lshrrev_b32_e32 v3, 16, v3
.LBB35_688:
	s_mov_b32 s1, 0
.LBB35_689:
	s_andn2_b32 vcc_lo, exec_lo, s1
	s_cbranch_vccnz .LBB35_691
; %bb.690:
	global_load_sshort v3, v[1:2], off
	s_waitcnt vmcnt(0)
	v_cvt_f32_i32_e32 v3, v3
	v_bfe_u32 v4, v3, 16, 1
	v_add3_u32 v3, v3, v4, 0x7fff
	v_lshrrev_b32_e32 v3, 16, v3
.LBB35_691:
	s_mov_b32 s1, 0
.LBB35_692:
	s_andn2_b32 vcc_lo, exec_lo, s1
	s_cbranch_vccnz .LBB35_698
; %bb.693:
	s_cmp_gt_i32 s0, 0
	s_mov_b32 s0, 0
	s_cbranch_scc0 .LBB35_695
; %bb.694:
	global_load_sbyte v3, v[1:2], off
	s_waitcnt vmcnt(0)
	v_cvt_f32_i32_e32 v3, v3
	v_bfe_u32 v4, v3, 16, 1
	v_add3_u32 v3, v3, v4, 0x7fff
	v_lshrrev_b32_e32 v3, 16, v3
	s_branch .LBB35_696
.LBB35_695:
	s_mov_b32 s0, -1
                                        ; implicit-def: $vgpr3
.LBB35_696:
	s_andn2_b32 vcc_lo, exec_lo, s0
	s_cbranch_vccnz .LBB35_698
; %bb.697:
	global_load_ubyte v1, v[1:2], off
	s_waitcnt vmcnt(0)
	v_cvt_f32_ubyte0_e32 v1, v1
	v_bfe_u32 v2, v1, 16, 1
	v_add3_u32 v1, v1, v2, 0x7fff
	v_lshrrev_b32_e32 v3, 16, v1
.LBB35_698:
	s_mov_b32 s1, -1
.LBB35_699:
	s_andn2_b32 vcc_lo, exec_lo, s1
	s_cbranch_vccnz .LBB35_711
; %bb.700:
	s_waitcnt vmcnt(0)
	v_lshlrev_b32_e32 v1, 16, v3
                                        ; implicit-def: $vgpr4
                                        ; implicit-def: $vgpr3
	s_mov_b32 s1, exec_lo
	v_and_b32_e32 v2, 0x7fffffff, v1
	v_cmpx_ngt_f32_e64 0x48000000, |v1|
	s_xor_b32 s23, exec_lo, s1
	s_cbranch_execz .LBB35_702
; %bb.701:
	s_mov_b32 s0, 0x7fffff
	v_mov_b32_e32 v5, 0
	v_and_or_b32 v14, v2, s0, 0x800000
	v_mad_u64_u32 v[3:4], null, 0xfe5163ab, v14, 0
	v_mad_u64_u32 v[6:7], null, 0x3c439041, v14, v[4:5]
	v_mov_b32_e32 v4, v7
	v_lshrrev_b32_e32 v7, 23, v2
	v_mad_u64_u32 v[9:10], null, 0xdb629599, v14, v[4:5]
	v_add_nc_u32_e32 v7, 0xffffff88, v7
	v_cmp_lt_u32_e32 vcc_lo, 63, v7
	v_mov_b32_e32 v4, v10
	v_cndmask_b32_e64 v13, 0, 0xffffffc0, vcc_lo
	v_mad_u64_u32 v[10:11], null, 0xf534ddc0, v14, v[4:5]
	v_cndmask_b32_e32 v3, v9, v3, vcc_lo
	v_add_nc_u32_e32 v7, v13, v7
	v_mov_b32_e32 v4, v11
	v_cmp_lt_u32_e64 s0, 31, v7
	v_cndmask_b32_e32 v6, v10, v6, vcc_lo
	v_mad_u64_u32 v[11:12], null, 0xfc2757d1, v14, v[4:5]
	v_cndmask_b32_e64 v15, 0, 0xffffffe0, s0
	v_cndmask_b32_e64 v3, v6, v3, s0
	v_add_nc_u32_e32 v7, v15, v7
	v_mov_b32_e32 v4, v12
	v_cmp_lt_u32_e64 s1, 31, v7
	v_mad_u64_u32 v[12:13], null, 0x4e441529, v14, v[4:5]
	v_mov_b32_e32 v4, v13
	v_cndmask_b32_e64 v13, 0, 0xffffffe0, s1
	v_mad_u64_u32 v[4:5], null, 0xa2f9836e, v14, v[4:5]
	v_cndmask_b32_e32 v14, v12, v10, vcc_lo
	v_add_nc_u32_e32 v7, v13, v7
	v_cndmask_b32_e32 v4, v4, v11, vcc_lo
	v_cndmask_b32_e32 v5, v5, v12, vcc_lo
	v_cndmask_b32_e32 v11, v11, v9, vcc_lo
	v_sub_nc_u32_e32 v12, 32, v7
	v_cmp_eq_u32_e32 vcc_lo, 0, v7
	v_cndmask_b32_e64 v10, v4, v14, s0
	v_cndmask_b32_e64 v4, v5, v4, s0
	;; [unrolled: 1-line block ×8, first 2 shown]
	v_alignbit_b32 v13, v4, v10, v12
	v_alignbit_b32 v9, v10, v5, v12
	;; [unrolled: 1-line block ×3, first 2 shown]
	v_cndmask_b32_e32 v4, v13, v4, vcc_lo
	v_cndmask_b32_e32 v6, v9, v10, vcc_lo
	;; [unrolled: 1-line block ×3, first 2 shown]
	v_bfe_u32 v7, v4, 29, 1
	v_alignbit_b32 v9, v4, v6, 30
	v_alignbit_b32 v6, v6, v5, 30
	;; [unrolled: 1-line block ×3, first 2 shown]
	v_sub_nc_u32_e32 v10, 0, v7
	v_xor_b32_e32 v9, v9, v10
	v_xor_b32_e32 v5, v6, v10
	v_xor_b32_e32 v3, v3, v10
	v_lshrrev_b32_e32 v10, 29, v4
	v_lshrrev_b32_e32 v4, 30, v4
	v_ffbh_u32_e32 v11, v9
	v_add_nc_u32_e32 v4, v7, v4
	v_min_u32_e32 v11, 32, v11
	v_sub_nc_u32_e32 v6, 31, v11
	v_lshlrev_b32_e32 v12, 23, v11
	v_alignbit_b32 v9, v9, v5, v6
	v_alignbit_b32 v3, v5, v3, v6
	v_lshlrev_b32_e32 v5, 31, v10
	v_alignbit_b32 v6, v9, v3, 9
	v_or_b32_e32 v10, 0.5, v5
	v_lshrrev_b32_e32 v9, 9, v9
	v_or_b32_e32 v5, 0x33000000, v5
	v_ffbh_u32_e32 v13, v6
	v_sub_nc_u32_e32 v10, v10, v12
	v_min_u32_e32 v12, 32, v13
	v_or_b32_e32 v9, v9, v10
	v_not_b32_e32 v10, v12
	v_mul_f32_e32 v13, 0x3fc90fda, v9
	v_add_lshl_u32 v11, v12, v11, 23
	v_alignbit_b32 v3, v6, v3, v10
	v_fma_f32 v6, 0x3fc90fda, v9, -v13
	v_sub_nc_u32_e32 v5, v5, v11
	v_lshrrev_b32_e32 v3, 9, v3
	v_fmamk_f32 v6, v9, 0x33a22168, v6
	v_or_b32_e32 v3, v5, v3
	v_fmac_f32_e32 v6, 0x3fc90fda, v3
	v_add_f32_e32 v3, v13, v6
.LBB35_702:
	s_andn2_saveexec_b32 s0, s23
; %bb.703:
	v_mul_f32_e64 v3, 0x3f22f983, |v1|
	v_rndne_f32_e32 v4, v3
	v_fma_f32 v3, 0xbfc90fda, v4, |v1|
	v_fmamk_f32 v3, v4, 0xb3a22168, v3
	v_fmamk_f32 v3, v4, 0xa7c234c4, v3
	v_cvt_i32_f32_e32 v4, v4
; %bb.704:
	s_or_b32 exec_lo, exec_lo, s0
	v_mul_f32_e32 v5, v3, v3
	s_mov_b32 s0, 0xb94c1982
	s_mov_b32 s1, 0x37d75334
	v_lshlrev_b32_e32 v9, 30, v4
	v_and_b32_e32 v4, 1, v4
	v_fmaak_f32 v6, s0, v5, 0x3c0881c4
	v_fmaak_f32 v7, s1, v5, 0xbab64f3b
	v_add_co_u32 v0, s0, s8, v0
	v_and_b32_e32 v9, 0x80000000, v9
	v_fmaak_f32 v6, v5, v6, 0xbe2aaa9d
	v_fmaak_f32 v7, v5, v7, 0x3d2aabf7
	v_cmp_eq_u32_e32 vcc_lo, 0, v4
	s_and_b32 s1, s29, 0xff
	v_xor_b32_e32 v2, v2, v9
	v_mul_f32_e32 v6, v5, v6
	v_fmaak_f32 v7, v5, v7, 0xbf000004
	s_mov_b32 s43, 0
	s_mov_b32 s23, -1
	s_cmp_lt_i32 s1, 11
	v_fmac_f32_e32 v3, v3, v6
	v_fma_f32 v5, v5, v7, 1.0
	v_cndmask_b32_e32 v3, v5, v3, vcc_lo
	v_cmp_class_f32_e64 vcc_lo, v1, 0x1f8
	v_xor3_b32 v2, v2, v3, v1
	v_mov_b32_e32 v3, 0x7fc0
	v_cndmask_b32_e32 v1, 0x7fc00000, v2, vcc_lo
	v_bfe_u32 v2, v1, 16, 1
	v_cmp_o_f32_e32 vcc_lo, v1, v1
	v_add3_u32 v2, v1, v2, 0x7fff
	v_add_co_ci_u32_e64 v1, null, s9, 0, s0
	s_mov_b32 s0, s40
	v_cndmask_b32_sdwa v2, v3, v2, vcc_lo dst_sel:DWORD dst_unused:UNUSED_PAD src0_sel:DWORD src1_sel:WORD_1
	s_cbranch_scc1 .LBB35_712
; %bb.705:
	s_and_b32 s23, 0xffff, s1
	s_cmp_gt_i32 s23, 25
	s_cbranch_scc0 .LBB35_753
; %bb.706:
	s_cmp_gt_i32 s23, 28
	s_cbranch_scc0 .LBB35_754
; %bb.707:
	;; [unrolled: 3-line block ×4, first 2 shown]
	s_mov_b32 s44, 0
	s_mov_b32 s0, -1
	s_cmp_eq_u32 s23, 46
	s_cbranch_scc0 .LBB35_757
; %bb.710:
	v_and_b32_e32 v3, 0xffff, v2
	s_mov_b32 s43, -1
	s_mov_b32 s0, 0
	global_store_dword v[0:1], v3, off
	s_branch .LBB35_757
.LBB35_711:
	s_mov_b32 s1, 0
	s_mov_b32 s0, s40
	s_branch .LBB35_752
.LBB35_712:
	s_and_b32 vcc_lo, exec_lo, s23
	s_cbranch_vccz .LBB35_826
; %bb.713:
	s_and_b32 s1, 0xffff, s1
	s_mov_b32 s23, -1
	s_cmp_lt_i32 s1, 5
	s_cbranch_scc1 .LBB35_734
; %bb.714:
	s_cmp_lt_i32 s1, 8
	s_cbranch_scc1 .LBB35_724
; %bb.715:
	;; [unrolled: 3-line block ×3, first 2 shown]
	s_cmp_gt_i32 s1, 9
	s_cbranch_scc0 .LBB35_718
; %bb.717:
	v_lshlrev_b32_e32 v3, 16, v2
	v_mov_b32_e32 v5, 0
	s_mov_b32 s23, 0
	v_cvt_f64_f32_e32 v[3:4], v3
	v_mov_b32_e32 v6, v5
	global_store_dwordx4 v[0:1], v[3:6], off
.LBB35_718:
	s_andn2_b32 vcc_lo, exec_lo, s23
	s_cbranch_vccnz .LBB35_720
; %bb.719:
	v_lshlrev_b32_e32 v3, 16, v2
	v_mov_b32_e32 v4, 0
	global_store_dwordx2 v[0:1], v[3:4], off
.LBB35_720:
	s_mov_b32 s23, 0
.LBB35_721:
	s_andn2_b32 vcc_lo, exec_lo, s23
	s_cbranch_vccnz .LBB35_723
; %bb.722:
	v_lshlrev_b32_e32 v3, 16, v2
	v_cvt_f16_f32_e32 v3, v3
	v_and_b32_e32 v3, 0xffff, v3
	global_store_dword v[0:1], v3, off
.LBB35_723:
	s_mov_b32 s23, 0
.LBB35_724:
	s_andn2_b32 vcc_lo, exec_lo, s23
	s_cbranch_vccnz .LBB35_733
; %bb.725:
	s_cmp_lt_i32 s1, 6
	s_mov_b32 s23, -1
	s_cbranch_scc1 .LBB35_731
; %bb.726:
	s_cmp_gt_i32 s1, 6
	s_cbranch_scc0 .LBB35_728
; %bb.727:
	v_lshlrev_b32_e32 v3, 16, v2
	s_mov_b32 s23, 0
	v_cvt_f64_f32_e32 v[3:4], v3
	global_store_dwordx2 v[0:1], v[3:4], off
.LBB35_728:
	s_andn2_b32 vcc_lo, exec_lo, s23
	s_cbranch_vccnz .LBB35_730
; %bb.729:
	v_lshlrev_b32_e32 v3, 16, v2
	global_store_dword v[0:1], v3, off
.LBB35_730:
	s_mov_b32 s23, 0
.LBB35_731:
	s_andn2_b32 vcc_lo, exec_lo, s23
	s_cbranch_vccnz .LBB35_733
; %bb.732:
	v_lshlrev_b32_e32 v3, 16, v2
	v_cvt_f16_f32_e32 v3, v3
	global_store_short v[0:1], v3, off
.LBB35_733:
	s_mov_b32 s23, 0
.LBB35_734:
	s_andn2_b32 vcc_lo, exec_lo, s23
	s_cbranch_vccnz .LBB35_750
; %bb.735:
	s_cmp_lt_i32 s1, 2
	s_mov_b32 s23, -1
	s_cbranch_scc1 .LBB35_745
; %bb.736:
	s_cmp_lt_i32 s1, 3
	s_cbranch_scc1 .LBB35_742
; %bb.737:
	s_cmp_gt_i32 s1, 3
	s_cbranch_scc0 .LBB35_739
; %bb.738:
	v_lshlrev_b32_e32 v3, 16, v2
	s_mov_b32 s23, 0
	v_trunc_f32_e32 v3, v3
	v_mul_f32_e64 v4, 0x2f800000, |v3|
	v_ashrrev_i32_e32 v6, 31, v3
	v_floor_f32_e32 v4, v4
	v_fma_f32 v5, 0xcf800000, v4, |v3|
	v_cvt_u32_f32_e32 v4, v4
	v_cvt_u32_f32_e32 v3, v5
	v_xor_b32_e32 v4, v4, v6
	v_xor_b32_e32 v3, v3, v6
	v_sub_co_u32 v3, vcc_lo, v3, v6
	v_sub_co_ci_u32_e64 v4, null, v4, v6, vcc_lo
	global_store_dwordx2 v[0:1], v[3:4], off
.LBB35_739:
	s_andn2_b32 vcc_lo, exec_lo, s23
	s_cbranch_vccnz .LBB35_741
; %bb.740:
	v_lshlrev_b32_e32 v3, 16, v2
	v_cvt_i32_f32_e32 v3, v3
	global_store_dword v[0:1], v3, off
.LBB35_741:
	s_mov_b32 s23, 0
.LBB35_742:
	s_andn2_b32 vcc_lo, exec_lo, s23
	s_cbranch_vccnz .LBB35_744
; %bb.743:
	v_lshlrev_b32_e32 v3, 16, v2
	v_cvt_i32_f32_e32 v3, v3
	global_store_short v[0:1], v3, off
.LBB35_744:
	s_mov_b32 s23, 0
.LBB35_745:
	s_andn2_b32 vcc_lo, exec_lo, s23
	s_cbranch_vccnz .LBB35_750
; %bb.746:
	v_lshlrev_b32_e32 v2, 16, v2
	s_cmp_gt_i32 s1, 0
	s_mov_b32 s1, -1
	s_cbranch_scc0 .LBB35_748
; %bb.747:
	v_cvt_i32_f32_e32 v3, v2
	s_mov_b32 s1, 0
	global_store_byte v[0:1], v3, off
.LBB35_748:
	s_andn2_b32 vcc_lo, exec_lo, s1
	s_cbranch_vccnz .LBB35_750
; %bb.749:
	v_trunc_f32_e32 v2, v2
	v_mul_f32_e64 v3, 0x2f800000, |v2|
	v_floor_f32_e32 v3, v3
	v_fma_f32 v3, 0xcf800000, v3, |v2|
	v_ashrrev_i32_e32 v2, 31, v2
	v_cvt_u32_f32_e32 v3, v3
	v_xor_b32_e32 v3, v3, v2
	v_sub_nc_u32_e32 v2, v3, v2
	global_store_byte v[0:1], v2, off
.LBB35_750:
	s_branch .LBB35_827
.LBB35_751:
	s_mov_b32 s1, 0
.LBB35_752:
                                        ; implicit-def: $vgpr8
	s_branch .LBB35_828
.LBB35_753:
	s_mov_b32 s44, -1
	s_mov_b32 s0, s40
	s_branch .LBB35_784
.LBB35_754:
	s_mov_b32 s44, -1
	s_mov_b32 s0, s40
	s_branch .LBB35_767
.LBB35_755:
	s_mov_b32 s44, -1
	s_mov_b32 s0, s40
	s_branch .LBB35_763
.LBB35_756:
	s_mov_b32 s44, -1
	s_mov_b32 s0, s40
.LBB35_757:
	s_and_b32 vcc_lo, exec_lo, s44
	s_cbranch_vccz .LBB35_762
; %bb.758:
	s_cmp_eq_u32 s23, 44
	s_mov_b32 s0, -1
	s_cbranch_scc0 .LBB35_762
; %bb.759:
	v_and_b32_e32 v3, 0xffff, v2
	v_mov_b32_e32 v4, 0xff
	s_mov_b32 s43, exec_lo
	v_bfe_u32 v5, v3, 7, 8
	v_cmpx_ne_u32_e32 0xff, v5
	s_cbranch_execz .LBB35_761
; %bb.760:
	v_lshlrev_b32_e32 v4, 16, v3
	v_and_b32_e32 v6, 64, v3
	v_lshrrev_b32_e32 v3, 7, v3
	v_and_or_b32 v4, 0x3f0000, v4, v5
	v_cmp_ne_u32_e32 vcc_lo, 0, v6
	v_cmp_ne_u32_e64 s0, 0, v4
	s_and_b32 s0, vcc_lo, s0
	v_cndmask_b32_e64 v4, 0, 1, s0
	v_add_nc_u32_e32 v4, v3, v4
.LBB35_761:
	s_or_b32 exec_lo, exec_lo, s43
	s_mov_b32 s43, -1
	s_mov_b32 s0, 0
	global_store_byte v[0:1], v4, off
.LBB35_762:
	s_mov_b32 s44, 0
.LBB35_763:
	s_and_b32 vcc_lo, exec_lo, s44
	s_cbranch_vccz .LBB35_766
; %bb.764:
	s_cmp_eq_u32 s23, 29
	s_mov_b32 s0, -1
	s_cbranch_scc0 .LBB35_766
; %bb.765:
	v_lshlrev_b32_e32 v3, 16, v2
	s_mov_b32 s43, -1
	s_mov_b32 s0, 0
	s_mov_b32 s44, 0
	v_trunc_f32_e32 v3, v3
	v_mul_f32_e32 v4, 0x2f800000, v3
	v_floor_f32_e32 v4, v4
	v_fmamk_f32 v3, v4, 0xcf800000, v3
	v_cvt_u32_f32_e32 v4, v4
	v_cvt_u32_f32_e32 v3, v3
	global_store_dwordx2 v[0:1], v[3:4], off
	s_branch .LBB35_767
.LBB35_766:
	s_mov_b32 s44, 0
.LBB35_767:
	s_and_b32 vcc_lo, exec_lo, s44
	s_cbranch_vccz .LBB35_783
; %bb.768:
	s_cmp_lt_i32 s23, 27
	s_mov_b32 s43, -1
	s_cbranch_scc1 .LBB35_774
; %bb.769:
	s_cmp_gt_i32 s23, 27
	s_cbranch_scc0 .LBB35_771
; %bb.770:
	v_lshlrev_b32_e32 v3, 16, v2
	s_mov_b32 s43, 0
	v_cvt_u32_f32_e32 v3, v3
	global_store_dword v[0:1], v3, off
.LBB35_771:
	s_andn2_b32 vcc_lo, exec_lo, s43
	s_cbranch_vccnz .LBB35_773
; %bb.772:
	v_lshlrev_b32_e32 v3, 16, v2
	v_cvt_u32_f32_e32 v3, v3
	global_store_short v[0:1], v3, off
.LBB35_773:
	s_mov_b32 s43, 0
.LBB35_774:
	s_andn2_b32 vcc_lo, exec_lo, s43
	s_cbranch_vccnz .LBB35_782
; %bb.775:
	v_lshlrev_b32_e32 v5, 16, v2
	v_mov_b32_e32 v6, 0x80
	s_mov_b32 s43, exec_lo
	v_and_b32_e32 v4, 0x7fffffff, v5
	v_cmpx_gt_u32_e32 0x43800000, v4
	s_cbranch_execz .LBB35_781
; %bb.776:
	v_and_b32_e32 v3, 0xffff, v2
	v_cmp_lt_u32_e32 vcc_lo, 0x3bffffff, v4
	s_mov_b32 s44, 0
                                        ; implicit-def: $vgpr4
	s_and_saveexec_b32 s45, vcc_lo
	s_xor_b32 s45, exec_lo, s45
	s_cbranch_execz .LBB35_857
; %bb.777:
	v_bfe_u32 v4, v3, 4, 1
	s_mov_b32 s44, exec_lo
	v_add3_u32 v4, v5, v4, 0x487ffff
                                        ; implicit-def: $vgpr5
	v_lshrrev_b32_e32 v4, 20, v4
	s_andn2_saveexec_b32 s45, s45
	s_cbranch_execnz .LBB35_858
.LBB35_778:
	s_or_b32 exec_lo, exec_lo, s45
	v_mov_b32_e32 v6, 0
	s_and_saveexec_b32 s45, s44
.LBB35_779:
	v_lshrrev_b32_e32 v3, 8, v3
	v_and_or_b32 v6, 0x80, v3, v4
.LBB35_780:
	s_or_b32 exec_lo, exec_lo, s45
.LBB35_781:
	s_or_b32 exec_lo, exec_lo, s43
	global_store_byte v[0:1], v6, off
.LBB35_782:
	s_mov_b32 s43, -1
.LBB35_783:
	s_mov_b32 s44, 0
.LBB35_784:
	s_and_b32 vcc_lo, exec_lo, s44
	s_cbranch_vccz .LBB35_825
; %bb.785:
	s_cmp_gt_i32 s23, 22
	s_mov_b32 s44, -1
	s_cbranch_scc0 .LBB35_817
; %bb.786:
	s_cmp_lt_i32 s23, 24
	s_mov_b32 s43, -1
	s_cbranch_scc1 .LBB35_806
; %bb.787:
	s_cmp_gt_i32 s23, 24
	s_cbranch_scc0 .LBB35_795
; %bb.788:
	v_lshlrev_b32_e32 v5, 16, v2
	v_mov_b32_e32 v6, 0x80
	s_mov_b32 s43, exec_lo
	v_and_b32_e32 v4, 0x7fffffff, v5
	v_cmpx_gt_u32_e32 0x47800000, v4
	s_cbranch_execz .LBB35_794
; %bb.789:
	v_and_b32_e32 v3, 0xffff, v2
	v_cmp_lt_u32_e32 vcc_lo, 0x37ffffff, v4
	s_mov_b32 s44, 0
                                        ; implicit-def: $vgpr4
	s_and_saveexec_b32 s45, vcc_lo
	s_xor_b32 s45, exec_lo, s45
	s_cbranch_execz .LBB35_860
; %bb.790:
	v_bfe_u32 v4, v3, 5, 1
	s_mov_b32 s44, exec_lo
	v_add3_u32 v4, v5, v4, 0x88fffff
                                        ; implicit-def: $vgpr5
	v_lshrrev_b32_e32 v4, 21, v4
	s_andn2_saveexec_b32 s45, s45
	s_cbranch_execnz .LBB35_861
.LBB35_791:
	s_or_b32 exec_lo, exec_lo, s45
	v_mov_b32_e32 v6, 0
	s_and_saveexec_b32 s45, s44
.LBB35_792:
	v_lshrrev_b32_e32 v3, 8, v3
	v_and_or_b32 v6, 0x80, v3, v4
.LBB35_793:
	s_or_b32 exec_lo, exec_lo, s45
.LBB35_794:
	s_or_b32 exec_lo, exec_lo, s43
	s_mov_b32 s43, 0
	global_store_byte v[0:1], v6, off
.LBB35_795:
	s_and_b32 vcc_lo, exec_lo, s43
	s_cbranch_vccz .LBB35_805
; %bb.796:
	v_lshlrev_b32_e32 v5, 16, v2
	v_and_b32_e32 v3, 0xffff, v2
	s_mov_b32 s43, exec_lo
                                        ; implicit-def: $vgpr4
	v_and_b32_e32 v6, 0x7fffffff, v5
	v_cmpx_gt_u32_e32 0x43f00000, v6
	s_xor_b32 s43, exec_lo, s43
	s_cbranch_execz .LBB35_802
; %bb.797:
	s_mov_b32 s44, exec_lo
                                        ; implicit-def: $vgpr4
	v_cmpx_lt_u32_e32 0x3c7fffff, v6
	s_xor_b32 s44, exec_lo, s44
; %bb.798:
	v_bfe_u32 v4, v3, 4, 1
	v_add3_u32 v4, v5, v4, 0x407ffff
	v_and_b32_e32 v5, 0xff00000, v4
	v_lshrrev_b32_e32 v4, 20, v4
	v_cmp_ne_u32_e32 vcc_lo, 0x7f00000, v5
                                        ; implicit-def: $vgpr5
	v_cndmask_b32_e32 v4, 0x7e, v4, vcc_lo
; %bb.799:
	s_andn2_saveexec_b32 s44, s44
; %bb.800:
	v_add_f32_e64 v4, 0x46800000, |v5|
; %bb.801:
	s_or_b32 exec_lo, exec_lo, s44
                                        ; implicit-def: $vgpr6
.LBB35_802:
	s_andn2_saveexec_b32 s43, s43
; %bb.803:
	v_mov_b32_e32 v4, 0x7f
	v_cmp_lt_u32_e32 vcc_lo, 0x7f800000, v6
	v_cndmask_b32_e32 v4, 0x7e, v4, vcc_lo
; %bb.804:
	s_or_b32 exec_lo, exec_lo, s43
	v_lshrrev_b32_e32 v3, 8, v3
	v_and_or_b32 v3, 0x80, v3, v4
	global_store_byte v[0:1], v3, off
.LBB35_805:
	s_mov_b32 s43, 0
.LBB35_806:
	s_andn2_b32 vcc_lo, exec_lo, s43
	s_cbranch_vccnz .LBB35_816
; %bb.807:
	v_lshlrev_b32_e32 v5, 16, v2
	v_and_b32_e32 v3, 0xffff, v2
	s_mov_b32 s43, exec_lo
                                        ; implicit-def: $vgpr4
	v_and_b32_e32 v6, 0x7fffffff, v5
	v_cmpx_gt_u32_e32 0x47800000, v6
	s_xor_b32 s43, exec_lo, s43
	s_cbranch_execz .LBB35_813
; %bb.808:
	s_mov_b32 s44, exec_lo
                                        ; implicit-def: $vgpr4
	v_cmpx_lt_u32_e32 0x387fffff, v6
	s_xor_b32 s44, exec_lo, s44
; %bb.809:
	v_bfe_u32 v4, v3, 5, 1
	v_add3_u32 v4, v5, v4, 0x80fffff
                                        ; implicit-def: $vgpr5
	v_lshrrev_b32_e32 v4, 21, v4
; %bb.810:
	s_andn2_saveexec_b32 s44, s44
; %bb.811:
	v_add_f32_e64 v4, 0x43000000, |v5|
; %bb.812:
	s_or_b32 exec_lo, exec_lo, s44
                                        ; implicit-def: $vgpr6
.LBB35_813:
	s_andn2_saveexec_b32 s43, s43
; %bb.814:
	v_mov_b32_e32 v4, 0x7f
	v_cmp_lt_u32_e32 vcc_lo, 0x7f800000, v6
	v_cndmask_b32_e32 v4, 0x7c, v4, vcc_lo
; %bb.815:
	s_or_b32 exec_lo, exec_lo, s43
	v_lshrrev_b32_e32 v3, 8, v3
	v_and_or_b32 v3, 0x80, v3, v4
	global_store_byte v[0:1], v3, off
.LBB35_816:
	s_mov_b32 s44, 0
	s_mov_b32 s43, -1
.LBB35_817:
	s_andn2_b32 vcc_lo, exec_lo, s44
	s_cbranch_vccnz .LBB35_825
; %bb.818:
	s_cmp_gt_i32 s23, 14
	s_mov_b32 s44, -1
	s_cbranch_scc0 .LBB35_822
; %bb.819:
	s_cmp_eq_u32 s23, 15
	s_mov_b32 s0, -1
	s_cbranch_scc0 .LBB35_821
; %bb.820:
	s_mov_b32 s43, -1
	s_mov_b32 s0, 0
	global_store_short v[0:1], v2, off
.LBB35_821:
	s_mov_b32 s44, 0
.LBB35_822:
	s_and_b32 vcc_lo, exec_lo, s44
	s_cbranch_vccz .LBB35_825
; %bb.823:
	s_cmp_eq_u32 s23, 11
	s_mov_b32 s0, -1
	s_cbranch_scc0 .LBB35_825
; %bb.824:
	v_and_b32_e32 v3, 0x7fff, v2
	s_mov_b32 s0, 0
	s_mov_b32 s43, -1
	v_cmp_ne_u16_e32 vcc_lo, 0, v3
	v_cndmask_b32_e64 v3, 0, 1, vcc_lo
	global_store_byte v[0:1], v3, off
.LBB35_825:
.LBB35_826:
	s_andn2_b32 vcc_lo, exec_lo, s43
	s_cbranch_vccnz .LBB35_751
.LBB35_827:
	v_add_nc_u32_e32 v8, 0x80, v8
	s_mov_b32 s1, -1
.LBB35_828:
	s_andn2_b32 s23, s40, exec_lo
	s_and_b32 s0, s0, exec_lo
	s_andn2_b32 s43, s39, exec_lo
	s_and_b32 s22, s22, exec_lo
	s_or_b32 s23, s23, s0
	s_or_b32 s22, s43, s22
	s_orn2_b32 s44, s1, exec_lo
.LBB35_829:
	s_or_b32 exec_lo, exec_lo, s42
	s_mov_b32 s0, 0
	s_mov_b32 s1, 0
	s_mov_b32 s43, 0
                                        ; implicit-def: $vgpr1_vgpr2
                                        ; implicit-def: $vgpr0
                                        ; implicit-def: $vgpr4
	s_and_saveexec_b32 s42, s44
	s_cbranch_execz .LBB35_929
; %bb.830:
	v_cmp_gt_i32_e32 vcc_lo, s33, v8
	s_mov_b32 s45, s22
	s_mov_b32 s44, 0
                                        ; implicit-def: $vgpr1_vgpr2
                                        ; implicit-def: $vgpr0
                                        ; implicit-def: $vgpr4
	s_and_saveexec_b32 s33, vcc_lo
	s_cbranch_execz .LBB35_928
; %bb.831:
	s_andn2_b32 vcc_lo, exec_lo, s27
	s_cbranch_vccnz .LBB35_836
; %bb.832:
	s_andn2_b32 vcc_lo, exec_lo, s34
	s_cbranch_vccnz .LBB35_837
; %bb.833:
	s_add_i32 s35, s35, 1
	s_cmp_eq_u32 s25, 2
	s_cbranch_scc1 .LBB35_838
; %bb.834:
	v_mov_b32_e32 v2, 0
	v_mov_b32_e32 v0, 0
	;; [unrolled: 1-line block ×3, first 2 shown]
	s_and_b32 s34, s35, 28
	s_mov_b64 s[0:1], s[2:3]
.LBB35_835:                             ; =>This Inner Loop Header: Depth=1
	s_clause 0x1
	s_load_dwordx8 s[44:51], s[0:1], 0x4
	s_load_dwordx4 s[60:63], s[0:1], 0x24
	s_load_dwordx8 s[52:59], s[20:21], 0x0
	s_add_u32 s0, s0, 48
	s_addc_u32 s1, s1, 0
	s_add_i32 s43, s43, 4
	s_add_u32 s20, s20, 32
	s_addc_u32 s21, s21, 0
	s_cmp_eq_u32 s34, s43
	s_waitcnt vmcnt(0) lgkmcnt(0)
	v_mul_hi_u32 v3, s45, v1
	v_add_nc_u32_e32 v3, v1, v3
	v_lshrrev_b32_e32 v3, s46, v3
	v_mul_hi_u32 v4, s48, v3
	v_mul_lo_u32 v6, v3, s44
	v_add_nc_u32_e32 v4, v3, v4
	v_sub_nc_u32_e32 v1, v1, v6
	v_lshrrev_b32_e32 v4, s49, v4
	v_mul_lo_u32 v6, v1, s52
	v_mul_lo_u32 v9, v1, s53
	v_mul_hi_u32 v5, s51, v4
	v_add_nc_u32_e32 v5, v4, v5
	v_lshrrev_b32_e32 v5, s60, v5
	v_mul_hi_u32 v7, s62, v5
	v_mul_lo_u32 v10, v5, s50
	v_add_nc_u32_e32 v1, v5, v7
	v_mul_lo_u32 v7, v4, s47
	v_sub_nc_u32_e32 v4, v4, v10
	v_lshrrev_b32_e32 v1, s63, v1
	v_mul_lo_u32 v10, v4, s56
	v_mul_lo_u32 v4, v4, s57
	v_sub_nc_u32_e32 v3, v3, v7
	v_mul_lo_u32 v11, v1, s61
	v_mul_lo_u32 v7, v3, s54
	;; [unrolled: 1-line block ×3, first 2 shown]
	v_sub_nc_u32_e32 v5, v5, v11
	v_add3_u32 v0, v6, v0, v7
	v_mul_lo_u32 v11, v5, s58
	v_mul_lo_u32 v5, v5, s59
	v_add3_u32 v2, v9, v2, v3
	v_add3_u32 v0, v10, v0, v11
	;; [unrolled: 1-line block ×3, first 2 shown]
	s_cbranch_scc0 .LBB35_835
	s_branch .LBB35_839
.LBB35_836:
	s_mov_b32 s0, -1
                                        ; implicit-def: $vgpr0
                                        ; implicit-def: $vgpr2
	s_branch .LBB35_843
.LBB35_837:
	v_mov_b32_e32 v0, 0
	v_mov_b32_e32 v2, 0
	s_branch .LBB35_842
.LBB35_838:
	v_mov_b32_e32 v0, 0
	v_mov_b32_e32 v2, 0
	;; [unrolled: 1-line block ×3, first 2 shown]
	s_mov_b32 s34, 0
.LBB35_839:
	s_and_b32 s35, s35, 3
	s_cmp_eq_u32 s35, 0
	s_cbranch_scc1 .LBB35_842
; %bb.840:
	s_lshl_b32 s0, s34, 3
	s_mul_i32 s20, s34, 12
	s_add_u32 s0, s2, s0
	s_addc_u32 s1, s3, 0
	s_add_u32 s0, s0, 0xc4
	s_addc_u32 s1, s1, 0
	;; [unrolled: 2-line block ×3, first 2 shown]
.LBB35_841:                             ; =>This Inner Loop Header: Depth=1
	s_clause 0x1
	s_load_dwordx2 s[44:45], s[20:21], 0x4
	s_load_dword s34, s[20:21], 0xc
	s_load_dwordx2 s[46:47], s[0:1], 0x0
	s_add_u32 s20, s20, 12
	s_addc_u32 s21, s21, 0
	s_add_u32 s0, s0, 8
	s_addc_u32 s1, s1, 0
	s_add_i32 s35, s35, -1
	s_cmp_lg_u32 s35, 0
	s_waitcnt vmcnt(0) lgkmcnt(0)
	v_mul_hi_u32 v3, s45, v1
	v_add_nc_u32_e32 v3, v1, v3
	v_lshrrev_b32_e32 v4, s34, v3
	v_mul_lo_u32 v3, v4, s44
	v_sub_nc_u32_e32 v3, v1, v3
	v_mad_u64_u32 v[0:1], null, v3, s46, v[0:1]
	v_mad_u64_u32 v[2:3], null, v3, s47, v[2:3]
	v_mov_b32_e32 v1, v4
	s_cbranch_scc1 .LBB35_841
.LBB35_842:
	s_mov_b32 s0, 0
.LBB35_843:
	s_andn2_b32 vcc_lo, exec_lo, s0
	s_cbranch_vccnz .LBB35_846
; %bb.844:
	s_waitcnt lgkmcnt(0)
	v_mul_hi_u32 v0, s17, v8
	s_andn2_b32 vcc_lo, exec_lo, s31
	v_add_nc_u32_e32 v0, v8, v0
	v_lshrrev_b32_e32 v1, s18, v0
	v_mul_lo_u32 v0, v1, s16
	v_sub_nc_u32_e32 v2, v8, v0
	v_mul_lo_u32 v0, v2, s12
	v_mul_lo_u32 v2, v2, s13
	s_cbranch_vccnz .LBB35_846
; %bb.845:
	s_waitcnt vmcnt(0)
	v_mul_hi_u32 v3, s6, v1
	v_add_nc_u32_e32 v3, v1, v3
	v_lshrrev_b32_e32 v3, s7, v3
	v_mul_lo_u32 v3, v3, s19
	v_sub_nc_u32_e32 v3, v1, v3
	v_mad_u64_u32 v[0:1], null, v3, s14, v[0:1]
	v_mad_u64_u32 v[2:3], null, v3, s15, v[2:3]
.LBB35_846:
	s_waitcnt lgkmcnt(0)
	v_add_co_u32 v1, s0, s10, v2
	v_add_co_ci_u32_e64 v2, null, s11, 0, s0
	s_and_b32 s0, 0xffff, s30
	s_cmp_lt_i32 s0, 11
	s_cbranch_scc1 .LBB35_853
; %bb.847:
	s_cmp_gt_i32 s0, 25
	s_mov_b32 s6, 0
	s_cbranch_scc0 .LBB35_854
; %bb.848:
	s_cmp_gt_i32 s0, 28
	s_cbranch_scc0 .LBB35_855
; %bb.849:
	s_cmp_gt_i32 s0, 43
	;; [unrolled: 3-line block ×3, first 2 shown]
	s_cbranch_scc0 .LBB35_859
; %bb.851:
	s_cmp_eq_u32 s0, 46
	s_mov_b32 s10, 0
	s_cbranch_scc0 .LBB35_862
; %bb.852:
	global_load_dword v4, v[1:2], off
	s_mov_b32 s1, 0
	s_mov_b32 s7, -1
	s_branch .LBB35_864
.LBB35_853:
	s_mov_b32 s0, -1
	s_mov_b32 s7, 0
	s_mov_b32 s6, 0
	;; [unrolled: 1-line block ×3, first 2 shown]
                                        ; implicit-def: $vgpr4
	s_branch .LBB35_927
.LBB35_854:
	s_mov_b32 s10, -1
	s_mov_b32 s7, 0
	s_mov_b32 s1, s22
                                        ; implicit-def: $vgpr4
	s_branch .LBB35_893
.LBB35_855:
	s_mov_b32 s10, -1
	s_mov_b32 s7, 0
	s_mov_b32 s1, s22
                                        ; implicit-def: $vgpr4
	s_branch .LBB35_874
.LBB35_856:
	s_mov_b32 s10, -1
	s_mov_b32 s7, 0
	s_mov_b32 s1, s22
                                        ; implicit-def: $vgpr4
	s_branch .LBB35_869
.LBB35_857:
	s_andn2_saveexec_b32 s45, s45
	s_cbranch_execz .LBB35_778
.LBB35_858:
	v_add_f32_e64 v4, 0x46000000, |v5|
	s_andn2_b32 s44, s44, exec_lo
	v_and_b32_e32 v4, 0xff, v4
	v_cmp_ne_u32_e32 vcc_lo, 0, v4
	s_and_b32 s46, vcc_lo, exec_lo
	s_or_b32 s44, s44, s46
	s_or_b32 exec_lo, exec_lo, s45
	v_mov_b32_e32 v6, 0
	s_and_saveexec_b32 s45, s44
	s_cbranch_execnz .LBB35_779
	s_branch .LBB35_780
.LBB35_859:
	s_mov_b32 s10, -1
	s_mov_b32 s7, 0
	s_mov_b32 s1, s22
	s_branch .LBB35_863
.LBB35_860:
	s_andn2_saveexec_b32 s45, s45
	s_cbranch_execz .LBB35_791
.LBB35_861:
	v_add_f32_e64 v4, 0x42800000, |v5|
	s_andn2_b32 s44, s44, exec_lo
	v_and_b32_e32 v4, 0xff, v4
	v_cmp_ne_u32_e32 vcc_lo, 0, v4
	s_and_b32 s46, vcc_lo, exec_lo
	s_or_b32 s44, s44, s46
	s_or_b32 exec_lo, exec_lo, s45
	v_mov_b32_e32 v6, 0
	s_and_saveexec_b32 s45, s44
	s_cbranch_execnz .LBB35_792
	s_branch .LBB35_793
.LBB35_862:
	s_mov_b32 s1, -1
	s_mov_b32 s7, 0
.LBB35_863:
                                        ; implicit-def: $vgpr4
.LBB35_864:
	s_and_b32 vcc_lo, exec_lo, s10
	s_cbranch_vccz .LBB35_868
; %bb.865:
	s_cmp_eq_u32 s0, 44
	s_cbranch_scc0 .LBB35_867
; %bb.866:
	global_load_ubyte v3, v[1:2], off
	s_mov_b32 s1, 0
	s_mov_b32 s7, -1
	s_waitcnt vmcnt(0)
	v_lshlrev_b32_e32 v4, 23, v3
	v_cmp_ne_u32_e32 vcc_lo, 0xff, v3
	v_cndmask_b32_e32 v4, 0x7f800001, v4, vcc_lo
	v_cmp_ne_u32_e32 vcc_lo, 0, v3
	v_cndmask_b32_e32 v3, 0x400000, v4, vcc_lo
	v_mov_b32_e32 v4, 0x7fc0
	v_cmp_o_f32_e32 vcc_lo, v3, v3
	v_add_nc_u32_e32 v3, 0x7fff, v3
	v_cndmask_b32_sdwa v4, v4, v3, vcc_lo dst_sel:DWORD dst_unused:UNUSED_PAD src0_sel:DWORD src1_sel:WORD_1
	s_branch .LBB35_868
.LBB35_867:
	s_mov_b32 s1, -1
                                        ; implicit-def: $vgpr4
.LBB35_868:
	s_mov_b32 s10, 0
.LBB35_869:
	s_and_b32 vcc_lo, exec_lo, s10
	s_cbranch_vccz .LBB35_873
; %bb.870:
	s_cmp_eq_u32 s0, 29
	s_cbranch_scc0 .LBB35_872
; %bb.871:
	global_load_dwordx2 v[3:4], v[1:2], off
	s_mov_b32 s1, 0
	s_mov_b32 s7, -1
	s_mov_b32 s10, 0
	s_waitcnt vmcnt(0)
	v_ffbh_u32_e32 v5, v4
	v_min_u32_e32 v5, 32, v5
	v_lshlrev_b64 v[3:4], v5, v[3:4]
	v_min_u32_e32 v3, 1, v3
	v_or_b32_e32 v3, v4, v3
	v_sub_nc_u32_e32 v4, 32, v5
	v_cvt_f32_u32_e32 v3, v3
	v_ldexp_f32 v3, v3, v4
	v_bfe_u32 v4, v3, 16, 1
	v_add3_u32 v3, v3, v4, 0x7fff
	v_lshrrev_b32_e32 v4, 16, v3
	s_branch .LBB35_874
.LBB35_872:
	s_mov_b32 s1, -1
                                        ; implicit-def: $vgpr4
.LBB35_873:
	s_mov_b32 s10, 0
.LBB35_874:
	s_and_b32 vcc_lo, exec_lo, s10
	s_cbranch_vccz .LBB35_892
; %bb.875:
	s_cmp_lt_i32 s0, 27
	s_cbranch_scc1 .LBB35_878
; %bb.876:
	s_cmp_gt_i32 s0, 27
	s_cbranch_scc0 .LBB35_879
; %bb.877:
	global_load_dword v3, v[1:2], off
	s_mov_b32 s7, 0
	s_waitcnt vmcnt(0)
	v_cvt_f32_u32_e32 v3, v3
	v_bfe_u32 v4, v3, 16, 1
	v_add3_u32 v3, v3, v4, 0x7fff
	v_lshrrev_b32_e32 v4, 16, v3
	s_branch .LBB35_880
.LBB35_878:
	s_mov_b32 s7, -1
                                        ; implicit-def: $vgpr4
	s_branch .LBB35_883
.LBB35_879:
	s_mov_b32 s7, -1
                                        ; implicit-def: $vgpr4
.LBB35_880:
	s_andn2_b32 vcc_lo, exec_lo, s7
	s_cbranch_vccnz .LBB35_882
; %bb.881:
	global_load_ushort v3, v[1:2], off
	s_waitcnt vmcnt(0)
	v_cvt_f32_u32_e32 v3, v3
	v_bfe_u32 v4, v3, 16, 1
	v_add3_u32 v3, v3, v4, 0x7fff
	v_lshrrev_b32_e32 v4, 16, v3
.LBB35_882:
	s_mov_b32 s7, 0
.LBB35_883:
	s_andn2_b32 vcc_lo, exec_lo, s7
	s_cbranch_vccnz .LBB35_891
; %bb.884:
	global_load_ubyte v3, v[1:2], off
	s_mov_b32 s7, 0
	s_mov_b32 s10, exec_lo
	s_waitcnt vmcnt(0)
	v_cmpx_lt_i16_e32 0x7f, v3
	s_xor_b32 s10, exec_lo, s10
	s_cbranch_execz .LBB35_905
; %bb.885:
	s_mov_b32 s7, -1
	s_mov_b32 s11, exec_lo
	v_cmpx_eq_u16_e32 0x80, v3
; %bb.886:
	s_xor_b32 s7, exec_lo, -1
; %bb.887:
	s_or_b32 exec_lo, exec_lo, s11
	s_and_b32 s7, s7, exec_lo
	s_or_saveexec_b32 s10, s10
	v_mov_b32_e32 v4, 0x7f800001
	s_xor_b32 exec_lo, exec_lo, s10
	s_cbranch_execnz .LBB35_906
.LBB35_888:
	s_or_b32 exec_lo, exec_lo, s10
	s_and_saveexec_b32 s10, s7
	s_cbranch_execz .LBB35_890
.LBB35_889:
	v_and_b32_e32 v4, 0xffff, v3
	v_lshlrev_b32_e32 v3, 24, v3
	v_and_b32_e32 v5, 7, v4
	v_bfe_u32 v8, v4, 3, 4
	v_and_b32_e32 v3, 0x80000000, v3
	v_ffbh_u32_e32 v6, v5
	v_cmp_eq_u32_e32 vcc_lo, 0, v8
	v_min_u32_e32 v6, 32, v6
	v_subrev_nc_u32_e32 v7, 28, v6
	v_sub_nc_u32_e32 v6, 29, v6
	v_lshlrev_b32_e32 v4, v7, v4
	v_cndmask_b32_e32 v6, v8, v6, vcc_lo
	v_and_b32_e32 v4, 7, v4
	v_cndmask_b32_e32 v4, v5, v4, vcc_lo
	v_lshl_add_u32 v5, v6, 23, 0x3b800000
	v_lshlrev_b32_e32 v4, 20, v4
	v_or3_b32 v4, v3, v5, v4
.LBB35_890:
	s_or_b32 exec_lo, exec_lo, s10
	v_bfe_u32 v3, v4, 16, 1
	v_cmp_o_f32_e32 vcc_lo, v4, v4
	v_add3_u32 v3, v4, v3, 0x7fff
	v_mov_b32_e32 v4, 0x7fc0
	v_cndmask_b32_sdwa v4, v4, v3, vcc_lo dst_sel:DWORD dst_unused:UNUSED_PAD src0_sel:DWORD src1_sel:WORD_1
.LBB35_891:
	s_mov_b32 s7, -1
.LBB35_892:
	s_mov_b32 s10, 0
.LBB35_893:
	s_and_b32 vcc_lo, exec_lo, s10
	s_cbranch_vccz .LBB35_926
; %bb.894:
	s_cmp_gt_i32 s0, 22
	s_cbranch_scc0 .LBB35_904
; %bb.895:
	s_cmp_lt_i32 s0, 24
	s_cbranch_scc1 .LBB35_907
; %bb.896:
	s_cmp_gt_i32 s0, 24
	s_cbranch_scc0 .LBB35_908
; %bb.897:
	global_load_ubyte v3, v[1:2], off
	s_mov_b32 s7, exec_lo
	s_waitcnt vmcnt(0)
	v_cmpx_lt_i16_e32 0x7f, v3
	s_xor_b32 s7, exec_lo, s7
	s_cbranch_execz .LBB35_920
; %bb.898:
	s_mov_b32 s6, -1
	s_mov_b32 s10, exec_lo
	v_cmpx_eq_u16_e32 0x80, v3
; %bb.899:
	s_xor_b32 s6, exec_lo, -1
; %bb.900:
	s_or_b32 exec_lo, exec_lo, s10
	s_and_b32 s6, s6, exec_lo
	s_or_saveexec_b32 s7, s7
	v_mov_b32_e32 v4, 0x7f800001
	s_xor_b32 exec_lo, exec_lo, s7
	s_cbranch_execnz .LBB35_921
.LBB35_901:
	s_or_b32 exec_lo, exec_lo, s7
	s_and_saveexec_b32 s7, s6
	s_cbranch_execz .LBB35_903
.LBB35_902:
	v_and_b32_e32 v4, 0xffff, v3
	v_lshlrev_b32_e32 v3, 24, v3
	v_and_b32_e32 v5, 3, v4
	v_bfe_u32 v8, v4, 2, 5
	v_and_b32_e32 v3, 0x80000000, v3
	v_ffbh_u32_e32 v6, v5
	v_cmp_eq_u32_e32 vcc_lo, 0, v8
	v_min_u32_e32 v6, 32, v6
	v_subrev_nc_u32_e32 v7, 29, v6
	v_sub_nc_u32_e32 v6, 30, v6
	v_lshlrev_b32_e32 v4, v7, v4
	v_cndmask_b32_e32 v6, v8, v6, vcc_lo
	v_and_b32_e32 v4, 3, v4
	v_cndmask_b32_e32 v4, v5, v4, vcc_lo
	v_lshl_add_u32 v5, v6, 23, 0x37800000
	v_lshlrev_b32_e32 v4, 21, v4
	v_or3_b32 v4, v3, v5, v4
.LBB35_903:
	s_or_b32 exec_lo, exec_lo, s7
	v_bfe_u32 v3, v4, 16, 1
	v_cmp_o_f32_e32 vcc_lo, v4, v4
	s_mov_b32 s6, 0
	v_add3_u32 v3, v4, v3, 0x7fff
	v_mov_b32_e32 v4, 0x7fc0
	v_cndmask_b32_sdwa v4, v4, v3, vcc_lo dst_sel:DWORD dst_unused:UNUSED_PAD src0_sel:DWORD src1_sel:WORD_1
	s_branch .LBB35_909
.LBB35_904:
	s_mov_b32 s6, -1
                                        ; implicit-def: $vgpr4
	s_branch .LBB35_915
.LBB35_905:
	s_or_saveexec_b32 s10, s10
	v_mov_b32_e32 v4, 0x7f800001
	s_xor_b32 exec_lo, exec_lo, s10
	s_cbranch_execz .LBB35_888
.LBB35_906:
	v_cmp_ne_u16_e32 vcc_lo, 0, v3
	v_mov_b32_e32 v4, 0
	s_andn2_b32 s7, s7, exec_lo
	s_and_b32 s11, vcc_lo, exec_lo
	s_or_b32 s7, s7, s11
	s_or_b32 exec_lo, exec_lo, s10
	s_and_saveexec_b32 s10, s7
	s_cbranch_execnz .LBB35_889
	s_branch .LBB35_890
.LBB35_907:
	s_mov_b32 s6, -1
                                        ; implicit-def: $vgpr4
	s_branch .LBB35_912
.LBB35_908:
	s_mov_b32 s6, -1
                                        ; implicit-def: $vgpr4
.LBB35_909:
	s_and_b32 vcc_lo, exec_lo, s6
	s_cbranch_vccz .LBB35_911
; %bb.910:
	global_load_ubyte v3, v[1:2], off
	s_waitcnt vmcnt(0)
	v_lshlrev_b32_e32 v3, 24, v3
	v_and_b32_e32 v4, 0x7f000000, v3
	v_ffbh_u32_e32 v5, v4
	v_add_nc_u32_e32 v7, 0x1000000, v4
	v_cmp_ne_u32_e32 vcc_lo, 0, v4
	v_min_u32_e32 v5, 32, v5
	v_sub_nc_u32_e64 v5, v5, 4 clamp
	v_lshlrev_b32_e32 v6, v5, v4
	v_lshlrev_b32_e32 v5, 23, v5
	v_lshrrev_b32_e32 v6, 4, v6
	v_sub_nc_u32_e32 v5, v6, v5
	v_ashrrev_i32_e32 v6, 8, v7
	v_add_nc_u32_e32 v5, 0x3c000000, v5
	v_and_or_b32 v5, 0x7f800000, v6, v5
	v_cndmask_b32_e32 v4, 0, v5, vcc_lo
	v_and_or_b32 v3, 0x80000000, v3, v4
	v_bfe_u32 v4, v4, 16, 1
	v_cmp_o_f32_e32 vcc_lo, v3, v3
	v_add3_u32 v3, v3, v4, 0x7fff
	v_mov_b32_e32 v4, 0x7fc0
	v_cndmask_b32_sdwa v4, v4, v3, vcc_lo dst_sel:DWORD dst_unused:UNUSED_PAD src0_sel:DWORD src1_sel:WORD_1
.LBB35_911:
	s_mov_b32 s6, 0
.LBB35_912:
	s_andn2_b32 vcc_lo, exec_lo, s6
	s_cbranch_vccnz .LBB35_914
; %bb.913:
	global_load_ubyte v3, v[1:2], off
	s_waitcnt vmcnt(0)
	v_lshlrev_b32_e32 v4, 25, v3
	v_lshlrev_b16 v3, 8, v3
	v_lshrrev_b32_e32 v5, 4, v4
	v_and_or_b32 v6, 0x7f00, v3, 0.5
	v_cmp_gt_u32_e32 vcc_lo, 0x8000000, v4
	v_bfe_i32 v3, v3, 0, 16
	v_or_b32_e32 v5, 0x70000000, v5
	v_add_f32_e32 v6, -0.5, v6
	v_mul_f32_e32 v5, 0x7800000, v5
	v_cndmask_b32_e32 v4, v5, v6, vcc_lo
	v_and_or_b32 v3, 0x80000000, v3, v4
	v_bfe_u32 v4, v4, 16, 1
	v_cmp_o_f32_e32 vcc_lo, v3, v3
	v_add3_u32 v3, v3, v4, 0x7fff
	v_mov_b32_e32 v4, 0x7fc0
	v_cndmask_b32_sdwa v4, v4, v3, vcc_lo dst_sel:DWORD dst_unused:UNUSED_PAD src0_sel:DWORD src1_sel:WORD_1
.LBB35_914:
	s_mov_b32 s6, 0
	s_mov_b32 s7, -1
.LBB35_915:
	s_andn2_b32 vcc_lo, exec_lo, s6
	s_mov_b32 s6, 0
	s_cbranch_vccnz .LBB35_926
; %bb.916:
	s_cmp_gt_i32 s0, 14
	s_cbranch_scc0 .LBB35_919
; %bb.917:
	s_cmp_eq_u32 s0, 15
	s_cbranch_scc0 .LBB35_922
; %bb.918:
	global_load_ushort v4, v[1:2], off
	s_mov_b32 s1, 0
	s_mov_b32 s7, -1
	s_branch .LBB35_924
.LBB35_919:
	s_mov_b32 s6, -1
	s_branch .LBB35_923
.LBB35_920:
	s_or_saveexec_b32 s7, s7
	v_mov_b32_e32 v4, 0x7f800001
	s_xor_b32 exec_lo, exec_lo, s7
	s_cbranch_execz .LBB35_901
.LBB35_921:
	v_cmp_ne_u16_e32 vcc_lo, 0, v3
	v_mov_b32_e32 v4, 0
	s_andn2_b32 s6, s6, exec_lo
	s_and_b32 s10, vcc_lo, exec_lo
	s_or_b32 s6, s6, s10
	s_or_b32 exec_lo, exec_lo, s7
	s_and_saveexec_b32 s7, s6
	s_cbranch_execnz .LBB35_902
	s_branch .LBB35_903
.LBB35_922:
	s_mov_b32 s1, -1
.LBB35_923:
                                        ; implicit-def: $vgpr4
.LBB35_924:
	s_and_b32 vcc_lo, exec_lo, s6
	s_mov_b32 s6, 0
	s_cbranch_vccz .LBB35_926
; %bb.925:
	s_cmp_lg_u32 s0, 11
	s_mov_b32 s6, -1
	s_cselect_b32 s0, -1, 0
	s_andn2_b32 s1, s1, exec_lo
	s_and_b32 s0, s0, exec_lo
	s_or_b32 s1, s1, s0
.LBB35_926:
	s_mov_b32 s0, 0
.LBB35_927:
	s_and_b32 s43, s7, exec_lo
	s_andn2_b32 s7, s22, exec_lo
	s_and_b32 s1, s1, exec_lo
	s_and_b32 s44, s0, exec_lo
	;; [unrolled: 1-line block ×3, first 2 shown]
	s_or_b32 s45, s7, s1
.LBB35_928:
	s_or_b32 exec_lo, exec_lo, s33
	s_waitcnt lgkmcnt(0)
	s_andn2_b32 s6, s22, exec_lo
	s_and_b32 s7, s45, exec_lo
	s_and_b32 s43, s43, exec_lo
	;; [unrolled: 1-line block ×4, first 2 shown]
	s_or_b32 s22, s6, s7
.LBB35_929:
	s_or_b32 exec_lo, exec_lo, s42
	s_waitcnt lgkmcnt(0)
	s_andn2_b32 s6, s40, exec_lo
	s_and_b32 s7, s23, exec_lo
	s_and_b32 s42, s43, exec_lo
	s_or_b32 s40, s6, s7
	s_andn2_b32 s6, s39, exec_lo
	s_and_b32 s7, s22, exec_lo
	s_and_b32 s23, s1, exec_lo
	;; [unrolled: 1-line block ×3, first 2 shown]
	s_or_b32 s39, s6, s7
.LBB35_930:
	s_or_b32 exec_lo, exec_lo, s41
	s_andn2_b32 s0, s36, exec_lo
	s_waitcnt lgkmcnt(0)
	s_and_b32 s6, s40, exec_lo
	s_and_b32 s7, s39, exec_lo
	s_or_b32 s36, s0, s6
	s_andn2_b32 s6, s37, exec_lo
	s_and_b32 s0, s42, exec_lo
	s_and_b32 s22, s23, exec_lo
	;; [unrolled: 1-line block ×3, first 2 shown]
	s_or_b32 s37, s6, s7
	s_or_b32 exec_lo, exec_lo, s38
	s_mov_b32 s6, 0
	s_and_saveexec_b32 s1, s37
	s_cbranch_execz .LBB35_278
.LBB35_931:
	s_mov_b32 s6, exec_lo
	s_andn2_b32 s39, s39, exec_lo
	s_trap 2
	s_or_b32 exec_lo, exec_lo, s1
	s_and_saveexec_b32 s1, s39
	s_xor_b32 s1, exec_lo, s1
	s_cbranch_execnz .LBB35_279
.LBB35_932:
	s_or_b32 exec_lo, exec_lo, s1
	s_and_saveexec_b32 s1, s22
	s_cbranch_execz .LBB35_978
.LBB35_933:
	s_sext_i32_i16 s7, s30
	s_cmp_lt_i32 s7, 5
	s_cbranch_scc1 .LBB35_938
; %bb.934:
	s_cmp_lt_i32 s7, 8
	s_cbranch_scc1 .LBB35_939
; %bb.935:
	;; [unrolled: 3-line block ×3, first 2 shown]
	s_cmp_gt_i32 s7, 9
	s_cbranch_scc0 .LBB35_941
; %bb.937:
	global_load_dwordx2 v[3:4], v[1:2], off
	s_mov_b32 s7, 0
	s_waitcnt vmcnt(0)
	v_cvt_f32_f64_e32 v3, v[3:4]
	v_bfe_u32 v4, v3, 16, 1
	v_cmp_o_f32_e32 vcc_lo, v3, v3
	v_add3_u32 v3, v3, v4, 0x7fff
	v_mov_b32_e32 v4, 0x7fc0
	v_cndmask_b32_sdwa v4, v4, v3, vcc_lo dst_sel:DWORD dst_unused:UNUSED_PAD src0_sel:DWORD src1_sel:WORD_1
	s_branch .LBB35_942
.LBB35_938:
                                        ; implicit-def: $vgpr4
	s_branch .LBB35_959
.LBB35_939:
                                        ; implicit-def: $vgpr4
	s_branch .LBB35_948
.LBB35_940:
	s_mov_b32 s7, -1
                                        ; implicit-def: $vgpr4
	s_branch .LBB35_945
.LBB35_941:
	s_mov_b32 s7, -1
                                        ; implicit-def: $vgpr4
.LBB35_942:
	s_andn2_b32 vcc_lo, exec_lo, s7
	s_cbranch_vccnz .LBB35_944
; %bb.943:
	global_load_dword v3, v[1:2], off
	s_waitcnt vmcnt(0)
	v_bfe_u32 v4, v3, 16, 1
	v_cmp_o_f32_e32 vcc_lo, v3, v3
	v_add3_u32 v3, v3, v4, 0x7fff
	v_mov_b32_e32 v4, 0x7fc0
	v_cndmask_b32_sdwa v4, v4, v3, vcc_lo dst_sel:DWORD dst_unused:UNUSED_PAD src0_sel:DWORD src1_sel:WORD_1
.LBB35_944:
	s_mov_b32 s7, 0
.LBB35_945:
	s_andn2_b32 vcc_lo, exec_lo, s7
	s_cbranch_vccnz .LBB35_947
; %bb.946:
	global_load_dword v3, v[1:2], off
	s_waitcnt vmcnt(0)
	v_cvt_f32_f16_e32 v4, v3
	v_cmp_o_f16_e32 vcc_lo, v3, v3
	v_bfe_u32 v5, v4, 16, 1
	v_add3_u32 v3, v4, v5, 0x7fff
	v_mov_b32_e32 v4, 0x7fc0
	v_cndmask_b32_sdwa v4, v4, v3, vcc_lo dst_sel:DWORD dst_unused:UNUSED_PAD src0_sel:DWORD src1_sel:WORD_1
.LBB35_947:
	s_cbranch_execnz .LBB35_958
.LBB35_948:
	s_sext_i32_i16 s7, s30
	s_cmp_lt_i32 s7, 6
	s_cbranch_scc1 .LBB35_951
; %bb.949:
	s_cmp_gt_i32 s7, 6
	s_cbranch_scc0 .LBB35_952
; %bb.950:
	global_load_dwordx2 v[3:4], v[1:2], off
	s_mov_b32 s7, 0
	s_waitcnt vmcnt(0)
	v_cvt_f32_f64_e32 v3, v[3:4]
	v_bfe_u32 v4, v3, 16, 1
	v_cmp_o_f32_e32 vcc_lo, v3, v3
	v_add3_u32 v3, v3, v4, 0x7fff
	v_mov_b32_e32 v4, 0x7fc0
	v_cndmask_b32_sdwa v4, v4, v3, vcc_lo dst_sel:DWORD dst_unused:UNUSED_PAD src0_sel:DWORD src1_sel:WORD_1
	s_branch .LBB35_953
.LBB35_951:
	s_mov_b32 s7, -1
                                        ; implicit-def: $vgpr4
	s_branch .LBB35_956
.LBB35_952:
	s_mov_b32 s7, -1
                                        ; implicit-def: $vgpr4
.LBB35_953:
	s_andn2_b32 vcc_lo, exec_lo, s7
	s_cbranch_vccnz .LBB35_955
; %bb.954:
	global_load_dword v3, v[1:2], off
	s_waitcnt vmcnt(0)
	v_bfe_u32 v4, v3, 16, 1
	v_cmp_o_f32_e32 vcc_lo, v3, v3
	v_add3_u32 v3, v3, v4, 0x7fff
	v_mov_b32_e32 v4, 0x7fc0
	v_cndmask_b32_sdwa v4, v4, v3, vcc_lo dst_sel:DWORD dst_unused:UNUSED_PAD src0_sel:DWORD src1_sel:WORD_1
.LBB35_955:
	s_mov_b32 s7, 0
.LBB35_956:
	s_andn2_b32 vcc_lo, exec_lo, s7
	s_cbranch_vccnz .LBB35_958
; %bb.957:
	global_load_ushort v3, v[1:2], off
	s_waitcnt vmcnt(0)
	v_cvt_f32_f16_e32 v4, v3
	v_cmp_o_f16_e32 vcc_lo, v3, v3
	v_bfe_u32 v5, v4, 16, 1
	v_add3_u32 v3, v4, v5, 0x7fff
	v_mov_b32_e32 v4, 0x7fc0
	v_cndmask_b32_sdwa v4, v4, v3, vcc_lo dst_sel:DWORD dst_unused:UNUSED_PAD src0_sel:DWORD src1_sel:WORD_1
.LBB35_958:
	s_cbranch_execnz .LBB35_977
.LBB35_959:
	s_sext_i32_i16 s7, s30
	s_cmp_lt_i32 s7, 2
	s_cbranch_scc1 .LBB35_963
; %bb.960:
	s_cmp_lt_i32 s7, 3
	s_cbranch_scc1 .LBB35_964
; %bb.961:
	s_cmp_gt_i32 s7, 3
	s_cbranch_scc0 .LBB35_965
; %bb.962:
	global_load_dwordx2 v[3:4], v[1:2], off
	s_mov_b32 s7, 0
	s_waitcnt vmcnt(0)
	v_xor_b32_e32 v5, v3, v4
	v_ffbh_i32_e32 v6, v4
	v_ashrrev_i32_e32 v5, 31, v5
	v_add_nc_u32_e32 v6, -1, v6
	v_add_nc_u32_e32 v5, 32, v5
	v_min_u32_e32 v5, v6, v5
	v_lshlrev_b64 v[3:4], v5, v[3:4]
	v_min_u32_e32 v3, 1, v3
	v_or_b32_e32 v3, v4, v3
	v_sub_nc_u32_e32 v4, 32, v5
	v_cvt_f32_i32_e32 v3, v3
	v_ldexp_f32 v3, v3, v4
	v_bfe_u32 v4, v3, 16, 1
	v_add3_u32 v3, v3, v4, 0x7fff
	v_lshrrev_b32_e32 v4, 16, v3
	s_branch .LBB35_966
.LBB35_963:
                                        ; implicit-def: $vgpr4
	s_branch .LBB35_972
.LBB35_964:
	s_mov_b32 s7, -1
                                        ; implicit-def: $vgpr4
	s_branch .LBB35_969
.LBB35_965:
	s_mov_b32 s7, -1
                                        ; implicit-def: $vgpr4
.LBB35_966:
	s_andn2_b32 vcc_lo, exec_lo, s7
	s_cbranch_vccnz .LBB35_968
; %bb.967:
	global_load_dword v3, v[1:2], off
	s_waitcnt vmcnt(0)
	v_cvt_f32_i32_e32 v3, v3
	v_bfe_u32 v4, v3, 16, 1
	v_add3_u32 v3, v3, v4, 0x7fff
	v_lshrrev_b32_e32 v4, 16, v3
.LBB35_968:
	s_mov_b32 s7, 0
.LBB35_969:
	s_andn2_b32 vcc_lo, exec_lo, s7
	s_cbranch_vccnz .LBB35_971
; %bb.970:
	global_load_sshort v3, v[1:2], off
	s_waitcnt vmcnt(0)
	v_cvt_f32_i32_e32 v3, v3
	v_bfe_u32 v4, v3, 16, 1
	v_add3_u32 v3, v3, v4, 0x7fff
	v_lshrrev_b32_e32 v4, 16, v3
.LBB35_971:
	s_cbranch_execnz .LBB35_977
.LBB35_972:
	s_sext_i32_i16 s7, s30
	s_cmp_gt_i32 s7, 0
	s_mov_b32 s7, 0
	s_cbranch_scc0 .LBB35_974
; %bb.973:
	global_load_sbyte v3, v[1:2], off
	s_waitcnt vmcnt(0)
	v_cvt_f32_i32_e32 v3, v3
	v_bfe_u32 v4, v3, 16, 1
	v_add3_u32 v3, v3, v4, 0x7fff
	v_lshrrev_b32_e32 v4, 16, v3
	s_branch .LBB35_975
.LBB35_974:
	s_mov_b32 s7, -1
                                        ; implicit-def: $vgpr4
.LBB35_975:
	s_andn2_b32 vcc_lo, exec_lo, s7
	s_cbranch_vccnz .LBB35_977
; %bb.976:
	global_load_ubyte v1, v[1:2], off
	s_waitcnt vmcnt(0)
	v_cvt_f32_ubyte0_e32 v1, v1
	v_bfe_u32 v2, v1, 16, 1
	v_add3_u32 v1, v1, v2, 0x7fff
	v_lshrrev_b32_e32 v4, 16, v1
.LBB35_977:
	s_or_b32 s0, s0, exec_lo
.LBB35_978:
	s_or_b32 exec_lo, exec_lo, s1
	s_mov_b32 s10, 0
	s_mov_b32 s11, 0
                                        ; implicit-def: $sgpr1
                                        ; implicit-def: $vgpr1_vgpr2
                                        ; implicit-def: $vgpr3
	s_and_saveexec_b32 s7, s0
	s_cbranch_execz .LBB35_1057
; %bb.979:
	s_waitcnt vmcnt(0)
	v_lshlrev_b32_e32 v1, 16, v4
                                        ; implicit-def: $vgpr4
                                        ; implicit-def: $vgpr3
	s_mov_b32 s1, exec_lo
	v_and_b32_e32 v2, 0x7fffffff, v1
	v_cmpx_ngt_f32_e64 0x48000000, |v1|
	s_xor_b32 s10, exec_lo, s1
	s_cbranch_execz .LBB35_981
; %bb.980:
	s_mov_b32 s0, 0x7fffff
	v_mov_b32_e32 v5, 0
	v_and_or_b32 v12, v2, s0, 0x800000
	v_lshrrev_b32_e32 v10, 23, v2
	v_mad_u64_u32 v[3:4], null, 0xfe5163ab, v12, 0
	v_add_nc_u32_e32 v11, 0xffffff88, v10
	v_cmp_lt_u32_e32 vcc_lo, 63, v11
	v_mad_u64_u32 v[6:7], null, 0x3c439041, v12, v[4:5]
	v_cndmask_b32_e64 v13, 0, 0xffffffc0, vcc_lo
	v_mov_b32_e32 v4, v7
	v_add_nc_u32_e32 v13, v13, v11
	v_mad_u64_u32 v[7:8], null, 0xdb629599, v12, v[4:5]
	v_cmp_lt_u32_e64 s0, 31, v13
	v_cndmask_b32_e64 v14, 0, 0xffffffe0, s0
	v_mov_b32_e32 v4, v8
	v_cndmask_b32_e32 v3, v7, v3, vcc_lo
	v_mad_u64_u32 v[8:9], null, 0xf534ddc0, v12, v[4:5]
	v_mov_b32_e32 v4, v9
	v_cndmask_b32_e32 v6, v8, v6, vcc_lo
	v_mad_u64_u32 v[9:10], null, 0xfc2757d1, v12, v[4:5]
	v_cndmask_b32_e64 v3, v6, v3, s0
	v_mov_b32_e32 v4, v10
	v_mad_u64_u32 v[10:11], null, 0x4e441529, v12, v[4:5]
	v_mov_b32_e32 v4, v11
	v_add_nc_u32_e32 v11, v14, v13
	v_cndmask_b32_e32 v13, v10, v8, vcc_lo
	v_mad_u64_u32 v[4:5], null, 0xa2f9836e, v12, v[4:5]
	v_cmp_lt_u32_e64 s1, 31, v11
	v_cndmask_b32_e64 v12, 0, 0xffffffe0, s1
	v_cndmask_b32_e32 v4, v4, v9, vcc_lo
	v_cndmask_b32_e32 v5, v5, v10, vcc_lo
	;; [unrolled: 1-line block ×3, first 2 shown]
	v_add_nc_u32_e32 v10, v12, v11
	v_cndmask_b32_e64 v8, v4, v13, s0
	v_cndmask_b32_e64 v4, v5, v4, s0
	;; [unrolled: 1-line block ×4, first 2 shown]
	v_sub_nc_u32_e32 v11, 32, v10
	v_cmp_eq_u32_e32 vcc_lo, 0, v10
	v_cndmask_b32_e64 v4, v4, v8, s1
	v_cndmask_b32_e64 v8, v8, v5, s1
	;; [unrolled: 1-line block ×4, first 2 shown]
	v_alignbit_b32 v12, v4, v8, v11
	v_alignbit_b32 v7, v8, v5, v11
	;; [unrolled: 1-line block ×3, first 2 shown]
	v_cndmask_b32_e32 v4, v12, v4, vcc_lo
	v_cndmask_b32_e32 v6, v7, v8, vcc_lo
	;; [unrolled: 1-line block ×3, first 2 shown]
	v_bfe_u32 v7, v4, 29, 1
	v_alignbit_b32 v8, v4, v6, 30
	v_alignbit_b32 v6, v6, v5, 30
	;; [unrolled: 1-line block ×3, first 2 shown]
	v_sub_nc_u32_e32 v9, 0, v7
	v_xor_b32_e32 v8, v8, v9
	v_xor_b32_e32 v5, v6, v9
	;; [unrolled: 1-line block ×3, first 2 shown]
	v_lshrrev_b32_e32 v9, 29, v4
	v_lshrrev_b32_e32 v4, 30, v4
	v_ffbh_u32_e32 v10, v8
	v_add_nc_u32_e32 v4, v7, v4
	v_min_u32_e32 v10, 32, v10
	v_sub_nc_u32_e32 v6, 31, v10
	v_lshlrev_b32_e32 v11, 23, v10
	v_alignbit_b32 v8, v8, v5, v6
	v_alignbit_b32 v3, v5, v3, v6
	v_lshlrev_b32_e32 v5, 31, v9
	v_alignbit_b32 v6, v8, v3, 9
	v_or_b32_e32 v9, 0.5, v5
	v_lshrrev_b32_e32 v8, 9, v8
	v_or_b32_e32 v5, 0x33000000, v5
	v_ffbh_u32_e32 v12, v6
	v_sub_nc_u32_e32 v9, v9, v11
	v_min_u32_e32 v11, 32, v12
	v_or_b32_e32 v8, v8, v9
	v_not_b32_e32 v9, v11
	v_mul_f32_e32 v12, 0x3fc90fda, v8
	v_add_lshl_u32 v10, v11, v10, 23
	v_alignbit_b32 v3, v6, v3, v9
	v_fma_f32 v6, 0x3fc90fda, v8, -v12
	v_sub_nc_u32_e32 v5, v5, v10
	v_lshrrev_b32_e32 v3, 9, v3
	v_fmamk_f32 v6, v8, 0x33a22168, v6
	v_or_b32_e32 v3, v5, v3
	v_fmac_f32_e32 v6, 0x3fc90fda, v3
	v_add_f32_e32 v3, v12, v6
.LBB35_981:
	s_andn2_saveexec_b32 s0, s10
; %bb.982:
	v_mul_f32_e64 v3, 0x3f22f983, |v1|
	v_rndne_f32_e32 v4, v3
	v_fma_f32 v3, 0xbfc90fda, v4, |v1|
	v_fmamk_f32 v3, v4, 0xb3a22168, v3
	v_fmamk_f32 v3, v4, 0xa7c234c4, v3
	v_cvt_i32_f32_e32 v4, v4
; %bb.983:
	s_or_b32 exec_lo, exec_lo, s0
	v_mul_f32_e32 v5, v3, v3
	s_mov_b32 s0, 0xb94c1982
	s_mov_b32 s1, 0x37d75334
	v_lshlrev_b32_e32 v8, 30, v4
	v_and_b32_e32 v4, 1, v4
	v_fmaak_f32 v6, s0, v5, 0x3c0881c4
	v_fmaak_f32 v7, s1, v5, 0xbab64f3b
	s_and_b32 s1, s29, 0xff
	v_and_b32_e32 v8, 0x80000000, v8
	v_cmp_eq_u32_e32 vcc_lo, 0, v4
	v_fmaak_f32 v6, v5, v6, 0xbe2aaa9d
	v_fmaak_f32 v7, v5, v7, 0x3d2aabf7
	s_mov_b32 s10, 0
	v_xor_b32_e32 v2, v2, v8
	s_cmp_lt_i32 s1, 11
	v_mul_f32_e32 v6, v5, v6
	v_fmaak_f32 v7, v5, v7, 0xbf000004
	v_fmac_f32_e32 v3, v3, v6
	v_fma_f32 v5, v5, v7, 1.0
	v_cndmask_b32_e32 v3, v5, v3, vcc_lo
	v_cmp_class_f32_e64 vcc_lo, v1, 0x1f8
	v_xor3_b32 v2, v2, v3, v1
	v_mov_b32_e32 v3, 0x7fc0
	v_cndmask_b32_e32 v1, 0x7fc00000, v2, vcc_lo
	v_bfe_u32 v2, v1, 16, 1
	v_cmp_o_f32_e32 vcc_lo, v1, v1
	v_add3_u32 v4, v1, v2, 0x7fff
	v_add_co_u32 v1, s0, s8, v0
	v_add_co_ci_u32_e64 v2, null, s9, 0, s0
	v_cndmask_b32_sdwa v3, v3, v4, vcc_lo dst_sel:DWORD dst_unused:UNUSED_PAD src0_sel:DWORD src1_sel:WORD_1
	s_mov_b32 s9, -1
	s_mov_b32 s0, s36
	s_cbranch_scc1 .LBB35_1061
; %bb.984:
	s_and_b32 s8, 0xffff, s1
	s_mov_b32 s0, s36
	s_cmp_gt_i32 s8, 25
	s_cbranch_scc0 .LBB35_1017
; %bb.985:
	s_cmp_gt_i32 s8, 28
	s_mov_b32 s0, s36
	s_cbranch_scc0 .LBB35_1001
; %bb.986:
	s_cmp_gt_i32 s8, 43
	s_mov_b32 s0, s36
	;; [unrolled: 4-line block ×3, first 2 shown]
	s_cbranch_scc0 .LBB35_991
; %bb.988:
	s_cmp_eq_u32 s8, 46
	s_mov_b32 s0, -1
	s_cbranch_scc0 .LBB35_990
; %bb.989:
	v_and_b32_e32 v0, 0xffff, v3
	s_mov_b32 s0, 0
	global_store_dword v[1:2], v0, off
.LBB35_990:
	s_mov_b32 s9, 0
.LBB35_991:
	s_and_b32 vcc_lo, exec_lo, s9
	s_cbranch_vccz .LBB35_996
; %bb.992:
	s_cmp_eq_u32 s8, 44
	s_mov_b32 s0, -1
	s_cbranch_scc0 .LBB35_996
; %bb.993:
	v_and_b32_e32 v0, 0xffff, v3
	v_mov_b32_e32 v4, 0xff
	s_mov_b32 s9, exec_lo
	v_bfe_u32 v5, v0, 7, 8
	v_cmpx_ne_u32_e32 0xff, v5
	s_cbranch_execz .LBB35_995
; %bb.994:
	v_lshlrev_b32_e32 v4, 16, v0
	v_and_b32_e32 v6, 64, v0
	v_lshrrev_b32_e32 v0, 7, v0
	v_and_or_b32 v4, 0x3f0000, v4, v5
	v_cmp_ne_u32_e32 vcc_lo, 0, v6
	v_cmp_ne_u32_e64 s0, 0, v4
	s_and_b32 s0, vcc_lo, s0
	v_cndmask_b32_e64 v4, 0, 1, s0
	v_add_nc_u32_e32 v4, v0, v4
.LBB35_995:
	s_or_b32 exec_lo, exec_lo, s9
	s_mov_b32 s0, 0
	global_store_byte v[1:2], v4, off
.LBB35_996:
	s_mov_b32 s9, 0
.LBB35_997:
	s_and_b32 vcc_lo, exec_lo, s9
	s_cbranch_vccz .LBB35_1000
; %bb.998:
	s_cmp_eq_u32 s8, 29
	s_mov_b32 s0, -1
	s_cbranch_scc0 .LBB35_1000
; %bb.999:
	v_lshlrev_b32_e32 v0, 16, v3
	s_mov_b32 s0, 0
	v_trunc_f32_e32 v0, v0
	v_mul_f32_e32 v4, 0x2f800000, v0
	v_floor_f32_e32 v4, v4
	v_fmamk_f32 v0, v4, 0xcf800000, v0
	v_cvt_u32_f32_e32 v5, v4
	v_cvt_u32_f32_e32 v4, v0
	global_store_dwordx2 v[1:2], v[4:5], off
.LBB35_1000:
	s_mov_b32 s9, 0
.LBB35_1001:
	s_and_b32 vcc_lo, exec_lo, s9
	s_cbranch_vccz .LBB35_1016
; %bb.1002:
	s_cmp_lt_i32 s8, 27
	s_mov_b32 s9, -1
	s_cbranch_scc1 .LBB35_1008
; %bb.1003:
	s_cmp_gt_i32 s8, 27
	s_cbranch_scc0 .LBB35_1005
; %bb.1004:
	v_lshlrev_b32_e32 v0, 16, v3
	s_mov_b32 s9, 0
	v_cvt_u32_f32_e32 v0, v0
	global_store_dword v[1:2], v0, off
.LBB35_1005:
	s_andn2_b32 vcc_lo, exec_lo, s9
	s_cbranch_vccnz .LBB35_1007
; %bb.1006:
	v_lshlrev_b32_e32 v0, 16, v3
	v_cvt_u32_f32_e32 v0, v0
	global_store_short v[1:2], v0, off
.LBB35_1007:
	s_mov_b32 s9, 0
.LBB35_1008:
	s_andn2_b32 vcc_lo, exec_lo, s9
	s_cbranch_vccnz .LBB35_1016
; %bb.1009:
	v_lshlrev_b32_e32 v5, 16, v3
	v_mov_b32_e32 v6, 0x80
	s_mov_b32 s9, exec_lo
	v_and_b32_e32 v4, 0x7fffffff, v5
	v_cmpx_gt_u32_e32 0x43800000, v4
	s_cbranch_execz .LBB35_1015
; %bb.1010:
	v_and_b32_e32 v0, 0xffff, v3
	v_cmp_lt_u32_e32 vcc_lo, 0x3bffffff, v4
                                        ; implicit-def: $vgpr4
	s_and_saveexec_b32 s11, vcc_lo
	s_xor_b32 s11, exec_lo, s11
	s_cbranch_execz .LBB35_1172
; %bb.1011:
	v_bfe_u32 v4, v0, 4, 1
	s_mov_b32 s10, exec_lo
	v_add3_u32 v4, v5, v4, 0x487ffff
                                        ; implicit-def: $vgpr5
	v_lshrrev_b32_e32 v4, 20, v4
	s_andn2_saveexec_b32 s11, s11
	s_cbranch_execnz .LBB35_1173
.LBB35_1012:
	s_or_b32 exec_lo, exec_lo, s11
	v_mov_b32_e32 v6, 0
	s_and_saveexec_b32 s11, s10
.LBB35_1013:
	v_lshrrev_b32_e32 v0, 8, v0
	v_and_or_b32 v6, 0x80, v0, v4
.LBB35_1014:
	s_or_b32 exec_lo, exec_lo, s11
.LBB35_1015:
	s_or_b32 exec_lo, exec_lo, s9
	global_store_byte v[1:2], v6, off
.LBB35_1016:
	s_mov_b32 s9, 0
.LBB35_1017:
	s_and_b32 vcc_lo, exec_lo, s9
	s_mov_b32 s9, 0
	s_cbranch_vccz .LBB35_1060
; %bb.1018:
	s_cmp_gt_i32 s8, 22
	s_mov_b32 s10, -1
	s_cbranch_scc0 .LBB35_1050
; %bb.1019:
	s_cmp_lt_i32 s8, 24
	s_cbranch_scc1 .LBB35_1039
; %bb.1020:
	s_cmp_gt_i32 s8, 24
	s_cbranch_scc0 .LBB35_1028
; %bb.1021:
	v_lshlrev_b32_e32 v5, 16, v3
	v_mov_b32_e32 v6, 0x80
	s_mov_b32 s10, exec_lo
	v_and_b32_e32 v4, 0x7fffffff, v5
	v_cmpx_gt_u32_e32 0x47800000, v4
	s_cbranch_execz .LBB35_1027
; %bb.1022:
	v_and_b32_e32 v0, 0xffff, v3
	v_cmp_lt_u32_e32 vcc_lo, 0x37ffffff, v4
	s_mov_b32 s11, 0
                                        ; implicit-def: $vgpr4
	s_and_saveexec_b32 s12, vcc_lo
	s_xor_b32 s12, exec_lo, s12
	s_cbranch_execz .LBB35_1302
; %bb.1023:
	v_bfe_u32 v4, v0, 5, 1
	s_mov_b32 s11, exec_lo
	v_add3_u32 v4, v5, v4, 0x88fffff
                                        ; implicit-def: $vgpr5
	v_lshrrev_b32_e32 v4, 21, v4
	s_andn2_saveexec_b32 s12, s12
	s_cbranch_execnz .LBB35_1303
.LBB35_1024:
	s_or_b32 exec_lo, exec_lo, s12
	v_mov_b32_e32 v6, 0
	s_and_saveexec_b32 s12, s11
.LBB35_1025:
	v_lshrrev_b32_e32 v0, 8, v0
	v_and_or_b32 v6, 0x80, v0, v4
.LBB35_1026:
	s_or_b32 exec_lo, exec_lo, s12
.LBB35_1027:
	s_or_b32 exec_lo, exec_lo, s10
	s_mov_b32 s10, 0
	global_store_byte v[1:2], v6, off
.LBB35_1028:
	s_and_b32 vcc_lo, exec_lo, s10
	s_cbranch_vccz .LBB35_1038
; %bb.1029:
	v_lshlrev_b32_e32 v5, 16, v3
	v_and_b32_e32 v0, 0xffff, v3
	s_mov_b32 s10, exec_lo
                                        ; implicit-def: $vgpr4
	v_and_b32_e32 v6, 0x7fffffff, v5
	v_cmpx_gt_u32_e32 0x43f00000, v6
	s_xor_b32 s10, exec_lo, s10
	s_cbranch_execz .LBB35_1035
; %bb.1030:
	s_mov_b32 s11, exec_lo
                                        ; implicit-def: $vgpr4
	v_cmpx_lt_u32_e32 0x3c7fffff, v6
	s_xor_b32 s11, exec_lo, s11
; %bb.1031:
	v_bfe_u32 v4, v0, 4, 1
	v_add3_u32 v4, v5, v4, 0x407ffff
	v_and_b32_e32 v5, 0xff00000, v4
	v_lshrrev_b32_e32 v4, 20, v4
	v_cmp_ne_u32_e32 vcc_lo, 0x7f00000, v5
                                        ; implicit-def: $vgpr5
	v_cndmask_b32_e32 v4, 0x7e, v4, vcc_lo
; %bb.1032:
	s_andn2_saveexec_b32 s11, s11
; %bb.1033:
	v_add_f32_e64 v4, 0x46800000, |v5|
; %bb.1034:
	s_or_b32 exec_lo, exec_lo, s11
                                        ; implicit-def: $vgpr6
.LBB35_1035:
	s_andn2_saveexec_b32 s10, s10
; %bb.1036:
	v_mov_b32_e32 v4, 0x7f
	v_cmp_lt_u32_e32 vcc_lo, 0x7f800000, v6
	v_cndmask_b32_e32 v4, 0x7e, v4, vcc_lo
; %bb.1037:
	s_or_b32 exec_lo, exec_lo, s10
	v_lshrrev_b32_e32 v0, 8, v0
	v_and_or_b32 v0, 0x80, v0, v4
	global_store_byte v[1:2], v0, off
.LBB35_1038:
	s_mov_b32 s10, 0
.LBB35_1039:
	s_andn2_b32 vcc_lo, exec_lo, s10
	s_cbranch_vccnz .LBB35_1049
; %bb.1040:
	v_lshlrev_b32_e32 v5, 16, v3
	v_and_b32_e32 v0, 0xffff, v3
	s_mov_b32 s10, exec_lo
                                        ; implicit-def: $vgpr4
	v_and_b32_e32 v6, 0x7fffffff, v5
	v_cmpx_gt_u32_e32 0x47800000, v6
	s_xor_b32 s10, exec_lo, s10
	s_cbranch_execz .LBB35_1046
; %bb.1041:
	s_mov_b32 s11, exec_lo
                                        ; implicit-def: $vgpr4
	v_cmpx_lt_u32_e32 0x387fffff, v6
	s_xor_b32 s11, exec_lo, s11
; %bb.1042:
	v_bfe_u32 v4, v0, 5, 1
	v_add3_u32 v4, v5, v4, 0x80fffff
                                        ; implicit-def: $vgpr5
	v_lshrrev_b32_e32 v4, 21, v4
; %bb.1043:
	s_andn2_saveexec_b32 s11, s11
; %bb.1044:
	v_add_f32_e64 v4, 0x43000000, |v5|
; %bb.1045:
	s_or_b32 exec_lo, exec_lo, s11
                                        ; implicit-def: $vgpr6
.LBB35_1046:
	s_andn2_saveexec_b32 s10, s10
; %bb.1047:
	v_mov_b32_e32 v4, 0x7f
	v_cmp_lt_u32_e32 vcc_lo, 0x7f800000, v6
	v_cndmask_b32_e32 v4, 0x7c, v4, vcc_lo
; %bb.1048:
	s_or_b32 exec_lo, exec_lo, s10
	v_lshrrev_b32_e32 v0, 8, v0
	v_and_or_b32 v0, 0x80, v0, v4
	global_store_byte v[1:2], v0, off
.LBB35_1049:
	s_mov_b32 s10, 0
.LBB35_1050:
	s_andn2_b32 vcc_lo, exec_lo, s10
	s_mov_b32 s10, 0
	s_cbranch_vccnz .LBB35_1061
; %bb.1051:
	s_cmp_gt_i32 s8, 14
	s_mov_b32 s10, -1
	s_cbranch_scc0 .LBB35_1055
; %bb.1052:
	s_cmp_eq_u32 s8, 15
	s_mov_b32 s0, -1
	s_cbranch_scc0 .LBB35_1054
; %bb.1053:
	s_mov_b32 s0, 0
	global_store_short v[1:2], v3, off
.LBB35_1054:
	s_mov_b32 s10, 0
.LBB35_1055:
	s_and_b32 vcc_lo, exec_lo, s10
	s_mov_b32 s10, 0
	s_cbranch_vccz .LBB35_1061
; %bb.1056:
	s_cmp_lg_u32 s8, 11
	s_mov_b32 s10, -1
	s_cselect_b32 s8, -1, 0
	s_andn2_b32 s0, s0, exec_lo
	s_and_b32 s8, s8, exec_lo
	s_or_b32 s0, s0, s8
	s_branch .LBB35_1061
.LBB35_1057:
	s_or_b32 exec_lo, exec_lo, s7
	s_and_saveexec_b32 s0, s36
	s_cbranch_execnz .LBB35_1062
.LBB35_1058:
	s_or_b32 exec_lo, exec_lo, s0
	s_and_saveexec_b32 s0, s10
	s_xor_b32 s0, exec_lo, s0
	s_cbranch_execz .LBB35_1063
.LBB35_1059:
	s_waitcnt vmcnt(0)
	v_and_b32_e32 v0, 0x7fff, v3
	v_cmp_ne_u16_e32 vcc_lo, 0, v0
	v_cndmask_b32_e64 v0, 0, 1, vcc_lo
	global_store_byte v[1:2], v0, off
	s_or_b32 exec_lo, exec_lo, s0
	s_and_saveexec_b32 s0, s11
	s_xor_b32 s0, exec_lo, s0
	s_cbranch_execz .LBB35_1101
	s_branch .LBB35_1064
.LBB35_1060:
	s_mov_b32 s10, 0
.LBB35_1061:
	s_andn2_b32 s8, s36, exec_lo
	s_and_b32 s0, s0, exec_lo
	s_and_b32 s11, s9, exec_lo
	;; [unrolled: 1-line block ×3, first 2 shown]
	s_or_b32 s36, s8, s0
	s_or_b32 exec_lo, exec_lo, s7
	s_and_saveexec_b32 s0, s36
	s_cbranch_execz .LBB35_1058
.LBB35_1062:
	s_or_b32 s6, s6, exec_lo
	s_andn2_b32 s10, s10, exec_lo
	s_trap 2
	s_or_b32 exec_lo, exec_lo, s0
	s_and_saveexec_b32 s0, s10
	s_xor_b32 s0, exec_lo, s0
	s_cbranch_execnz .LBB35_1059
.LBB35_1063:
	s_or_b32 exec_lo, exec_lo, s0
	s_and_saveexec_b32 s0, s11
	s_xor_b32 s0, exec_lo, s0
	s_cbranch_execz .LBB35_1101
.LBB35_1064:
	s_sext_i32_i16 s8, s1
	s_mov_b32 s7, -1
	s_cmp_lt_i32 s8, 5
	s_cbranch_scc1 .LBB35_1085
; %bb.1065:
	s_cmp_lt_i32 s8, 8
	s_cbranch_scc1 .LBB35_1075
; %bb.1066:
	;; [unrolled: 3-line block ×3, first 2 shown]
	s_cmp_gt_i32 s8, 9
	s_cbranch_scc0 .LBB35_1069
; %bb.1068:
	s_waitcnt vmcnt(0)
	v_lshlrev_b32_e32 v0, 16, v3
	v_mov_b32_e32 v6, 0
	s_mov_b32 s7, 0
	v_cvt_f64_f32_e32 v[4:5], v0
	v_mov_b32_e32 v7, v6
	global_store_dwordx4 v[1:2], v[4:7], off
.LBB35_1069:
	s_andn2_b32 vcc_lo, exec_lo, s7
	s_cbranch_vccnz .LBB35_1071
; %bb.1070:
	s_waitcnt vmcnt(0)
	v_lshlrev_b32_e32 v4, 16, v3
	v_mov_b32_e32 v5, 0
	global_store_dwordx2 v[1:2], v[4:5], off
.LBB35_1071:
	s_mov_b32 s7, 0
.LBB35_1072:
	s_andn2_b32 vcc_lo, exec_lo, s7
	s_cbranch_vccnz .LBB35_1074
; %bb.1073:
	s_waitcnt vmcnt(0)
	v_lshlrev_b32_e32 v0, 16, v3
	v_cvt_f16_f32_e32 v0, v0
	v_and_b32_e32 v0, 0xffff, v0
	global_store_dword v[1:2], v0, off
.LBB35_1074:
	s_mov_b32 s7, 0
.LBB35_1075:
	s_andn2_b32 vcc_lo, exec_lo, s7
	s_cbranch_vccnz .LBB35_1084
; %bb.1076:
	s_sext_i32_i16 s8, s1
	s_mov_b32 s7, -1
	s_cmp_lt_i32 s8, 6
	s_cbranch_scc1 .LBB35_1082
; %bb.1077:
	s_cmp_gt_i32 s8, 6
	s_cbranch_scc0 .LBB35_1079
; %bb.1078:
	s_waitcnt vmcnt(0)
	v_lshlrev_b32_e32 v0, 16, v3
	s_mov_b32 s7, 0
	v_cvt_f64_f32_e32 v[4:5], v0
	global_store_dwordx2 v[1:2], v[4:5], off
.LBB35_1079:
	s_andn2_b32 vcc_lo, exec_lo, s7
	s_cbranch_vccnz .LBB35_1081
; %bb.1080:
	s_waitcnt vmcnt(0)
	v_lshlrev_b32_e32 v0, 16, v3
	global_store_dword v[1:2], v0, off
.LBB35_1081:
	s_mov_b32 s7, 0
.LBB35_1082:
	s_andn2_b32 vcc_lo, exec_lo, s7
	s_cbranch_vccnz .LBB35_1084
; %bb.1083:
	s_waitcnt vmcnt(0)
	v_lshlrev_b32_e32 v0, 16, v3
	v_cvt_f16_f32_e32 v0, v0
	global_store_short v[1:2], v0, off
.LBB35_1084:
	s_mov_b32 s7, 0
.LBB35_1085:
	s_andn2_b32 vcc_lo, exec_lo, s7
	s_cbranch_vccnz .LBB35_1101
; %bb.1086:
	s_sext_i32_i16 s8, s1
	s_mov_b32 s7, -1
	s_cmp_lt_i32 s8, 2
	s_cbranch_scc1 .LBB35_1096
; %bb.1087:
	s_cmp_lt_i32 s8, 3
	s_cbranch_scc1 .LBB35_1093
; %bb.1088:
	s_cmp_gt_i32 s8, 3
	s_cbranch_scc0 .LBB35_1090
; %bb.1089:
	s_waitcnt vmcnt(0)
	v_lshlrev_b32_e32 v0, 16, v3
	s_mov_b32 s7, 0
	v_trunc_f32_e32 v0, v0
	v_mul_f32_e64 v4, 0x2f800000, |v0|
	v_floor_f32_e32 v4, v4
	v_fma_f32 v5, 0xcf800000, v4, |v0|
	v_ashrrev_i32_e32 v0, 31, v0
	v_cvt_u32_f32_e32 v4, v4
	v_cvt_u32_f32_e32 v5, v5
	v_xor_b32_e32 v6, v4, v0
	v_xor_b32_e32 v5, v5, v0
	v_sub_co_u32 v4, vcc_lo, v5, v0
	v_sub_co_ci_u32_e64 v5, null, v6, v0, vcc_lo
	global_store_dwordx2 v[1:2], v[4:5], off
.LBB35_1090:
	s_andn2_b32 vcc_lo, exec_lo, s7
	s_cbranch_vccnz .LBB35_1092
; %bb.1091:
	s_waitcnt vmcnt(0)
	v_lshlrev_b32_e32 v0, 16, v3
	v_cvt_i32_f32_e32 v0, v0
	global_store_dword v[1:2], v0, off
.LBB35_1092:
	s_mov_b32 s7, 0
.LBB35_1093:
	s_andn2_b32 vcc_lo, exec_lo, s7
	s_cbranch_vccnz .LBB35_1095
; %bb.1094:
	s_waitcnt vmcnt(0)
	v_lshlrev_b32_e32 v0, 16, v3
	v_cvt_i32_f32_e32 v0, v0
	global_store_short v[1:2], v0, off
.LBB35_1095:
	s_mov_b32 s7, 0
.LBB35_1096:
	s_andn2_b32 vcc_lo, exec_lo, s7
	s_cbranch_vccnz .LBB35_1101
; %bb.1097:
	s_sext_i32_i16 s1, s1
	s_cmp_gt_i32 s1, 0
	s_mov_b32 s1, -1
	s_cbranch_scc0 .LBB35_1099
; %bb.1098:
	s_waitcnt vmcnt(0)
	v_lshlrev_b32_e32 v0, 16, v3
	s_mov_b32 s1, 0
	v_cvt_i32_f32_e32 v0, v0
	global_store_byte v[1:2], v0, off
.LBB35_1099:
	s_andn2_b32 vcc_lo, exec_lo, s1
	s_cbranch_vccnz .LBB35_1101
; %bb.1100:
	s_waitcnt vmcnt(0)
	v_lshlrev_b32_e32 v0, 16, v3
	v_trunc_f32_e32 v0, v0
	v_mul_f32_e64 v3, 0x2f800000, |v0|
	v_floor_f32_e32 v3, v3
	v_fma_f32 v3, 0xcf800000, v3, |v0|
	v_ashrrev_i32_e32 v0, 31, v0
	v_cvt_u32_f32_e32 v3, v3
	v_xor_b32_e32 v3, v3, v0
	v_sub_nc_u32_e32 v0, v3, v0
	global_store_byte v[1:2], v0, off
.LBB35_1101:
	s_or_b32 exec_lo, exec_lo, s0
	s_and_b32 s12, s6, exec_lo
                                        ; implicit-def: $vgpr15
                                        ; implicit-def: $vgpr8
.LBB35_1102:
	s_or_saveexec_b32 s13, s28
	s_mov_b32 s0, 0
                                        ; implicit-def: $vgpr0_vgpr1
                                        ; implicit-def: $sgpr1
                                        ; implicit-def: $vgpr2
	s_xor_b32 exec_lo, exec_lo, s13
	s_cbranch_execz .LBB35_2123
; %bb.1103:
	v_cndmask_b32_e64 v0, 0, 1, s27
	s_andn2_b32 vcc_lo, exec_lo, s27
	s_cbranch_vccnz .LBB35_1109
; %bb.1104:
	s_cmp_lg_u32 s24, 0
	s_mov_b32 s8, 0
	s_cbranch_scc0 .LBB35_1110
; %bb.1105:
	s_min_u32 s10, s25, 15
	s_add_i32 s10, s10, 1
	s_cmp_eq_u32 s25, 2
	s_cbranch_scc1 .LBB35_1111
; %bb.1106:
	v_mov_b32_e32 v13, 0
	v_mov_b32_e32 v6, 0
	;; [unrolled: 1-line block ×3, first 2 shown]
	s_and_b32 s9, s10, 28
	s_add_u32 s0, s2, 0xc4
	s_addc_u32 s1, s3, 0
	s_mov_b32 s11, 0
	s_mov_b64 s[6:7], s[2:3]
.LBB35_1107:                            ; =>This Inner Loop Header: Depth=1
	s_clause 0x1
	s_load_dwordx8 s[16:23], s[6:7], 0x4
	s_load_dwordx4 s[28:31], s[6:7], 0x24
	s_load_dwordx8 s[36:43], s[0:1], 0x0
	s_add_u32 s6, s6, 48
	s_addc_u32 s7, s7, 0
	s_add_i32 s11, s11, 4
	s_add_u32 s0, s0, 32
	s_addc_u32 s1, s1, 0
	s_cmp_lg_u32 s9, s11
	s_waitcnt lgkmcnt(0)
	v_mul_hi_u32 v2, s17, v1
	v_add_nc_u32_e32 v2, v1, v2
	v_lshrrev_b32_e32 v2, s18, v2
	s_waitcnt vmcnt(0)
	v_mul_hi_u32 v3, s20, v2
	v_mul_lo_u32 v5, v2, s16
	v_add_nc_u32_e32 v3, v2, v3
	v_sub_nc_u32_e32 v1, v1, v5
	v_lshrrev_b32_e32 v3, s21, v3
	v_mul_lo_u32 v5, v1, s36
	v_mul_lo_u32 v9, v1, s37
	v_mul_hi_u32 v4, s23, v3
	v_add_nc_u32_e32 v4, v3, v4
	v_lshrrev_b32_e32 v4, s28, v4
	v_mul_hi_u32 v7, s30, v4
	v_mul_lo_u32 v10, v4, s22
	v_add_nc_u32_e32 v1, v4, v7
	v_mul_lo_u32 v7, v3, s19
	v_sub_nc_u32_e32 v3, v3, v10
	v_lshrrev_b32_e32 v1, s31, v1
	v_mul_lo_u32 v10, v3, s40
	v_mul_lo_u32 v3, v3, s41
	v_sub_nc_u32_e32 v2, v2, v7
	v_mul_lo_u32 v11, v1, s29
	v_mul_lo_u32 v7, v2, s38
	;; [unrolled: 1-line block ×3, first 2 shown]
	v_sub_nc_u32_e32 v4, v4, v11
	v_add3_u32 v5, v5, v6, v7
	v_mul_lo_u32 v11, v4, s42
	v_mul_lo_u32 v4, v4, s43
	v_add3_u32 v2, v9, v13, v2
	v_add3_u32 v6, v10, v5, v11
	;; [unrolled: 1-line block ×3, first 2 shown]
	s_cbranch_scc1 .LBB35_1107
; %bb.1108:
	s_and_b32 s10, s10, 3
	s_cmp_eq_u32 s10, 0
	s_cbranch_scc0 .LBB35_1112
	s_branch .LBB35_1114
.LBB35_1109:
	s_mov_b32 s8, -1
                                        ; implicit-def: $vgpr6
                                        ; implicit-def: $vgpr13
	s_branch .LBB35_1114
.LBB35_1110:
	v_mov_b32_e32 v6, 0
	v_mov_b32_e32 v13, 0
	s_branch .LBB35_1114
.LBB35_1111:
	v_mov_b32_e32 v6, 0
	v_mov_b32_e32 v13, 0
	;; [unrolled: 1-line block ×3, first 2 shown]
	s_mov_b32 s9, 0
	s_and_b32 s10, s10, 3
	s_cmp_eq_u32 s10, 0
	s_cbranch_scc1 .LBB35_1114
.LBB35_1112:
	s_lshl_b32 s0, s9, 3
	s_mul_i32 s6, s9, 12
	s_add_u32 s0, s2, s0
	s_addc_u32 s1, s3, 0
	s_add_u32 s0, s0, 0xc4
	s_addc_u32 s1, s1, 0
	;; [unrolled: 2-line block ×3, first 2 shown]
	.p2align	6
.LBB35_1113:                            ; =>This Inner Loop Header: Depth=1
	s_clause 0x1
	s_load_dwordx2 s[14:15], s[6:7], 0x4
	s_load_dword s9, s[6:7], 0xc
	s_load_dwordx2 s[16:17], s[0:1], 0x0
	s_add_u32 s6, s6, 12
	s_addc_u32 s7, s7, 0
	s_add_u32 s0, s0, 8
	s_addc_u32 s1, s1, 0
	s_add_i32 s10, s10, -1
	s_cmp_lg_u32 s10, 0
	s_waitcnt lgkmcnt(0)
	v_mul_hi_u32 v2, s15, v1
	v_add_nc_u32_e32 v2, v1, v2
	v_lshrrev_b32_e32 v2, s9, v2
	s_waitcnt vmcnt(0)
	v_mul_lo_u32 v3, v2, s14
	v_sub_nc_u32_e32 v1, v1, v3
	v_mad_u64_u32 v[6:7], null, v1, s16, v[6:7]
	v_mad_u64_u32 v[13:14], null, v1, s17, v[13:14]
	v_mov_b32_e32 v1, v2
	s_cbranch_scc1 .LBB35_1113
.LBB35_1114:
	s_andn2_b32 vcc_lo, exec_lo, s8
	s_cbranch_vccnz .LBB35_1117
; %bb.1115:
	s_clause 0x1
	s_load_dwordx4 s[8:11], s[2:3], 0x4
	s_load_dwordx2 s[0:1], s[2:3], 0xc4
	s_cmp_lt_u32 s24, 2
	s_waitcnt lgkmcnt(0)
	v_mul_hi_u32 v1, s9, v8
	v_add_nc_u32_e32 v1, v8, v1
	v_lshrrev_b32_e32 v1, s10, v1
	v_mul_lo_u32 v2, v1, s8
	v_sub_nc_u32_e32 v2, v8, v2
	v_mul_lo_u32 v6, v2, s0
	v_mul_lo_u32 v13, v2, s1
	s_cbranch_scc1 .LBB35_1117
; %bb.1116:
	s_clause 0x1
	s_load_dwordx4 s[8:11], s[2:3], 0x10
	s_load_dwordx2 s[0:1], s[2:3], 0xcc
	s_waitcnt lgkmcnt(0)
	v_mul_hi_u32 v2, s9, v1
	v_add_nc_u32_e32 v2, v1, v2
	v_lshrrev_b32_e32 v2, s10, v2
	v_mul_lo_u32 v2, v2, s8
	v_sub_nc_u32_e32 v1, v1, v2
	v_mad_u64_u32 v[6:7], null, v1, s0, v[6:7]
	v_mad_u64_u32 v[13:14], null, v1, s1, v[13:14]
.LBB35_1117:
	v_cmp_ne_u32_e32 vcc_lo, 1, v0
	v_add_nc_u32_e32 v1, 0x80, v8
	s_cbranch_vccnz .LBB35_1123
; %bb.1118:
	s_cmp_lg_u32 s24, 0
	s_mov_b32 s8, 0
	s_cbranch_scc0 .LBB35_1124
; %bb.1119:
	s_min_u32 s10, s25, 15
	s_add_i32 s10, s10, 1
	s_cmp_eq_u32 s25, 2
	s_cbranch_scc1 .LBB35_1125
; %bb.1120:
	v_mov_b32_e32 v11, 0
	s_waitcnt vmcnt(0)
	v_mov_b32_e32 v4, 0
	v_mov_b32_e32 v2, v1
	s_and_b32 s9, s10, 28
	s_add_u32 s0, s2, 0xc4
	s_addc_u32 s1, s3, 0
	s_mov_b32 s11, 0
	s_mov_b64 s[6:7], s[2:3]
.LBB35_1121:                            ; =>This Inner Loop Header: Depth=1
	s_clause 0x1
	s_load_dwordx8 s[16:23], s[6:7], 0x4
	s_load_dwordx4 s[28:31], s[6:7], 0x24
	s_load_dwordx8 s[36:43], s[0:1], 0x0
	s_add_u32 s6, s6, 48
	s_addc_u32 s7, s7, 0
	s_add_i32 s11, s11, 4
	s_add_u32 s0, s0, 32
	s_addc_u32 s1, s1, 0
	s_cmp_lg_u32 s9, s11
	s_waitcnt lgkmcnt(0)
	v_mul_hi_u32 v3, s17, v2
	v_add_nc_u32_e32 v3, v2, v3
	v_lshrrev_b32_e32 v3, s18, v3
	v_mul_hi_u32 v5, s20, v3
	v_mul_lo_u32 v9, v3, s16
	v_add_nc_u32_e32 v5, v3, v5
	v_sub_nc_u32_e32 v2, v2, v9
	v_lshrrev_b32_e32 v5, s21, v5
	v_mul_lo_u32 v9, v2, s36
	v_mul_lo_u32 v12, v2, s37
	v_mul_hi_u32 v7, s23, v5
	v_add_nc_u32_e32 v7, v5, v7
	v_lshrrev_b32_e32 v7, s28, v7
	v_mul_hi_u32 v10, s30, v7
	v_mul_lo_u32 v14, v7, s22
	v_add_nc_u32_e32 v2, v7, v10
	v_mul_lo_u32 v10, v5, s19
	v_sub_nc_u32_e32 v5, v5, v14
	v_lshrrev_b32_e32 v2, s31, v2
	v_mul_lo_u32 v14, v5, s40
	v_mul_lo_u32 v5, v5, s41
	v_sub_nc_u32_e32 v3, v3, v10
	v_mul_lo_u32 v16, v2, s29
	v_mul_lo_u32 v10, v3, s38
	;; [unrolled: 1-line block ×3, first 2 shown]
	v_sub_nc_u32_e32 v7, v7, v16
	v_add3_u32 v4, v9, v4, v10
	v_mul_lo_u32 v16, v7, s42
	v_mul_lo_u32 v7, v7, s43
	v_add3_u32 v3, v12, v11, v3
	v_add3_u32 v4, v14, v4, v16
	;; [unrolled: 1-line block ×3, first 2 shown]
	s_cbranch_scc1 .LBB35_1121
; %bb.1122:
	s_and_b32 s10, s10, 3
	s_cmp_eq_u32 s10, 0
	s_cbranch_scc0 .LBB35_1126
	s_branch .LBB35_1128
.LBB35_1123:
	s_mov_b32 s8, -1
                                        ; implicit-def: $vgpr4
                                        ; implicit-def: $vgpr11
	s_branch .LBB35_1128
.LBB35_1124:
	s_waitcnt vmcnt(0)
	v_mov_b32_e32 v4, 0
	v_mov_b32_e32 v11, 0
	s_branch .LBB35_1128
.LBB35_1125:
	s_waitcnt vmcnt(0)
	v_mov_b32_e32 v4, 0
	v_mov_b32_e32 v11, 0
	;; [unrolled: 1-line block ×3, first 2 shown]
	s_mov_b32 s9, 0
	s_and_b32 s10, s10, 3
	s_cmp_eq_u32 s10, 0
	s_cbranch_scc1 .LBB35_1128
.LBB35_1126:
	s_lshl_b32 s0, s9, 3
	s_mul_i32 s6, s9, 12
	s_add_u32 s0, s2, s0
	s_addc_u32 s1, s3, 0
	s_add_u32 s0, s0, 0xc4
	s_addc_u32 s1, s1, 0
	s_add_u32 s6, s2, s6
	s_addc_u32 s7, s3, 0
	.p2align	6
.LBB35_1127:                            ; =>This Inner Loop Header: Depth=1
	s_clause 0x1
	s_load_dwordx2 s[14:15], s[6:7], 0x4
	s_load_dword s9, s[6:7], 0xc
	s_load_dwordx2 s[16:17], s[0:1], 0x0
	s_add_u32 s6, s6, 12
	s_addc_u32 s7, s7, 0
	s_add_u32 s0, s0, 8
	s_addc_u32 s1, s1, 0
	s_add_i32 s10, s10, -1
	s_cmp_lg_u32 s10, 0
	s_waitcnt lgkmcnt(0)
	v_mul_hi_u32 v3, s15, v2
	v_add_nc_u32_e32 v3, v2, v3
	v_lshrrev_b32_e32 v3, s9, v3
	v_mul_lo_u32 v5, v3, s14
	v_sub_nc_u32_e32 v2, v2, v5
	v_mad_u64_u32 v[4:5], null, v2, s16, v[4:5]
	v_mad_u64_u32 v[11:12], null, v2, s17, v[11:12]
	v_mov_b32_e32 v2, v3
	s_cbranch_scc1 .LBB35_1127
.LBB35_1128:
	s_andn2_b32 vcc_lo, exec_lo, s8
	s_cbranch_vccnz .LBB35_1131
; %bb.1129:
	s_clause 0x1
	s_load_dwordx4 s[8:11], s[2:3], 0x4
	s_load_dwordx2 s[0:1], s[2:3], 0xc4
	s_cmp_lt_u32 s24, 2
	s_waitcnt lgkmcnt(0)
	v_mul_hi_u32 v2, s9, v1
	v_add_nc_u32_e32 v2, v1, v2
	v_lshrrev_b32_e32 v2, s10, v2
	s_waitcnt vmcnt(0)
	v_mul_lo_u32 v3, v2, s8
	v_sub_nc_u32_e32 v1, v1, v3
	v_mul_lo_u32 v4, v1, s0
	v_mul_lo_u32 v11, v1, s1
	s_cbranch_scc1 .LBB35_1131
; %bb.1130:
	s_clause 0x1
	s_load_dwordx4 s[8:11], s[2:3], 0x10
	s_load_dwordx2 s[0:1], s[2:3], 0xcc
	s_waitcnt lgkmcnt(0)
	v_mul_hi_u32 v1, s9, v2
	v_add_nc_u32_e32 v1, v2, v1
	v_lshrrev_b32_e32 v1, s10, v1
	v_mul_lo_u32 v1, v1, s8
	v_sub_nc_u32_e32 v1, v2, v1
	v_mad_u64_u32 v[4:5], null, v1, s0, v[4:5]
	v_mad_u64_u32 v[11:12], null, v1, s1, v[11:12]
.LBB35_1131:
	v_cmp_ne_u32_e32 vcc_lo, 1, v0
	v_add_nc_u32_e32 v1, 0x100, v8
	s_cbranch_vccnz .LBB35_1137
; %bb.1132:
	s_cmp_lg_u32 s24, 0
	s_mov_b32 s8, 0
	s_cbranch_scc0 .LBB35_1138
; %bb.1133:
	s_min_u32 s10, s25, 15
	s_add_i32 s10, s10, 1
	s_cmp_eq_u32 s25, 2
	s_cbranch_scc1 .LBB35_1139
; %bb.1134:
	v_mov_b32_e32 v9, 0
	v_mov_b32_e32 v2, 0
	s_waitcnt vmcnt(0)
	v_mov_b32_e32 v3, v1
	s_and_b32 s9, s10, 28
	s_add_u32 s0, s2, 0xc4
	s_addc_u32 s1, s3, 0
	s_mov_b32 s11, 0
	s_mov_b64 s[6:7], s[2:3]
.LBB35_1135:                            ; =>This Inner Loop Header: Depth=1
	s_clause 0x1
	s_load_dwordx8 s[16:23], s[6:7], 0x4
	s_load_dwordx4 s[28:31], s[6:7], 0x24
	s_load_dwordx8 s[36:43], s[0:1], 0x0
	s_add_u32 s6, s6, 48
	s_addc_u32 s7, s7, 0
	s_add_i32 s11, s11, 4
	s_add_u32 s0, s0, 32
	s_addc_u32 s1, s1, 0
	s_cmp_lg_u32 s9, s11
	s_waitcnt lgkmcnt(0)
	v_mul_hi_u32 v5, s17, v3
	v_add_nc_u32_e32 v5, v3, v5
	v_lshrrev_b32_e32 v5, s18, v5
	v_mul_hi_u32 v7, s20, v5
	v_mul_lo_u32 v10, v5, s16
	v_add_nc_u32_e32 v7, v5, v7
	v_sub_nc_u32_e32 v3, v3, v10
	v_lshrrev_b32_e32 v7, s21, v7
	v_mul_lo_u32 v10, v3, s36
	v_mul_lo_u32 v14, v3, s37
	v_mul_hi_u32 v8, s23, v7
	v_add_nc_u32_e32 v8, v7, v8
	v_lshrrev_b32_e32 v8, s28, v8
	v_mul_hi_u32 v12, s30, v8
	v_mul_lo_u32 v16, v8, s22
	v_add_nc_u32_e32 v3, v8, v12
	v_mul_lo_u32 v12, v7, s19
	v_sub_nc_u32_e32 v7, v7, v16
	v_lshrrev_b32_e32 v3, s31, v3
	v_mul_lo_u32 v16, v7, s40
	v_mul_lo_u32 v7, v7, s41
	v_sub_nc_u32_e32 v5, v5, v12
	v_mul_lo_u32 v17, v3, s29
	v_mul_lo_u32 v12, v5, s38
	;; [unrolled: 1-line block ×3, first 2 shown]
	v_sub_nc_u32_e32 v8, v8, v17
	v_add3_u32 v2, v10, v2, v12
	v_mul_lo_u32 v17, v8, s42
	v_mul_lo_u32 v8, v8, s43
	v_add3_u32 v5, v14, v9, v5
	v_add3_u32 v2, v16, v2, v17
	;; [unrolled: 1-line block ×3, first 2 shown]
	s_cbranch_scc1 .LBB35_1135
; %bb.1136:
	s_and_b32 s10, s10, 3
	s_cmp_eq_u32 s10, 0
	s_cbranch_scc0 .LBB35_1140
	s_branch .LBB35_1142
.LBB35_1137:
	s_mov_b32 s8, -1
                                        ; implicit-def: $vgpr2
                                        ; implicit-def: $vgpr9
	s_branch .LBB35_1142
.LBB35_1138:
	v_mov_b32_e32 v2, 0
	v_mov_b32_e32 v9, 0
	s_branch .LBB35_1142
.LBB35_1139:
	v_mov_b32_e32 v2, 0
	v_mov_b32_e32 v9, 0
	s_waitcnt vmcnt(0)
	v_mov_b32_e32 v3, v1
	s_mov_b32 s9, 0
	s_and_b32 s10, s10, 3
	s_cmp_eq_u32 s10, 0
	s_cbranch_scc1 .LBB35_1142
.LBB35_1140:
	s_lshl_b32 s0, s9, 3
	s_mul_i32 s6, s9, 12
	s_add_u32 s0, s2, s0
	s_addc_u32 s1, s3, 0
	s_add_u32 s0, s0, 0xc4
	s_addc_u32 s1, s1, 0
	;; [unrolled: 2-line block ×3, first 2 shown]
	.p2align	6
.LBB35_1141:                            ; =>This Inner Loop Header: Depth=1
	s_clause 0x1
	s_load_dwordx2 s[14:15], s[6:7], 0x4
	s_load_dword s9, s[6:7], 0xc
	s_load_dwordx2 s[16:17], s[0:1], 0x0
	s_add_u32 s6, s6, 12
	s_addc_u32 s7, s7, 0
	s_add_u32 s0, s0, 8
	s_addc_u32 s1, s1, 0
	s_add_i32 s10, s10, -1
	s_cmp_lg_u32 s10, 0
	s_waitcnt lgkmcnt(0)
	v_mul_hi_u32 v5, s15, v3
	v_add_nc_u32_e32 v5, v3, v5
	v_lshrrev_b32_e32 v5, s9, v5
	v_mul_lo_u32 v7, v5, s14
	v_sub_nc_u32_e32 v7, v3, v7
	v_mad_u64_u32 v[2:3], null, v7, s16, v[2:3]
	v_mad_u64_u32 v[9:10], null, v7, s17, v[9:10]
	v_mov_b32_e32 v3, v5
	s_cbranch_scc1 .LBB35_1141
.LBB35_1142:
	s_andn2_b32 vcc_lo, exec_lo, s8
	s_cbranch_vccnz .LBB35_1145
; %bb.1143:
	s_clause 0x1
	s_load_dwordx4 s[8:11], s[2:3], 0x4
	s_load_dwordx2 s[0:1], s[2:3], 0xc4
	s_cmp_lt_u32 s24, 2
	s_waitcnt lgkmcnt(0)
	v_mul_hi_u32 v2, s9, v1
	v_add_nc_u32_e32 v2, v1, v2
	s_waitcnt vmcnt(0)
	v_lshrrev_b32_e32 v3, s10, v2
	v_mul_lo_u32 v2, v3, s8
	v_sub_nc_u32_e32 v1, v1, v2
	v_mul_lo_u32 v2, v1, s0
	v_mul_lo_u32 v9, v1, s1
	s_cbranch_scc1 .LBB35_1145
; %bb.1144:
	s_clause 0x1
	s_load_dwordx4 s[8:11], s[2:3], 0x10
	s_load_dwordx2 s[0:1], s[2:3], 0xcc
	s_waitcnt lgkmcnt(0)
	v_mul_hi_u32 v1, s9, v3
	v_add_nc_u32_e32 v1, v3, v1
	v_lshrrev_b32_e32 v1, s10, v1
	v_mul_lo_u32 v1, v1, s8
	v_sub_nc_u32_e32 v1, v3, v1
	v_mad_u64_u32 v[2:3], null, v1, s0, v[2:3]
	v_mad_u64_u32 v[9:10], null, v1, s1, v[9:10]
.LBB35_1145:
	v_cmp_ne_u32_e32 vcc_lo, 1, v0
	s_cbranch_vccnz .LBB35_1151
; %bb.1146:
	s_cmp_lg_u32 s24, 0
	s_mov_b32 s8, 0
	s_cbranch_scc0 .LBB35_1152
; %bb.1147:
	s_min_u32 s10, s25, 15
	s_add_i32 s10, s10, 1
	s_cmp_eq_u32 s25, 2
	s_cbranch_scc1 .LBB35_1153
; %bb.1148:
	v_mov_b32_e32 v7, 0
	v_mov_b32_e32 v0, 0
	v_mov_b32_e32 v1, v15
	s_and_b32 s9, s10, 28
	s_add_u32 s0, s2, 0xc4
	s_addc_u32 s1, s3, 0
	s_mov_b32 s11, 0
	s_mov_b64 s[6:7], s[2:3]
.LBB35_1149:                            ; =>This Inner Loop Header: Depth=1
	s_clause 0x1
	s_load_dwordx8 s[16:23], s[6:7], 0x4
	s_load_dwordx4 s[28:31], s[6:7], 0x24
	s_load_dwordx8 s[36:43], s[0:1], 0x0
	s_add_u32 s6, s6, 48
	s_addc_u32 s7, s7, 0
	s_add_i32 s11, s11, 4
	s_add_u32 s0, s0, 32
	s_addc_u32 s1, s1, 0
	s_cmp_lg_u32 s9, s11
	s_waitcnt vmcnt(0) lgkmcnt(0)
	v_mul_hi_u32 v3, s17, v1
	v_add_nc_u32_e32 v3, v1, v3
	v_lshrrev_b32_e32 v3, s18, v3
	v_mul_hi_u32 v5, s20, v3
	v_mul_lo_u32 v10, v3, s16
	v_add_nc_u32_e32 v5, v3, v5
	v_sub_nc_u32_e32 v1, v1, v10
	v_lshrrev_b32_e32 v5, s21, v5
	v_mul_lo_u32 v10, v1, s36
	v_mul_lo_u32 v14, v1, s37
	v_mul_hi_u32 v8, s23, v5
	v_add_nc_u32_e32 v8, v5, v8
	v_lshrrev_b32_e32 v8, s28, v8
	v_mul_hi_u32 v12, s30, v8
	v_mul_lo_u32 v16, v8, s22
	v_add_nc_u32_e32 v1, v8, v12
	v_mul_lo_u32 v12, v5, s19
	v_sub_nc_u32_e32 v5, v5, v16
	v_lshrrev_b32_e32 v1, s31, v1
	v_mul_lo_u32 v16, v5, s40
	v_mul_lo_u32 v5, v5, s41
	v_sub_nc_u32_e32 v3, v3, v12
	v_mul_lo_u32 v17, v1, s29
	v_mul_lo_u32 v12, v3, s38
	;; [unrolled: 1-line block ×3, first 2 shown]
	v_sub_nc_u32_e32 v8, v8, v17
	v_add3_u32 v0, v10, v0, v12
	v_mul_lo_u32 v17, v8, s42
	v_mul_lo_u32 v8, v8, s43
	v_add3_u32 v3, v14, v7, v3
	v_add3_u32 v0, v16, v0, v17
	;; [unrolled: 1-line block ×3, first 2 shown]
	s_cbranch_scc1 .LBB35_1149
; %bb.1150:
	s_and_b32 s10, s10, 3
	s_cmp_eq_u32 s10, 0
	s_cbranch_scc0 .LBB35_1154
	s_branch .LBB35_1156
.LBB35_1151:
	s_mov_b32 s8, -1
                                        ; implicit-def: $vgpr0
                                        ; implicit-def: $vgpr7
	s_branch .LBB35_1156
.LBB35_1152:
	v_mov_b32_e32 v0, 0
	v_mov_b32_e32 v7, 0
	s_branch .LBB35_1156
.LBB35_1153:
	v_mov_b32_e32 v0, 0
	v_mov_b32_e32 v7, 0
	;; [unrolled: 1-line block ×3, first 2 shown]
	s_mov_b32 s9, 0
	s_and_b32 s10, s10, 3
	s_cmp_eq_u32 s10, 0
	s_cbranch_scc1 .LBB35_1156
.LBB35_1154:
	s_lshl_b32 s0, s9, 3
	s_mul_i32 s6, s9, 12
	s_add_u32 s0, s2, s0
	s_addc_u32 s1, s3, 0
	s_add_u32 s0, s0, 0xc4
	s_addc_u32 s1, s1, 0
	;; [unrolled: 2-line block ×3, first 2 shown]
	.p2align	6
.LBB35_1155:                            ; =>This Inner Loop Header: Depth=1
	s_clause 0x1
	s_load_dwordx2 s[14:15], s[6:7], 0x4
	s_load_dword s9, s[6:7], 0xc
	s_load_dwordx2 s[16:17], s[0:1], 0x0
	s_add_u32 s6, s6, 12
	s_addc_u32 s7, s7, 0
	s_add_u32 s0, s0, 8
	s_addc_u32 s1, s1, 0
	s_add_i32 s10, s10, -1
	s_cmp_lg_u32 s10, 0
	s_waitcnt vmcnt(0) lgkmcnt(0)
	v_mul_hi_u32 v3, s15, v1
	v_add_nc_u32_e32 v3, v1, v3
	v_lshrrev_b32_e32 v3, s9, v3
	v_mul_lo_u32 v5, v3, s14
	v_sub_nc_u32_e32 v5, v1, v5
	v_mad_u64_u32 v[0:1], null, v5, s16, v[0:1]
	v_mad_u64_u32 v[7:8], null, v5, s17, v[7:8]
	v_mov_b32_e32 v1, v3
	s_cbranch_scc1 .LBB35_1155
.LBB35_1156:
	s_andn2_b32 vcc_lo, exec_lo, s8
	s_cbranch_vccnz .LBB35_1159
; %bb.1157:
	s_clause 0x1
	s_load_dwordx4 s[8:11], s[2:3], 0x4
	s_load_dwordx2 s[0:1], s[2:3], 0xc4
	s_cmp_lt_u32 s24, 2
	s_waitcnt lgkmcnt(0)
	v_mul_hi_u32 v0, s9, v15
	v_add_nc_u32_e32 v0, v15, v0
	v_lshrrev_b32_e32 v1, s10, v0
	v_mul_lo_u32 v0, v1, s8
	s_waitcnt vmcnt(0)
	v_sub_nc_u32_e32 v3, v15, v0
	v_mul_lo_u32 v0, v3, s0
	v_mul_lo_u32 v7, v3, s1
	s_cbranch_scc1 .LBB35_1159
; %bb.1158:
	s_clause 0x1
	s_load_dwordx4 s[8:11], s[2:3], 0x10
	s_load_dwordx2 s[0:1], s[2:3], 0xcc
	s_waitcnt lgkmcnt(0)
	v_mul_hi_u32 v3, s9, v1
	v_add_nc_u32_e32 v3, v1, v3
	v_lshrrev_b32_e32 v3, s10, v3
	v_mul_lo_u32 v3, v3, s8
	v_sub_nc_u32_e32 v3, v1, v3
	v_mad_u64_u32 v[0:1], null, v3, s0, v[0:1]
	v_mad_u64_u32 v[7:8], null, v3, s1, v[7:8]
.LBB35_1159:
	s_clause 0x1
	s_load_dwordx4 s[8:11], s[2:3], 0x148
	s_load_dword s3, s[4:5], 0x160
	s_waitcnt lgkmcnt(0)
	v_add_co_u32 v12, s0, s10, v13
	v_add_co_ci_u32_e64 v13, null, s11, 0, s0
	s_bfe_u32 s0, s3, 0x80010
	s_cmp_lt_i32 s0, 11
	s_cbranch_scc1 .LBB35_1166
; %bb.1160:
	s_and_b32 s1, 0xffff, s0
	s_mov_b32 s4, 0
	s_cmp_gt_i32 s1, 25
	s_cbranch_scc0 .LBB35_1168
; %bb.1161:
	s_cmp_gt_i32 s1, 28
	s_cbranch_scc0 .LBB35_1169
; %bb.1162:
	;; [unrolled: 3-line block ×4, first 2 shown]
	s_cmp_eq_u32 s1, 46
	s_mov_b32 s6, 0
	s_cbranch_scc0 .LBB35_1174
; %bb.1165:
	global_load_dword v1, v[12:13], off
	s_mov_b32 s2, 0
	s_mov_b32 s5, -1
	s_branch .LBB35_1176
.LBB35_1166:
	s_mov_b32 s5, 0
	s_mov_b32 s2, s12
                                        ; implicit-def: $vgpr1
	s_cbranch_execnz .LBB35_1239
.LBB35_1167:
	s_andn2_b32 vcc_lo, exec_lo, s5
	s_cbranch_vccz .LBB35_1284
	s_branch .LBB35_2121
.LBB35_1168:
	s_mov_b32 s5, 0
	s_mov_b32 s2, 0
                                        ; implicit-def: $vgpr1
	s_cbranch_execnz .LBB35_1204
	s_branch .LBB35_1235
.LBB35_1169:
	s_mov_b32 s6, -1
	s_mov_b32 s5, 0
	s_mov_b32 s2, 0
                                        ; implicit-def: $vgpr1
	s_branch .LBB35_1185
.LBB35_1170:
	s_mov_b32 s5, 0
	s_mov_b32 s2, 0
                                        ; implicit-def: $vgpr1
	s_cbranch_execnz .LBB35_1181
	s_branch .LBB35_1184
.LBB35_1171:
	s_mov_b32 s6, -1
	s_mov_b32 s5, 0
	s_mov_b32 s2, 0
	s_branch .LBB35_1175
.LBB35_1172:
	s_andn2_saveexec_b32 s11, s11
	s_cbranch_execz .LBB35_1012
.LBB35_1173:
	v_add_f32_e64 v4, 0x46000000, |v5|
	s_andn2_b32 s10, s10, exec_lo
	v_and_b32_e32 v4, 0xff, v4
	v_cmp_ne_u32_e32 vcc_lo, 0, v4
	s_and_b32 s12, vcc_lo, exec_lo
	s_or_b32 s10, s10, s12
	s_or_b32 exec_lo, exec_lo, s11
	v_mov_b32_e32 v6, 0
	s_and_saveexec_b32 s11, s10
	s_cbranch_execnz .LBB35_1013
	s_branch .LBB35_1014
.LBB35_1174:
	s_mov_b32 s2, -1
	s_mov_b32 s5, 0
.LBB35_1175:
                                        ; implicit-def: $vgpr1
.LBB35_1176:
	s_and_b32 vcc_lo, exec_lo, s6
	s_cbranch_vccz .LBB35_1179
; %bb.1177:
	s_cmp_eq_u32 s1, 44
	s_cbranch_scc0 .LBB35_1180
; %bb.1178:
	global_load_ubyte v1, v[12:13], off
	s_mov_b32 s2, 0
	s_mov_b32 s5, -1
	s_waitcnt vmcnt(0)
	v_lshlrev_b32_e32 v3, 23, v1
	v_cmp_ne_u32_e32 vcc_lo, 0xff, v1
	v_cndmask_b32_e32 v3, 0x7f800001, v3, vcc_lo
	v_cmp_ne_u32_e32 vcc_lo, 0, v1
	v_cndmask_b32_e32 v1, 0x400000, v3, vcc_lo
	v_mov_b32_e32 v3, 0x7fc0
	v_cmp_o_f32_e32 vcc_lo, v1, v1
	v_add_nc_u32_e32 v1, 0x7fff, v1
	v_cndmask_b32_sdwa v1, v3, v1, vcc_lo dst_sel:DWORD dst_unused:UNUSED_PAD src0_sel:DWORD src1_sel:WORD_1
.LBB35_1179:
	s_branch .LBB35_1184
.LBB35_1180:
	s_mov_b32 s2, -1
                                        ; implicit-def: $vgpr1
	s_branch .LBB35_1184
.LBB35_1181:
	s_cmp_eq_u32 s1, 29
	s_cbranch_scc0 .LBB35_1183
; %bb.1182:
	global_load_dwordx2 v[14:15], v[12:13], off
	s_mov_b32 s2, 0
	s_mov_b32 s5, -1
	s_mov_b32 s6, 0
	s_waitcnt vmcnt(0)
	v_ffbh_u32_e32 v1, v15
	v_min_u32_e32 v1, 32, v1
	v_lshlrev_b64 v[14:15], v1, v[14:15]
	v_sub_nc_u32_e32 v1, 32, v1
	v_min_u32_e32 v3, 1, v14
	v_or_b32_e32 v3, v15, v3
	v_cvt_f32_u32_e32 v3, v3
	v_ldexp_f32 v1, v3, v1
	v_bfe_u32 v3, v1, 16, 1
	v_add3_u32 v1, v1, v3, 0x7fff
	v_lshrrev_b32_e32 v1, 16, v1
	s_branch .LBB35_1185
.LBB35_1183:
	s_mov_b32 s2, -1
                                        ; implicit-def: $vgpr1
.LBB35_1184:
	s_mov_b32 s6, 0
.LBB35_1185:
	s_and_b32 vcc_lo, exec_lo, s6
	s_cbranch_vccz .LBB35_1203
; %bb.1186:
	s_cmp_lt_i32 s1, 27
	s_cbranch_scc1 .LBB35_1189
; %bb.1187:
	s_cmp_gt_i32 s1, 27
	s_cbranch_scc0 .LBB35_1190
; %bb.1188:
	global_load_dword v1, v[12:13], off
	s_mov_b32 s5, 0
	s_waitcnt vmcnt(0)
	v_cvt_f32_u32_e32 v1, v1
	v_bfe_u32 v3, v1, 16, 1
	v_add3_u32 v1, v1, v3, 0x7fff
	v_lshrrev_b32_e32 v1, 16, v1
	s_branch .LBB35_1191
.LBB35_1189:
	s_mov_b32 s5, -1
                                        ; implicit-def: $vgpr1
	s_branch .LBB35_1194
.LBB35_1190:
	s_mov_b32 s5, -1
                                        ; implicit-def: $vgpr1
.LBB35_1191:
	s_andn2_b32 vcc_lo, exec_lo, s5
	s_cbranch_vccnz .LBB35_1193
; %bb.1192:
	global_load_ushort v1, v[12:13], off
	s_waitcnt vmcnt(0)
	v_cvt_f32_u32_e32 v1, v1
	v_bfe_u32 v3, v1, 16, 1
	v_add3_u32 v1, v1, v3, 0x7fff
	v_lshrrev_b32_e32 v1, 16, v1
.LBB35_1193:
	s_mov_b32 s5, 0
.LBB35_1194:
	s_andn2_b32 vcc_lo, exec_lo, s5
	s_cbranch_vccnz .LBB35_1202
; %bb.1195:
	global_load_ubyte v1, v[12:13], off
	s_mov_b32 s5, 0
	s_mov_b32 s6, exec_lo
	s_waitcnt vmcnt(0)
	v_cmpx_lt_i16_e32 0x7f, v1
	s_xor_b32 s6, exec_lo, s6
	s_cbranch_execz .LBB35_1215
; %bb.1196:
	s_mov_b32 s5, -1
	s_mov_b32 s7, exec_lo
	v_cmpx_eq_u16_e32 0x80, v1
; %bb.1197:
	s_xor_b32 s5, exec_lo, -1
; %bb.1198:
	s_or_b32 exec_lo, exec_lo, s7
	s_and_b32 s5, s5, exec_lo
	s_or_saveexec_b32 s6, s6
	v_mov_b32_e32 v3, 0x7f800001
	s_xor_b32 exec_lo, exec_lo, s6
	s_cbranch_execnz .LBB35_1216
.LBB35_1199:
	s_or_b32 exec_lo, exec_lo, s6
	s_and_saveexec_b32 s6, s5
	s_cbranch_execz .LBB35_1201
.LBB35_1200:
	v_and_b32_e32 v3, 0xffff, v1
	v_lshlrev_b32_e32 v1, 24, v1
	v_and_b32_e32 v5, 7, v3
	v_bfe_u32 v14, v3, 3, 4
	v_and_b32_e32 v1, 0x80000000, v1
	v_ffbh_u32_e32 v8, v5
	v_cmp_eq_u32_e32 vcc_lo, 0, v14
	v_min_u32_e32 v8, 32, v8
	v_subrev_nc_u32_e32 v10, 28, v8
	v_sub_nc_u32_e32 v8, 29, v8
	v_lshlrev_b32_e32 v3, v10, v3
	v_cndmask_b32_e32 v8, v14, v8, vcc_lo
	v_and_b32_e32 v3, 7, v3
	v_cndmask_b32_e32 v3, v5, v3, vcc_lo
	v_lshl_add_u32 v5, v8, 23, 0x3b800000
	v_lshlrev_b32_e32 v3, 20, v3
	v_or3_b32 v3, v1, v5, v3
.LBB35_1201:
	s_or_b32 exec_lo, exec_lo, s6
	v_bfe_u32 v1, v3, 16, 1
	v_cmp_o_f32_e32 vcc_lo, v3, v3
	v_add3_u32 v1, v3, v1, 0x7fff
	v_mov_b32_e32 v3, 0x7fc0
	v_cndmask_b32_sdwa v1, v3, v1, vcc_lo dst_sel:DWORD dst_unused:UNUSED_PAD src0_sel:DWORD src1_sel:WORD_1
.LBB35_1202:
	s_mov_b32 s5, -1
.LBB35_1203:
	s_branch .LBB35_1235
.LBB35_1204:
	s_cmp_gt_i32 s1, 22
	s_cbranch_scc0 .LBB35_1214
; %bb.1205:
	s_cmp_lt_i32 s1, 24
	s_cbranch_scc1 .LBB35_1217
; %bb.1206:
	s_cmp_gt_i32 s1, 24
	s_cbranch_scc0 .LBB35_1218
; %bb.1207:
	global_load_ubyte v1, v[12:13], off
	s_mov_b32 s5, exec_lo
	s_waitcnt vmcnt(0)
	v_cmpx_lt_i16_e32 0x7f, v1
	s_xor_b32 s5, exec_lo, s5
	s_cbranch_execz .LBB35_1229
; %bb.1208:
	s_mov_b32 s4, -1
	s_mov_b32 s6, exec_lo
	v_cmpx_eq_u16_e32 0x80, v1
; %bb.1209:
	s_xor_b32 s4, exec_lo, -1
; %bb.1210:
	s_or_b32 exec_lo, exec_lo, s6
	s_and_b32 s4, s4, exec_lo
	s_or_saveexec_b32 s5, s5
	v_mov_b32_e32 v3, 0x7f800001
	s_xor_b32 exec_lo, exec_lo, s5
	s_cbranch_execnz .LBB35_1230
.LBB35_1211:
	s_or_b32 exec_lo, exec_lo, s5
	s_and_saveexec_b32 s5, s4
	s_cbranch_execz .LBB35_1213
.LBB35_1212:
	v_and_b32_e32 v3, 0xffff, v1
	v_lshlrev_b32_e32 v1, 24, v1
	v_and_b32_e32 v5, 3, v3
	v_bfe_u32 v14, v3, 2, 5
	v_and_b32_e32 v1, 0x80000000, v1
	v_ffbh_u32_e32 v8, v5
	v_cmp_eq_u32_e32 vcc_lo, 0, v14
	v_min_u32_e32 v8, 32, v8
	v_subrev_nc_u32_e32 v10, 29, v8
	v_sub_nc_u32_e32 v8, 30, v8
	v_lshlrev_b32_e32 v3, v10, v3
	v_cndmask_b32_e32 v8, v14, v8, vcc_lo
	v_and_b32_e32 v3, 3, v3
	v_cndmask_b32_e32 v3, v5, v3, vcc_lo
	v_lshl_add_u32 v5, v8, 23, 0x37800000
	v_lshlrev_b32_e32 v3, 21, v3
	v_or3_b32 v3, v1, v5, v3
.LBB35_1213:
	s_or_b32 exec_lo, exec_lo, s5
	v_bfe_u32 v1, v3, 16, 1
	v_cmp_o_f32_e32 vcc_lo, v3, v3
	s_mov_b32 s4, 0
	v_add3_u32 v1, v3, v1, 0x7fff
	v_mov_b32_e32 v3, 0x7fc0
	v_cndmask_b32_sdwa v1, v3, v1, vcc_lo dst_sel:DWORD dst_unused:UNUSED_PAD src0_sel:DWORD src1_sel:WORD_1
	s_branch .LBB35_1219
.LBB35_1214:
                                        ; implicit-def: $vgpr1
	s_mov_b32 s4, 0
	s_branch .LBB35_1225
.LBB35_1215:
	s_or_saveexec_b32 s6, s6
	v_mov_b32_e32 v3, 0x7f800001
	s_xor_b32 exec_lo, exec_lo, s6
	s_cbranch_execz .LBB35_1199
.LBB35_1216:
	v_cmp_ne_u16_e32 vcc_lo, 0, v1
	v_mov_b32_e32 v3, 0
	s_andn2_b32 s5, s5, exec_lo
	s_and_b32 s7, vcc_lo, exec_lo
	s_or_b32 s5, s5, s7
	s_or_b32 exec_lo, exec_lo, s6
	s_and_saveexec_b32 s6, s5
	s_cbranch_execnz .LBB35_1200
	s_branch .LBB35_1201
.LBB35_1217:
	s_mov_b32 s4, -1
                                        ; implicit-def: $vgpr1
	s_branch .LBB35_1222
.LBB35_1218:
	s_mov_b32 s4, -1
                                        ; implicit-def: $vgpr1
.LBB35_1219:
	s_and_b32 vcc_lo, exec_lo, s4
	s_cbranch_vccz .LBB35_1221
; %bb.1220:
	global_load_ubyte v1, v[12:13], off
	s_waitcnt vmcnt(0)
	v_lshlrev_b32_e32 v1, 24, v1
	v_and_b32_e32 v3, 0x7f000000, v1
	v_ffbh_u32_e32 v5, v3
	v_add_nc_u32_e32 v10, 0x1000000, v3
	v_cmp_ne_u32_e32 vcc_lo, 0, v3
	v_min_u32_e32 v5, 32, v5
	v_sub_nc_u32_e64 v5, v5, 4 clamp
	v_lshlrev_b32_e32 v8, v5, v3
	v_lshlrev_b32_e32 v5, 23, v5
	v_lshrrev_b32_e32 v8, 4, v8
	v_sub_nc_u32_e32 v5, v8, v5
	v_ashrrev_i32_e32 v8, 8, v10
	v_add_nc_u32_e32 v5, 0x3c000000, v5
	v_and_or_b32 v5, 0x7f800000, v8, v5
	v_cndmask_b32_e32 v3, 0, v5, vcc_lo
	v_and_or_b32 v1, 0x80000000, v1, v3
	v_bfe_u32 v3, v3, 16, 1
	v_cmp_o_f32_e32 vcc_lo, v1, v1
	v_add3_u32 v1, v1, v3, 0x7fff
	v_mov_b32_e32 v3, 0x7fc0
	v_cndmask_b32_sdwa v1, v3, v1, vcc_lo dst_sel:DWORD dst_unused:UNUSED_PAD src0_sel:DWORD src1_sel:WORD_1
.LBB35_1221:
	s_mov_b32 s4, 0
.LBB35_1222:
	s_andn2_b32 vcc_lo, exec_lo, s4
	s_cbranch_vccnz .LBB35_1224
; %bb.1223:
	global_load_ubyte v1, v[12:13], off
	s_waitcnt vmcnt(0)
	v_lshlrev_b32_e32 v3, 25, v1
	v_lshlrev_b16 v1, 8, v1
	v_lshrrev_b32_e32 v5, 4, v3
	v_and_or_b32 v8, 0x7f00, v1, 0.5
	v_cmp_gt_u32_e32 vcc_lo, 0x8000000, v3
	v_bfe_i32 v1, v1, 0, 16
	v_or_b32_e32 v5, 0x70000000, v5
	v_add_f32_e32 v8, -0.5, v8
	v_mul_f32_e32 v5, 0x7800000, v5
	v_cndmask_b32_e32 v3, v5, v8, vcc_lo
	v_and_or_b32 v1, 0x80000000, v1, v3
	v_bfe_u32 v3, v3, 16, 1
	v_cmp_o_f32_e32 vcc_lo, v1, v1
	v_add3_u32 v1, v1, v3, 0x7fff
	v_mov_b32_e32 v3, 0x7fc0
	v_cndmask_b32_sdwa v1, v3, v1, vcc_lo dst_sel:DWORD dst_unused:UNUSED_PAD src0_sel:DWORD src1_sel:WORD_1
.LBB35_1224:
	s_mov_b32 s5, -1
	s_mov_b32 s4, 0
	s_cbranch_execnz .LBB35_1235
.LBB35_1225:
	s_cmp_gt_i32 s1, 14
	s_cbranch_scc0 .LBB35_1228
; %bb.1226:
	s_cmp_eq_u32 s1, 15
	s_cbranch_scc0 .LBB35_1231
; %bb.1227:
	global_load_ushort v1, v[12:13], off
	s_mov_b32 s2, 0
	s_mov_b32 s5, -1
	s_branch .LBB35_1233
.LBB35_1228:
	s_mov_b32 s4, -1
	s_branch .LBB35_1232
.LBB35_1229:
	s_or_saveexec_b32 s5, s5
	v_mov_b32_e32 v3, 0x7f800001
	s_xor_b32 exec_lo, exec_lo, s5
	s_cbranch_execz .LBB35_1211
.LBB35_1230:
	v_cmp_ne_u16_e32 vcc_lo, 0, v1
	v_mov_b32_e32 v3, 0
	s_andn2_b32 s4, s4, exec_lo
	s_and_b32 s6, vcc_lo, exec_lo
	s_or_b32 s4, s4, s6
	s_or_b32 exec_lo, exec_lo, s5
	s_and_saveexec_b32 s5, s4
	s_cbranch_execnz .LBB35_1212
	s_branch .LBB35_1213
.LBB35_1231:
	s_mov_b32 s2, -1
.LBB35_1232:
                                        ; implicit-def: $vgpr1
.LBB35_1233:
	s_and_b32 vcc_lo, exec_lo, s4
	s_mov_b32 s4, 0
	s_cbranch_vccz .LBB35_1235
; %bb.1234:
	s_cmp_lg_u32 s1, 11
	s_mov_b32 s4, -1
	s_cselect_b32 s2, -1, 0
.LBB35_1235:
	s_and_b32 vcc_lo, exec_lo, s2
	s_mov_b32 s2, s12
	s_cbranch_vccnz .LBB35_1300
; %bb.1236:
	s_andn2_b32 vcc_lo, exec_lo, s4
	s_cbranch_vccnz .LBB35_1238
.LBB35_1237:
	global_load_ubyte v1, v[12:13], off
	s_mov_b32 s5, -1
	s_waitcnt vmcnt(0)
	v_cmp_ne_u16_e32 vcc_lo, 0, v1
	v_cndmask_b32_e64 v1, 0, 1.0, vcc_lo
	v_lshrrev_b32_e32 v1, 16, v1
.LBB35_1238:
	s_branch .LBB35_1167
.LBB35_1239:
	s_and_b32 s0, 0xffff, s0
	s_cmp_lt_i32 s0, 5
	s_cbranch_scc1 .LBB35_1244
; %bb.1240:
	s_cmp_lt_i32 s0, 8
	s_cbranch_scc1 .LBB35_1245
; %bb.1241:
	;; [unrolled: 3-line block ×3, first 2 shown]
	s_cmp_gt_i32 s0, 9
	s_cbranch_scc0 .LBB35_1247
; %bb.1243:
	global_load_dwordx2 v[14:15], v[12:13], off
	s_mov_b32 s1, 0
	s_waitcnt vmcnt(0)
	v_cvt_f32_f64_e32 v1, v[14:15]
	v_bfe_u32 v3, v1, 16, 1
	v_cmp_o_f32_e32 vcc_lo, v1, v1
	v_add3_u32 v1, v1, v3, 0x7fff
	v_mov_b32_e32 v3, 0x7fc0
	v_cndmask_b32_sdwa v1, v3, v1, vcc_lo dst_sel:DWORD dst_unused:UNUSED_PAD src0_sel:DWORD src1_sel:WORD_1
	s_branch .LBB35_1248
.LBB35_1244:
                                        ; implicit-def: $vgpr1
	s_branch .LBB35_1265
.LBB35_1245:
                                        ; implicit-def: $vgpr1
	s_branch .LBB35_1254
.LBB35_1246:
	s_mov_b32 s1, -1
                                        ; implicit-def: $vgpr1
	s_branch .LBB35_1251
.LBB35_1247:
	s_mov_b32 s1, -1
                                        ; implicit-def: $vgpr1
.LBB35_1248:
	s_andn2_b32 vcc_lo, exec_lo, s1
	s_cbranch_vccnz .LBB35_1250
; %bb.1249:
	global_load_dword v1, v[12:13], off
	s_waitcnt vmcnt(0)
	v_bfe_u32 v3, v1, 16, 1
	v_cmp_o_f32_e32 vcc_lo, v1, v1
	v_add3_u32 v1, v1, v3, 0x7fff
	v_mov_b32_e32 v3, 0x7fc0
	v_cndmask_b32_sdwa v1, v3, v1, vcc_lo dst_sel:DWORD dst_unused:UNUSED_PAD src0_sel:DWORD src1_sel:WORD_1
.LBB35_1250:
	s_mov_b32 s1, 0
.LBB35_1251:
	s_andn2_b32 vcc_lo, exec_lo, s1
	s_cbranch_vccnz .LBB35_1253
; %bb.1252:
	global_load_dword v1, v[12:13], off
	s_waitcnt vmcnt(0)
	v_cvt_f32_f16_e32 v3, v1
	v_cmp_o_f16_e32 vcc_lo, v1, v1
	v_bfe_u32 v5, v3, 16, 1
	v_add3_u32 v1, v3, v5, 0x7fff
	v_mov_b32_e32 v3, 0x7fc0
	v_cndmask_b32_sdwa v1, v3, v1, vcc_lo dst_sel:DWORD dst_unused:UNUSED_PAD src0_sel:DWORD src1_sel:WORD_1
.LBB35_1253:
	s_cbranch_execnz .LBB35_1264
.LBB35_1254:
	s_cmp_lt_i32 s0, 6
	s_cbranch_scc1 .LBB35_1257
; %bb.1255:
	s_cmp_gt_i32 s0, 6
	s_cbranch_scc0 .LBB35_1258
; %bb.1256:
	global_load_dwordx2 v[14:15], v[12:13], off
	s_mov_b32 s1, 0
	s_waitcnt vmcnt(0)
	v_cvt_f32_f64_e32 v1, v[14:15]
	v_bfe_u32 v3, v1, 16, 1
	v_cmp_o_f32_e32 vcc_lo, v1, v1
	v_add3_u32 v1, v1, v3, 0x7fff
	v_mov_b32_e32 v3, 0x7fc0
	v_cndmask_b32_sdwa v1, v3, v1, vcc_lo dst_sel:DWORD dst_unused:UNUSED_PAD src0_sel:DWORD src1_sel:WORD_1
	s_branch .LBB35_1259
.LBB35_1257:
	s_mov_b32 s1, -1
                                        ; implicit-def: $vgpr1
	s_branch .LBB35_1262
.LBB35_1258:
	s_mov_b32 s1, -1
                                        ; implicit-def: $vgpr1
.LBB35_1259:
	s_andn2_b32 vcc_lo, exec_lo, s1
	s_cbranch_vccnz .LBB35_1261
; %bb.1260:
	global_load_dword v1, v[12:13], off
	s_waitcnt vmcnt(0)
	v_bfe_u32 v3, v1, 16, 1
	v_cmp_o_f32_e32 vcc_lo, v1, v1
	v_add3_u32 v1, v1, v3, 0x7fff
	v_mov_b32_e32 v3, 0x7fc0
	v_cndmask_b32_sdwa v1, v3, v1, vcc_lo dst_sel:DWORD dst_unused:UNUSED_PAD src0_sel:DWORD src1_sel:WORD_1
.LBB35_1261:
	s_mov_b32 s1, 0
.LBB35_1262:
	s_andn2_b32 vcc_lo, exec_lo, s1
	s_cbranch_vccnz .LBB35_1264
; %bb.1263:
	global_load_ushort v1, v[12:13], off
	s_waitcnt vmcnt(0)
	v_cvt_f32_f16_e32 v3, v1
	v_cmp_o_f16_e32 vcc_lo, v1, v1
	v_bfe_u32 v5, v3, 16, 1
	v_add3_u32 v1, v3, v5, 0x7fff
	v_mov_b32_e32 v3, 0x7fc0
	v_cndmask_b32_sdwa v1, v3, v1, vcc_lo dst_sel:DWORD dst_unused:UNUSED_PAD src0_sel:DWORD src1_sel:WORD_1
.LBB35_1264:
	s_cbranch_execnz .LBB35_1283
.LBB35_1265:
	s_cmp_lt_i32 s0, 2
	s_cbranch_scc1 .LBB35_1269
; %bb.1266:
	s_cmp_lt_i32 s0, 3
	s_cbranch_scc1 .LBB35_1270
; %bb.1267:
	s_cmp_gt_i32 s0, 3
	s_cbranch_scc0 .LBB35_1271
; %bb.1268:
	global_load_dwordx2 v[14:15], v[12:13], off
	s_mov_b32 s1, 0
	s_waitcnt vmcnt(0)
	v_xor_b32_e32 v1, v14, v15
	v_ffbh_i32_e32 v3, v15
	v_ashrrev_i32_e32 v1, 31, v1
	v_add_nc_u32_e32 v3, -1, v3
	v_add_nc_u32_e32 v1, 32, v1
	v_min_u32_e32 v1, v3, v1
	v_lshlrev_b64 v[14:15], v1, v[14:15]
	v_sub_nc_u32_e32 v1, 32, v1
	v_min_u32_e32 v3, 1, v14
	v_or_b32_e32 v3, v15, v3
	v_cvt_f32_i32_e32 v3, v3
	v_ldexp_f32 v1, v3, v1
	v_bfe_u32 v3, v1, 16, 1
	v_add3_u32 v1, v1, v3, 0x7fff
	v_lshrrev_b32_e32 v1, 16, v1
	s_branch .LBB35_1272
.LBB35_1269:
                                        ; implicit-def: $vgpr1
	s_branch .LBB35_1278
.LBB35_1270:
	s_mov_b32 s1, -1
                                        ; implicit-def: $vgpr1
	s_branch .LBB35_1275
.LBB35_1271:
	s_mov_b32 s1, -1
                                        ; implicit-def: $vgpr1
.LBB35_1272:
	s_andn2_b32 vcc_lo, exec_lo, s1
	s_cbranch_vccnz .LBB35_1274
; %bb.1273:
	global_load_dword v1, v[12:13], off
	s_waitcnt vmcnt(0)
	v_cvt_f32_i32_e32 v1, v1
	v_bfe_u32 v3, v1, 16, 1
	v_add3_u32 v1, v1, v3, 0x7fff
	v_lshrrev_b32_e32 v1, 16, v1
.LBB35_1274:
	s_mov_b32 s1, 0
.LBB35_1275:
	s_andn2_b32 vcc_lo, exec_lo, s1
	s_cbranch_vccnz .LBB35_1277
; %bb.1276:
	global_load_sshort v1, v[12:13], off
	s_waitcnt vmcnt(0)
	v_cvt_f32_i32_e32 v1, v1
	v_bfe_u32 v3, v1, 16, 1
	v_add3_u32 v1, v1, v3, 0x7fff
	v_lshrrev_b32_e32 v1, 16, v1
.LBB35_1277:
	s_cbranch_execnz .LBB35_1283
.LBB35_1278:
	s_cmp_gt_i32 s0, 0
	s_mov_b32 s0, 0
	s_cbranch_scc0 .LBB35_1280
; %bb.1279:
	global_load_sbyte v1, v[12:13], off
	s_waitcnt vmcnt(0)
	v_cvt_f32_i32_e32 v1, v1
	v_bfe_u32 v3, v1, 16, 1
	v_add3_u32 v1, v1, v3, 0x7fff
	v_lshrrev_b32_e32 v1, 16, v1
	s_branch .LBB35_1281
.LBB35_1280:
	s_mov_b32 s0, -1
                                        ; implicit-def: $vgpr1
.LBB35_1281:
	s_andn2_b32 vcc_lo, exec_lo, s0
	s_cbranch_vccnz .LBB35_1283
; %bb.1282:
	global_load_ubyte v1, v[12:13], off
	s_waitcnt vmcnt(0)
	v_cvt_f32_ubyte0_e32 v1, v1
	v_bfe_u32 v3, v1, 16, 1
	v_add3_u32 v1, v1, v3, 0x7fff
	v_lshrrev_b32_e32 v1, 16, v1
.LBB35_1283:
.LBB35_1284:
	s_waitcnt vmcnt(0)
	v_lshlrev_b32_e32 v1, 16, v1
                                        ; implicit-def: $vgpr12
                                        ; implicit-def: $vgpr5
	s_mov_b32 s1, exec_lo
	v_and_b32_e32 v3, 0x7fffffff, v1
	v_cmpx_ngt_f32_e64 0x48000000, |v1|
	s_xor_b32 s4, exec_lo, s1
	s_cbranch_execz .LBB35_1286
; %bb.1285:
	s_mov_b32 s0, 0x7fffff
	v_mov_b32_e32 v14, 0
	v_and_or_b32 v5, v3, s0, 0x800000
	v_lshrrev_b32_e32 v8, 23, v3
	v_mad_u64_u32 v[12:13], null, 0xfe5163ab, v5, 0
	v_add_nc_u32_e32 v8, 0xffffff88, v8
	v_cmp_lt_u32_e32 vcc_lo, 63, v8
	v_mad_u64_u32 v[15:16], null, 0x3c439041, v5, v[13:14]
	v_cndmask_b32_e64 v10, 0, 0xffffffc0, vcc_lo
	v_mov_b32_e32 v13, v16
	v_add_nc_u32_e32 v8, v10, v8
	v_mad_u64_u32 v[16:17], null, 0xdb629599, v5, v[13:14]
	v_cmp_lt_u32_e64 s0, 31, v8
	v_cndmask_b32_e64 v10, 0, 0xffffffe0, s0
	v_mov_b32_e32 v13, v17
	v_cndmask_b32_e32 v12, v16, v12, vcc_lo
	v_add_nc_u32_e32 v8, v10, v8
	v_mad_u64_u32 v[17:18], null, 0xf534ddc0, v5, v[13:14]
	v_cmp_lt_u32_e64 s1, 31, v8
	v_mov_b32_e32 v13, v18
	v_mad_u64_u32 v[18:19], null, 0xfc2757d1, v5, v[13:14]
	v_mov_b32_e32 v13, v19
	v_mad_u64_u32 v[19:20], null, 0x4e441529, v5, v[13:14]
	v_mov_b32_e32 v13, v20
	v_cndmask_b32_e32 v10, v19, v17, vcc_lo
	v_mad_u64_u32 v[13:14], null, 0xa2f9836e, v5, v[13:14]
	v_cndmask_b32_e64 v5, 0, 0xffffffe0, s1
	v_add_nc_u32_e32 v5, v5, v8
	v_cndmask_b32_e32 v13, v13, v18, vcc_lo
	v_cndmask_b32_e32 v14, v14, v19, vcc_lo
	;; [unrolled: 1-line block ×4, first 2 shown]
	v_cmp_eq_u32_e32 vcc_lo, 0, v5
	v_cndmask_b32_e64 v15, v13, v10, s0
	v_cndmask_b32_e64 v13, v14, v13, s0
	;; [unrolled: 1-line block ×3, first 2 shown]
	v_sub_nc_u32_e32 v14, 32, v5
	v_cndmask_b32_e64 v17, v18, v8, s0
	v_cndmask_b32_e64 v8, v8, v12, s0
	;; [unrolled: 1-line block ×6, first 2 shown]
	v_alignbit_b32 v18, v13, v15, v14
	v_alignbit_b32 v16, v15, v10, v14
	;; [unrolled: 1-line block ×3, first 2 shown]
	v_cndmask_b32_e32 v5, v18, v13, vcc_lo
	v_cndmask_b32_e32 v12, v16, v15, vcc_lo
	;; [unrolled: 1-line block ×3, first 2 shown]
	v_bfe_u32 v13, v5, 29, 1
	v_alignbit_b32 v15, v5, v12, 30
	v_alignbit_b32 v12, v12, v10, 30
	;; [unrolled: 1-line block ×3, first 2 shown]
	v_sub_nc_u32_e32 v16, 0, v13
	v_xor_b32_e32 v15, v15, v16
	v_xor_b32_e32 v10, v12, v16
	v_xor_b32_e32 v8, v8, v16
	v_lshrrev_b32_e32 v16, 29, v5
	v_ffbh_u32_e32 v14, v15
	v_min_u32_e32 v14, 32, v14
	v_sub_nc_u32_e32 v12, 31, v14
	v_lshlrev_b32_e32 v17, 23, v14
	v_alignbit_b32 v15, v15, v10, v12
	v_alignbit_b32 v8, v10, v8, v12
	v_lshlrev_b32_e32 v10, 31, v16
	v_alignbit_b32 v12, v15, v8, 9
	v_or_b32_e32 v16, 0.5, v10
	v_lshrrev_b32_e32 v15, 9, v15
	v_or_b32_e32 v10, 0x33000000, v10
	v_ffbh_u32_e32 v18, v12
	v_sub_nc_u32_e32 v16, v16, v17
	v_min_u32_e32 v17, 32, v18
	v_or_b32_e32 v15, v15, v16
	v_not_b32_e32 v16, v17
	v_mul_f32_e32 v18, 0x3fc90fda, v15
	v_add_lshl_u32 v14, v17, v14, 23
	v_alignbit_b32 v8, v12, v8, v16
	v_fma_f32 v12, 0x3fc90fda, v15, -v18
	v_sub_nc_u32_e32 v10, v10, v14
	v_lshrrev_b32_e32 v8, 9, v8
	v_fmamk_f32 v12, v15, 0x33a22168, v12
	v_or_b32_e32 v8, v10, v8
	v_fmac_f32_e32 v12, 0x3fc90fda, v8
	v_lshrrev_b32_e32 v8, 30, v5
	v_add_f32_e32 v5, v18, v12
	v_add_nc_u32_e32 v12, v13, v8
.LBB35_1286:
	s_andn2_saveexec_b32 s0, s4
; %bb.1287:
	v_mul_f32_e64 v5, 0x3f22f983, |v1|
	v_rndne_f32_e32 v8, v5
	v_fma_f32 v5, 0xbfc90fda, v8, |v1|
	v_cvt_i32_f32_e32 v12, v8
	v_fmamk_f32 v5, v8, 0xb3a22168, v5
	v_fmamk_f32 v5, v8, 0xa7c234c4, v5
; %bb.1288:
	s_or_b32 exec_lo, exec_lo, s0
	v_add_co_u32 v10, s1, s10, v11
	s_lshr_b32 s0, s3, 16
	v_add_co_ci_u32_e64 v11, null, s11, 0, s1
	s_and_b32 s4, s0, 0xff
	s_cmp_lt_i32 s4, 11
	s_cbranch_scc1 .LBB35_1295
; %bb.1289:
	s_and_b32 s0, 0xffff, s4
	s_mov_b32 s5, 0
	s_cmp_gt_i32 s0, 25
	s_cbranch_scc0 .LBB35_1297
; %bb.1290:
	s_cmp_gt_i32 s0, 28
	s_cbranch_scc0 .LBB35_1298
; %bb.1291:
	;; [unrolled: 3-line block ×4, first 2 shown]
	s_cmp_eq_u32 s0, 46
	s_mov_b32 s7, 0
	s_cbranch_scc0 .LBB35_1304
; %bb.1294:
	global_load_dword v8, v[10:11], off
	s_mov_b32 s1, 0
	s_mov_b32 s6, -1
	s_branch .LBB35_1306
.LBB35_1295:
	s_mov_b32 s6, 0
                                        ; implicit-def: $vgpr8
	s_cbranch_execnz .LBB35_1371
.LBB35_1296:
	s_andn2_b32 vcc_lo, exec_lo, s6
	s_cbranch_vccz .LBB35_1418
	s_branch .LBB35_2121
.LBB35_1297:
	s_mov_b32 s6, 0
	s_mov_b32 s1, 0
                                        ; implicit-def: $vgpr8
	s_cbranch_execnz .LBB35_1335
	s_branch .LBB35_1367
.LBB35_1298:
	s_mov_b32 s7, -1
	s_mov_b32 s6, 0
	s_mov_b32 s1, 0
                                        ; implicit-def: $vgpr8
	s_branch .LBB35_1316
.LBB35_1299:
	s_mov_b32 s7, -1
	s_mov_b32 s6, 0
	s_mov_b32 s1, 0
                                        ; implicit-def: $vgpr8
	s_branch .LBB35_1311
.LBB35_1300:
	s_or_b32 s2, s12, exec_lo
	s_trap 2
	s_cbranch_execz .LBB35_1237
	s_branch .LBB35_1238
.LBB35_1301:
	s_mov_b32 s7, -1
	s_mov_b32 s6, 0
	s_mov_b32 s1, 0
	s_branch .LBB35_1305
.LBB35_1302:
	s_andn2_saveexec_b32 s12, s12
	s_cbranch_execz .LBB35_1024
.LBB35_1303:
	v_add_f32_e64 v4, 0x42800000, |v5|
	s_andn2_b32 s11, s11, exec_lo
	v_and_b32_e32 v4, 0xff, v4
	v_cmp_ne_u32_e32 vcc_lo, 0, v4
	s_and_b32 s13, vcc_lo, exec_lo
	s_or_b32 s11, s11, s13
	s_or_b32 exec_lo, exec_lo, s12
	v_mov_b32_e32 v6, 0
	s_and_saveexec_b32 s12, s11
	s_cbranch_execnz .LBB35_1025
	s_branch .LBB35_1026
.LBB35_1304:
	s_mov_b32 s1, -1
	s_mov_b32 s6, 0
.LBB35_1305:
                                        ; implicit-def: $vgpr8
.LBB35_1306:
	s_and_b32 vcc_lo, exec_lo, s7
	s_cbranch_vccz .LBB35_1310
; %bb.1307:
	s_cmp_eq_u32 s0, 44
	s_cbranch_scc0 .LBB35_1309
; %bb.1308:
	global_load_ubyte v8, v[10:11], off
	s_mov_b32 s1, 0
	s_mov_b32 s6, -1
	s_waitcnt vmcnt(0)
	v_lshlrev_b32_e32 v13, 23, v8
	v_cmp_ne_u32_e32 vcc_lo, 0xff, v8
	v_cndmask_b32_e32 v13, 0x7f800001, v13, vcc_lo
	v_cmp_ne_u32_e32 vcc_lo, 0, v8
	v_cndmask_b32_e32 v8, 0x400000, v13, vcc_lo
	v_mov_b32_e32 v13, 0x7fc0
	v_cmp_o_f32_e32 vcc_lo, v8, v8
	v_add_nc_u32_e32 v8, 0x7fff, v8
	v_cndmask_b32_sdwa v8, v13, v8, vcc_lo dst_sel:DWORD dst_unused:UNUSED_PAD src0_sel:DWORD src1_sel:WORD_1
	s_branch .LBB35_1310
.LBB35_1309:
	s_mov_b32 s1, -1
                                        ; implicit-def: $vgpr8
.LBB35_1310:
	s_mov_b32 s7, 0
.LBB35_1311:
	s_and_b32 vcc_lo, exec_lo, s7
	s_cbranch_vccz .LBB35_1315
; %bb.1312:
	s_cmp_eq_u32 s0, 29
	s_cbranch_scc0 .LBB35_1314
; %bb.1313:
	global_load_dwordx2 v[13:14], v[10:11], off
	s_mov_b32 s1, 0
	s_mov_b32 s6, -1
	s_mov_b32 s7, 0
	s_waitcnt vmcnt(0)
	v_ffbh_u32_e32 v8, v14
	v_min_u32_e32 v8, 32, v8
	v_lshlrev_b64 v[13:14], v8, v[13:14]
	v_sub_nc_u32_e32 v8, 32, v8
	v_min_u32_e32 v13, 1, v13
	v_or_b32_e32 v13, v14, v13
	v_cvt_f32_u32_e32 v13, v13
	v_ldexp_f32 v8, v13, v8
	v_bfe_u32 v13, v8, 16, 1
	v_add3_u32 v8, v8, v13, 0x7fff
	v_lshrrev_b32_e32 v8, 16, v8
	s_branch .LBB35_1316
.LBB35_1314:
	s_mov_b32 s1, -1
                                        ; implicit-def: $vgpr8
.LBB35_1315:
	s_mov_b32 s7, 0
.LBB35_1316:
	s_and_b32 vcc_lo, exec_lo, s7
	s_cbranch_vccz .LBB35_1334
; %bb.1317:
	s_cmp_lt_i32 s0, 27
	s_cbranch_scc1 .LBB35_1320
; %bb.1318:
	s_cmp_gt_i32 s0, 27
	s_cbranch_scc0 .LBB35_1321
; %bb.1319:
	global_load_dword v8, v[10:11], off
	s_mov_b32 s6, 0
	s_waitcnt vmcnt(0)
	v_cvt_f32_u32_e32 v8, v8
	v_bfe_u32 v13, v8, 16, 1
	v_add3_u32 v8, v8, v13, 0x7fff
	v_lshrrev_b32_e32 v8, 16, v8
	s_branch .LBB35_1322
.LBB35_1320:
	s_mov_b32 s6, -1
                                        ; implicit-def: $vgpr8
	s_branch .LBB35_1325
.LBB35_1321:
	s_mov_b32 s6, -1
                                        ; implicit-def: $vgpr8
.LBB35_1322:
	s_andn2_b32 vcc_lo, exec_lo, s6
	s_cbranch_vccnz .LBB35_1324
; %bb.1323:
	global_load_ushort v8, v[10:11], off
	s_waitcnt vmcnt(0)
	v_cvt_f32_u32_e32 v8, v8
	v_bfe_u32 v13, v8, 16, 1
	v_add3_u32 v8, v8, v13, 0x7fff
	v_lshrrev_b32_e32 v8, 16, v8
.LBB35_1324:
	s_mov_b32 s6, 0
.LBB35_1325:
	s_andn2_b32 vcc_lo, exec_lo, s6
	s_cbranch_vccnz .LBB35_1333
; %bb.1326:
	global_load_ubyte v8, v[10:11], off
	s_mov_b32 s6, 0
	s_mov_b32 s7, exec_lo
	s_waitcnt vmcnt(0)
	v_cmpx_lt_i16_e32 0x7f, v8
	s_xor_b32 s7, exec_lo, s7
	s_cbranch_execz .LBB35_1346
; %bb.1327:
	s_mov_b32 s6, -1
	s_mov_b32 s14, exec_lo
	v_cmpx_eq_u16_e32 0x80, v8
; %bb.1328:
	s_xor_b32 s6, exec_lo, -1
; %bb.1329:
	s_or_b32 exec_lo, exec_lo, s14
	s_and_b32 s6, s6, exec_lo
	s_or_saveexec_b32 s7, s7
	v_mov_b32_e32 v13, 0x7f800001
	s_xor_b32 exec_lo, exec_lo, s7
	s_cbranch_execnz .LBB35_1347
.LBB35_1330:
	s_or_b32 exec_lo, exec_lo, s7
	s_and_saveexec_b32 s7, s6
	s_cbranch_execz .LBB35_1332
.LBB35_1331:
	v_and_b32_e32 v13, 0xffff, v8
	v_lshlrev_b32_e32 v8, 24, v8
	v_and_b32_e32 v14, 7, v13
	v_bfe_u32 v17, v13, 3, 4
	v_and_b32_e32 v8, 0x80000000, v8
	v_ffbh_u32_e32 v15, v14
	v_cmp_eq_u32_e32 vcc_lo, 0, v17
	v_min_u32_e32 v15, 32, v15
	v_subrev_nc_u32_e32 v16, 28, v15
	v_sub_nc_u32_e32 v15, 29, v15
	v_lshlrev_b32_e32 v13, v16, v13
	v_cndmask_b32_e32 v15, v17, v15, vcc_lo
	v_and_b32_e32 v13, 7, v13
	v_cndmask_b32_e32 v13, v14, v13, vcc_lo
	v_lshl_add_u32 v14, v15, 23, 0x3b800000
	v_lshlrev_b32_e32 v13, 20, v13
	v_or3_b32 v13, v8, v14, v13
.LBB35_1332:
	s_or_b32 exec_lo, exec_lo, s7
	v_bfe_u32 v8, v13, 16, 1
	v_cmp_o_f32_e32 vcc_lo, v13, v13
	v_add3_u32 v8, v13, v8, 0x7fff
	v_mov_b32_e32 v13, 0x7fc0
	v_cndmask_b32_sdwa v8, v13, v8, vcc_lo dst_sel:DWORD dst_unused:UNUSED_PAD src0_sel:DWORD src1_sel:WORD_1
.LBB35_1333:
	s_mov_b32 s6, -1
.LBB35_1334:
	s_branch .LBB35_1367
.LBB35_1335:
	s_cmp_gt_i32 s0, 22
	s_cbranch_scc0 .LBB35_1345
; %bb.1336:
	s_cmp_lt_i32 s0, 24
	s_cbranch_scc1 .LBB35_1348
; %bb.1337:
	s_cmp_gt_i32 s0, 24
	s_cbranch_scc0 .LBB35_1349
; %bb.1338:
	global_load_ubyte v8, v[10:11], off
	s_mov_b32 s6, exec_lo
	s_waitcnt vmcnt(0)
	v_cmpx_lt_i16_e32 0x7f, v8
	s_xor_b32 s6, exec_lo, s6
	s_cbranch_execz .LBB35_1361
; %bb.1339:
	s_mov_b32 s5, -1
	s_mov_b32 s7, exec_lo
	v_cmpx_eq_u16_e32 0x80, v8
; %bb.1340:
	s_xor_b32 s5, exec_lo, -1
; %bb.1341:
	s_or_b32 exec_lo, exec_lo, s7
	s_and_b32 s5, s5, exec_lo
	s_or_saveexec_b32 s6, s6
	v_mov_b32_e32 v13, 0x7f800001
	s_xor_b32 exec_lo, exec_lo, s6
	s_cbranch_execnz .LBB35_1362
.LBB35_1342:
	s_or_b32 exec_lo, exec_lo, s6
	s_and_saveexec_b32 s6, s5
	s_cbranch_execz .LBB35_1344
.LBB35_1343:
	v_and_b32_e32 v13, 0xffff, v8
	v_lshlrev_b32_e32 v8, 24, v8
	v_and_b32_e32 v14, 3, v13
	v_bfe_u32 v17, v13, 2, 5
	v_and_b32_e32 v8, 0x80000000, v8
	v_ffbh_u32_e32 v15, v14
	v_cmp_eq_u32_e32 vcc_lo, 0, v17
	v_min_u32_e32 v15, 32, v15
	v_subrev_nc_u32_e32 v16, 29, v15
	v_sub_nc_u32_e32 v15, 30, v15
	v_lshlrev_b32_e32 v13, v16, v13
	v_cndmask_b32_e32 v15, v17, v15, vcc_lo
	v_and_b32_e32 v13, 3, v13
	v_cndmask_b32_e32 v13, v14, v13, vcc_lo
	v_lshl_add_u32 v14, v15, 23, 0x37800000
	v_lshlrev_b32_e32 v13, 21, v13
	v_or3_b32 v13, v8, v14, v13
.LBB35_1344:
	s_or_b32 exec_lo, exec_lo, s6
	v_bfe_u32 v8, v13, 16, 1
	v_cmp_o_f32_e32 vcc_lo, v13, v13
	s_mov_b32 s5, 0
	v_add3_u32 v8, v13, v8, 0x7fff
	v_mov_b32_e32 v13, 0x7fc0
	v_cndmask_b32_sdwa v8, v13, v8, vcc_lo dst_sel:DWORD dst_unused:UNUSED_PAD src0_sel:DWORD src1_sel:WORD_1
	s_branch .LBB35_1350
.LBB35_1345:
	s_mov_b32 s5, -1
                                        ; implicit-def: $vgpr8
	s_branch .LBB35_1356
.LBB35_1346:
	s_or_saveexec_b32 s7, s7
	v_mov_b32_e32 v13, 0x7f800001
	s_xor_b32 exec_lo, exec_lo, s7
	s_cbranch_execz .LBB35_1330
.LBB35_1347:
	v_cmp_ne_u16_e32 vcc_lo, 0, v8
	v_mov_b32_e32 v13, 0
	s_andn2_b32 s6, s6, exec_lo
	s_and_b32 s14, vcc_lo, exec_lo
	s_or_b32 s6, s6, s14
	s_or_b32 exec_lo, exec_lo, s7
	s_and_saveexec_b32 s7, s6
	s_cbranch_execnz .LBB35_1331
	s_branch .LBB35_1332
.LBB35_1348:
	s_mov_b32 s5, -1
                                        ; implicit-def: $vgpr8
	s_branch .LBB35_1353
.LBB35_1349:
	s_mov_b32 s5, -1
                                        ; implicit-def: $vgpr8
.LBB35_1350:
	s_and_b32 vcc_lo, exec_lo, s5
	s_cbranch_vccz .LBB35_1352
; %bb.1351:
	global_load_ubyte v8, v[10:11], off
	s_waitcnt vmcnt(0)
	v_lshlrev_b32_e32 v8, 24, v8
	v_and_b32_e32 v13, 0x7f000000, v8
	v_ffbh_u32_e32 v14, v13
	v_add_nc_u32_e32 v16, 0x1000000, v13
	v_cmp_ne_u32_e32 vcc_lo, 0, v13
	v_min_u32_e32 v14, 32, v14
	v_sub_nc_u32_e64 v14, v14, 4 clamp
	v_lshlrev_b32_e32 v15, v14, v13
	v_lshlrev_b32_e32 v14, 23, v14
	v_lshrrev_b32_e32 v15, 4, v15
	v_sub_nc_u32_e32 v14, v15, v14
	v_ashrrev_i32_e32 v15, 8, v16
	v_add_nc_u32_e32 v14, 0x3c000000, v14
	v_and_or_b32 v14, 0x7f800000, v15, v14
	v_cndmask_b32_e32 v13, 0, v14, vcc_lo
	v_and_or_b32 v8, 0x80000000, v8, v13
	v_bfe_u32 v13, v13, 16, 1
	v_cmp_o_f32_e32 vcc_lo, v8, v8
	v_add3_u32 v8, v8, v13, 0x7fff
	v_mov_b32_e32 v13, 0x7fc0
	v_cndmask_b32_sdwa v8, v13, v8, vcc_lo dst_sel:DWORD dst_unused:UNUSED_PAD src0_sel:DWORD src1_sel:WORD_1
.LBB35_1352:
	s_mov_b32 s5, 0
.LBB35_1353:
	s_andn2_b32 vcc_lo, exec_lo, s5
	s_cbranch_vccnz .LBB35_1355
; %bb.1354:
	global_load_ubyte v8, v[10:11], off
	s_waitcnt vmcnt(0)
	v_lshlrev_b32_e32 v13, 25, v8
	v_lshlrev_b16 v8, 8, v8
	v_lshrrev_b32_e32 v14, 4, v13
	v_and_or_b32 v15, 0x7f00, v8, 0.5
	v_cmp_gt_u32_e32 vcc_lo, 0x8000000, v13
	v_bfe_i32 v8, v8, 0, 16
	v_or_b32_e32 v14, 0x70000000, v14
	v_add_f32_e32 v15, -0.5, v15
	v_mul_f32_e32 v14, 0x7800000, v14
	v_cndmask_b32_e32 v13, v14, v15, vcc_lo
	v_and_or_b32 v8, 0x80000000, v8, v13
	v_bfe_u32 v13, v13, 16, 1
	v_cmp_o_f32_e32 vcc_lo, v8, v8
	v_add3_u32 v8, v8, v13, 0x7fff
	v_mov_b32_e32 v13, 0x7fc0
	v_cndmask_b32_sdwa v8, v13, v8, vcc_lo dst_sel:DWORD dst_unused:UNUSED_PAD src0_sel:DWORD src1_sel:WORD_1
.LBB35_1355:
	s_mov_b32 s5, 0
	s_mov_b32 s6, -1
.LBB35_1356:
	s_andn2_b32 vcc_lo, exec_lo, s5
	s_mov_b32 s5, 0
	s_cbranch_vccnz .LBB35_1367
; %bb.1357:
	s_cmp_gt_i32 s0, 14
	s_cbranch_scc0 .LBB35_1360
; %bb.1358:
	s_cmp_eq_u32 s0, 15
	s_cbranch_scc0 .LBB35_1363
; %bb.1359:
	global_load_ushort v8, v[10:11], off
	s_mov_b32 s1, 0
	s_mov_b32 s6, -1
	s_branch .LBB35_1365
.LBB35_1360:
	s_mov_b32 s5, -1
	s_branch .LBB35_1364
.LBB35_1361:
	s_or_saveexec_b32 s6, s6
	v_mov_b32_e32 v13, 0x7f800001
	s_xor_b32 exec_lo, exec_lo, s6
	s_cbranch_execz .LBB35_1342
.LBB35_1362:
	v_cmp_ne_u16_e32 vcc_lo, 0, v8
	v_mov_b32_e32 v13, 0
	s_andn2_b32 s5, s5, exec_lo
	s_and_b32 s7, vcc_lo, exec_lo
	s_or_b32 s5, s5, s7
	s_or_b32 exec_lo, exec_lo, s6
	s_and_saveexec_b32 s6, s5
	s_cbranch_execnz .LBB35_1343
	s_branch .LBB35_1344
.LBB35_1363:
	s_mov_b32 s1, -1
.LBB35_1364:
                                        ; implicit-def: $vgpr8
.LBB35_1365:
	s_and_b32 vcc_lo, exec_lo, s5
	s_mov_b32 s5, 0
	s_cbranch_vccz .LBB35_1367
; %bb.1366:
	s_cmp_lg_u32 s0, 11
	s_mov_b32 s5, -1
	s_cselect_b32 s1, -1, 0
.LBB35_1367:
	s_and_b32 vcc_lo, exec_lo, s1
	s_cbranch_vccnz .LBB35_1434
; %bb.1368:
	s_andn2_b32 vcc_lo, exec_lo, s5
	s_cbranch_vccnz .LBB35_1370
.LBB35_1369:
	global_load_ubyte v8, v[10:11], off
	s_mov_b32 s6, -1
	s_waitcnt vmcnt(0)
	v_cmp_ne_u16_e32 vcc_lo, 0, v8
	v_cndmask_b32_e64 v8, 0, 1.0, vcc_lo
	v_lshrrev_b32_e32 v8, 16, v8
.LBB35_1370:
	s_branch .LBB35_1296
.LBB35_1371:
	s_and_b32 s0, 0xffff, s4
	s_cmp_lt_i32 s0, 5
	s_cbranch_scc1 .LBB35_1376
; %bb.1372:
	s_cmp_lt_i32 s0, 8
	s_cbranch_scc1 .LBB35_1377
; %bb.1373:
	;; [unrolled: 3-line block ×3, first 2 shown]
	s_cmp_gt_i32 s0, 9
	s_cbranch_scc0 .LBB35_1379
; %bb.1375:
	global_load_dwordx2 v[13:14], v[10:11], off
	s_mov_b32 s1, 0
	s_waitcnt vmcnt(0)
	v_cvt_f32_f64_e32 v8, v[13:14]
	v_bfe_u32 v13, v8, 16, 1
	v_cmp_o_f32_e32 vcc_lo, v8, v8
	v_add3_u32 v8, v8, v13, 0x7fff
	v_mov_b32_e32 v13, 0x7fc0
	v_cndmask_b32_sdwa v8, v13, v8, vcc_lo dst_sel:DWORD dst_unused:UNUSED_PAD src0_sel:DWORD src1_sel:WORD_1
	s_branch .LBB35_1380
.LBB35_1376:
                                        ; implicit-def: $vgpr8
	s_branch .LBB35_1398
.LBB35_1377:
	s_mov_b32 s1, -1
                                        ; implicit-def: $vgpr8
	s_branch .LBB35_1386
.LBB35_1378:
	s_mov_b32 s1, -1
                                        ; implicit-def: $vgpr8
	s_branch .LBB35_1383
.LBB35_1379:
	s_mov_b32 s1, -1
                                        ; implicit-def: $vgpr8
.LBB35_1380:
	s_andn2_b32 vcc_lo, exec_lo, s1
	s_cbranch_vccnz .LBB35_1382
; %bb.1381:
	global_load_dword v8, v[10:11], off
	s_waitcnt vmcnt(0)
	v_bfe_u32 v13, v8, 16, 1
	v_cmp_o_f32_e32 vcc_lo, v8, v8
	v_add3_u32 v8, v8, v13, 0x7fff
	v_mov_b32_e32 v13, 0x7fc0
	v_cndmask_b32_sdwa v8, v13, v8, vcc_lo dst_sel:DWORD dst_unused:UNUSED_PAD src0_sel:DWORD src1_sel:WORD_1
.LBB35_1382:
	s_mov_b32 s1, 0
.LBB35_1383:
	s_andn2_b32 vcc_lo, exec_lo, s1
	s_cbranch_vccnz .LBB35_1385
; %bb.1384:
	global_load_dword v8, v[10:11], off
	s_waitcnt vmcnt(0)
	v_cvt_f32_f16_e32 v13, v8
	v_cmp_o_f16_e32 vcc_lo, v8, v8
	v_bfe_u32 v14, v13, 16, 1
	v_add3_u32 v8, v13, v14, 0x7fff
	v_mov_b32_e32 v13, 0x7fc0
	v_cndmask_b32_sdwa v8, v13, v8, vcc_lo dst_sel:DWORD dst_unused:UNUSED_PAD src0_sel:DWORD src1_sel:WORD_1
.LBB35_1385:
	s_mov_b32 s1, 0
.LBB35_1386:
	s_andn2_b32 vcc_lo, exec_lo, s1
	s_cbranch_vccnz .LBB35_1397
; %bb.1387:
	s_cmp_lt_i32 s0, 6
	s_cbranch_scc1 .LBB35_1390
; %bb.1388:
	s_cmp_gt_i32 s0, 6
	s_cbranch_scc0 .LBB35_1391
; %bb.1389:
	global_load_dwordx2 v[13:14], v[10:11], off
	s_mov_b32 s1, 0
	s_waitcnt vmcnt(0)
	v_cvt_f32_f64_e32 v8, v[13:14]
	v_bfe_u32 v13, v8, 16, 1
	v_cmp_o_f32_e32 vcc_lo, v8, v8
	v_add3_u32 v8, v8, v13, 0x7fff
	v_mov_b32_e32 v13, 0x7fc0
	v_cndmask_b32_sdwa v8, v13, v8, vcc_lo dst_sel:DWORD dst_unused:UNUSED_PAD src0_sel:DWORD src1_sel:WORD_1
	s_branch .LBB35_1392
.LBB35_1390:
	s_mov_b32 s1, -1
                                        ; implicit-def: $vgpr8
	s_branch .LBB35_1395
.LBB35_1391:
	s_mov_b32 s1, -1
                                        ; implicit-def: $vgpr8
.LBB35_1392:
	s_andn2_b32 vcc_lo, exec_lo, s1
	s_cbranch_vccnz .LBB35_1394
; %bb.1393:
	global_load_dword v8, v[10:11], off
	s_waitcnt vmcnt(0)
	v_bfe_u32 v13, v8, 16, 1
	v_cmp_o_f32_e32 vcc_lo, v8, v8
	v_add3_u32 v8, v8, v13, 0x7fff
	v_mov_b32_e32 v13, 0x7fc0
	v_cndmask_b32_sdwa v8, v13, v8, vcc_lo dst_sel:DWORD dst_unused:UNUSED_PAD src0_sel:DWORD src1_sel:WORD_1
.LBB35_1394:
	s_mov_b32 s1, 0
.LBB35_1395:
	s_andn2_b32 vcc_lo, exec_lo, s1
	s_cbranch_vccnz .LBB35_1397
; %bb.1396:
	global_load_ushort v8, v[10:11], off
	s_waitcnt vmcnt(0)
	v_cvt_f32_f16_e32 v13, v8
	v_cmp_o_f16_e32 vcc_lo, v8, v8
	v_bfe_u32 v14, v13, 16, 1
	v_add3_u32 v8, v13, v14, 0x7fff
	v_mov_b32_e32 v13, 0x7fc0
	v_cndmask_b32_sdwa v8, v13, v8, vcc_lo dst_sel:DWORD dst_unused:UNUSED_PAD src0_sel:DWORD src1_sel:WORD_1
.LBB35_1397:
	s_cbranch_execnz .LBB35_1417
.LBB35_1398:
	s_cmp_lt_i32 s0, 2
	s_cbranch_scc1 .LBB35_1402
; %bb.1399:
	s_cmp_lt_i32 s0, 3
	s_cbranch_scc1 .LBB35_1403
; %bb.1400:
	s_cmp_gt_i32 s0, 3
	s_cbranch_scc0 .LBB35_1404
; %bb.1401:
	global_load_dwordx2 v[13:14], v[10:11], off
	s_mov_b32 s1, 0
	s_waitcnt vmcnt(0)
	v_xor_b32_e32 v8, v13, v14
	v_ffbh_i32_e32 v15, v14
	v_ashrrev_i32_e32 v8, 31, v8
	v_add_nc_u32_e32 v15, -1, v15
	v_add_nc_u32_e32 v8, 32, v8
	v_min_u32_e32 v8, v15, v8
	v_lshlrev_b64 v[13:14], v8, v[13:14]
	v_sub_nc_u32_e32 v8, 32, v8
	v_min_u32_e32 v13, 1, v13
	v_or_b32_e32 v13, v14, v13
	v_cvt_f32_i32_e32 v13, v13
	v_ldexp_f32 v8, v13, v8
	v_bfe_u32 v13, v8, 16, 1
	v_add3_u32 v8, v8, v13, 0x7fff
	v_lshrrev_b32_e32 v8, 16, v8
	s_branch .LBB35_1405
.LBB35_1402:
	s_mov_b32 s1, -1
                                        ; implicit-def: $vgpr8
	s_branch .LBB35_1411
.LBB35_1403:
	s_mov_b32 s1, -1
                                        ; implicit-def: $vgpr8
	s_branch .LBB35_1408
.LBB35_1404:
	s_mov_b32 s1, -1
                                        ; implicit-def: $vgpr8
.LBB35_1405:
	s_andn2_b32 vcc_lo, exec_lo, s1
	s_cbranch_vccnz .LBB35_1407
; %bb.1406:
	global_load_dword v8, v[10:11], off
	s_waitcnt vmcnt(0)
	v_cvt_f32_i32_e32 v8, v8
	v_bfe_u32 v13, v8, 16, 1
	v_add3_u32 v8, v8, v13, 0x7fff
	v_lshrrev_b32_e32 v8, 16, v8
.LBB35_1407:
	s_mov_b32 s1, 0
.LBB35_1408:
	s_andn2_b32 vcc_lo, exec_lo, s1
	s_cbranch_vccnz .LBB35_1410
; %bb.1409:
	global_load_sshort v8, v[10:11], off
	s_waitcnt vmcnt(0)
	v_cvt_f32_i32_e32 v8, v8
	v_bfe_u32 v13, v8, 16, 1
	v_add3_u32 v8, v8, v13, 0x7fff
	v_lshrrev_b32_e32 v8, 16, v8
.LBB35_1410:
	s_mov_b32 s1, 0
.LBB35_1411:
	s_andn2_b32 vcc_lo, exec_lo, s1
	s_cbranch_vccnz .LBB35_1417
; %bb.1412:
	s_cmp_gt_i32 s0, 0
	s_mov_b32 s0, 0
	s_cbranch_scc0 .LBB35_1414
; %bb.1413:
	global_load_sbyte v8, v[10:11], off
	s_waitcnt vmcnt(0)
	v_cvt_f32_i32_e32 v8, v8
	v_bfe_u32 v13, v8, 16, 1
	v_add3_u32 v8, v8, v13, 0x7fff
	v_lshrrev_b32_e32 v8, 16, v8
	s_branch .LBB35_1415
.LBB35_1414:
	s_mov_b32 s0, -1
                                        ; implicit-def: $vgpr8
.LBB35_1415:
	s_andn2_b32 vcc_lo, exec_lo, s0
	s_cbranch_vccnz .LBB35_1417
; %bb.1416:
	global_load_ubyte v8, v[10:11], off
	s_waitcnt vmcnt(0)
	v_cvt_f32_ubyte0_e32 v8, v8
	v_bfe_u32 v10, v8, 16, 1
	v_add3_u32 v8, v8, v10, 0x7fff
	v_lshrrev_b32_e32 v8, 16, v8
.LBB35_1417:
.LBB35_1418:
	s_waitcnt vmcnt(0)
	v_lshlrev_b32_e32 v10, 16, v8
                                        ; implicit-def: $vgpr14
                                        ; implicit-def: $vgpr13
	s_mov_b32 s1, exec_lo
	v_and_b32_e32 v11, 0x7fffffff, v10
	v_cmpx_ngt_f32_e64 0x48000000, |v10|
	s_xor_b32 s5, exec_lo, s1
	s_cbranch_execz .LBB35_1420
; %bb.1419:
	s_mov_b32 s0, 0x7fffff
	v_mov_b32_e32 v15, 0
	v_and_or_b32 v8, v11, s0, 0x800000
	v_lshrrev_b32_e32 v20, 23, v11
	v_mad_u64_u32 v[13:14], null, 0xfe5163ab, v8, 0
	v_add_nc_u32_e32 v21, 0xffffff88, v20
	v_cmp_lt_u32_e32 vcc_lo, 63, v21
	v_mad_u64_u32 v[16:17], null, 0x3c439041, v8, v[14:15]
	v_cndmask_b32_e64 v22, 0, 0xffffffc0, vcc_lo
	v_mov_b32_e32 v14, v17
	v_add_nc_u32_e32 v22, v22, v21
	v_mad_u64_u32 v[17:18], null, 0xdb629599, v8, v[14:15]
	v_cmp_lt_u32_e64 s0, 31, v22
	v_cndmask_b32_e64 v23, 0, 0xffffffe0, s0
	v_mov_b32_e32 v14, v18
	v_cndmask_b32_e32 v13, v17, v13, vcc_lo
	v_mad_u64_u32 v[18:19], null, 0xf534ddc0, v8, v[14:15]
	v_mov_b32_e32 v14, v19
	v_cndmask_b32_e32 v16, v18, v16, vcc_lo
	v_mad_u64_u32 v[19:20], null, 0xfc2757d1, v8, v[14:15]
	v_cndmask_b32_e64 v13, v16, v13, s0
	v_mov_b32_e32 v14, v20
	v_mad_u64_u32 v[20:21], null, 0x4e441529, v8, v[14:15]
	v_mov_b32_e32 v14, v21
	v_add_nc_u32_e32 v21, v23, v22
	v_cndmask_b32_e32 v22, v20, v18, vcc_lo
	v_mad_u64_u32 v[14:15], null, 0xa2f9836e, v8, v[14:15]
	v_cmp_lt_u32_e64 s1, 31, v21
	v_cndmask_b32_e64 v8, 0, 0xffffffe0, s1
	v_cndmask_b32_e32 v14, v14, v19, vcc_lo
	v_cndmask_b32_e32 v15, v15, v20, vcc_lo
	;; [unrolled: 1-line block ×3, first 2 shown]
	v_add_nc_u32_e32 v8, v8, v21
	v_cndmask_b32_e64 v18, v14, v22, s0
	v_cndmask_b32_e64 v14, v15, v14, s0
	;; [unrolled: 1-line block ×4, first 2 shown]
	v_sub_nc_u32_e32 v20, 32, v8
	v_cmp_eq_u32_e32 vcc_lo, 0, v8
	v_cndmask_b32_e64 v14, v14, v18, s1
	v_cndmask_b32_e64 v18, v18, v15, s1
	;; [unrolled: 1-line block ×4, first 2 shown]
	v_alignbit_b32 v21, v14, v18, v20
	v_alignbit_b32 v17, v18, v15, v20
	;; [unrolled: 1-line block ×3, first 2 shown]
	v_cndmask_b32_e32 v8, v21, v14, vcc_lo
	v_cndmask_b32_e32 v14, v17, v18, vcc_lo
	;; [unrolled: 1-line block ×3, first 2 shown]
	v_bfe_u32 v16, v8, 29, 1
	v_alignbit_b32 v17, v8, v14, 30
	v_alignbit_b32 v14, v14, v15, 30
	;; [unrolled: 1-line block ×3, first 2 shown]
	v_sub_nc_u32_e32 v18, 0, v16
	v_xor_b32_e32 v17, v17, v18
	v_xor_b32_e32 v14, v14, v18
	;; [unrolled: 1-line block ×3, first 2 shown]
	v_lshrrev_b32_e32 v18, 29, v8
	v_lshrrev_b32_e32 v8, 30, v8
	v_ffbh_u32_e32 v19, v17
	v_min_u32_e32 v19, 32, v19
	v_sub_nc_u32_e32 v15, 31, v19
	v_lshlrev_b32_e32 v20, 23, v19
	v_alignbit_b32 v17, v17, v14, v15
	v_alignbit_b32 v13, v14, v13, v15
	v_lshlrev_b32_e32 v14, 31, v18
	v_alignbit_b32 v15, v17, v13, 9
	v_or_b32_e32 v18, 0.5, v14
	v_lshrrev_b32_e32 v17, 9, v17
	v_or_b32_e32 v14, 0x33000000, v14
	v_ffbh_u32_e32 v21, v15
	v_sub_nc_u32_e32 v18, v18, v20
	v_min_u32_e32 v20, 32, v21
	v_or_b32_e32 v17, v17, v18
	v_not_b32_e32 v18, v20
	v_mul_f32_e32 v21, 0x3fc90fda, v17
	v_add_lshl_u32 v19, v20, v19, 23
	v_alignbit_b32 v13, v15, v13, v18
	v_fma_f32 v15, 0x3fc90fda, v17, -v21
	v_sub_nc_u32_e32 v14, v14, v19
	v_lshrrev_b32_e32 v13, 9, v13
	v_fmamk_f32 v15, v17, 0x33a22168, v15
	v_or_b32_e32 v13, v14, v13
	v_add_nc_u32_e32 v14, v16, v8
	v_fmac_f32_e32 v15, 0x3fc90fda, v13
	v_add_f32_e32 v13, v21, v15
.LBB35_1420:
	s_andn2_saveexec_b32 s0, s5
; %bb.1421:
	v_mul_f32_e64 v8, 0x3f22f983, |v10|
	v_rndne_f32_e32 v8, v8
	v_fma_f32 v13, 0xbfc90fda, v8, |v10|
	v_cvt_i32_f32_e32 v14, v8
	v_fmamk_f32 v13, v8, 0xb3a22168, v13
	v_fmamk_f32 v13, v8, 0xa7c234c4, v13
; %bb.1422:
	s_or_b32 exec_lo, exec_lo, s0
	v_add_co_u32 v8, s0, s10, v9
	v_add_co_ci_u32_e64 v9, null, s11, 0, s0
	s_cmp_lt_i32 s4, 11
	s_cbranch_scc1 .LBB35_1429
; %bb.1423:
	s_and_b32 s0, 0xffff, s4
	s_mov_b32 s5, 0
	s_cmp_gt_i32 s0, 25
	s_cbranch_scc0 .LBB35_1431
; %bb.1424:
	s_cmp_gt_i32 s0, 28
	s_cbranch_scc0 .LBB35_1432
; %bb.1425:
	;; [unrolled: 3-line block ×4, first 2 shown]
	s_cmp_eq_u32 s0, 46
	s_mov_b32 s7, 0
	s_cbranch_scc0 .LBB35_1436
; %bb.1428:
	global_load_dword v15, v[8:9], off
	s_mov_b32 s1, 0
	s_mov_b32 s6, -1
	s_branch .LBB35_1438
.LBB35_1429:
	s_mov_b32 s6, 0
                                        ; implicit-def: $vgpr15
	s_cbranch_execnz .LBB35_1504
.LBB35_1430:
	s_andn2_b32 vcc_lo, exec_lo, s6
	s_cbranch_vccz .LBB35_1552
	s_branch .LBB35_2121
.LBB35_1431:
	s_mov_b32 s7, -1
	s_mov_b32 s6, 0
	s_mov_b32 s1, 0
                                        ; implicit-def: $vgpr15
	s_branch .LBB35_1467
.LBB35_1432:
	s_mov_b32 s7, -1
	s_mov_b32 s6, 0
	s_mov_b32 s1, 0
                                        ; implicit-def: $vgpr15
	s_branch .LBB35_1448
.LBB35_1433:
	s_mov_b32 s7, -1
	s_mov_b32 s6, 0
	s_mov_b32 s1, 0
                                        ; implicit-def: $vgpr15
	s_branch .LBB35_1443
.LBB35_1434:
	s_or_b32 s2, s2, exec_lo
	s_trap 2
	s_cbranch_execz .LBB35_1369
	s_branch .LBB35_1370
.LBB35_1435:
	s_mov_b32 s7, -1
	s_mov_b32 s6, 0
	s_mov_b32 s1, 0
	s_branch .LBB35_1437
.LBB35_1436:
	s_mov_b32 s1, -1
	s_mov_b32 s6, 0
.LBB35_1437:
                                        ; implicit-def: $vgpr15
.LBB35_1438:
	s_and_b32 vcc_lo, exec_lo, s7
	s_cbranch_vccz .LBB35_1442
; %bb.1439:
	s_cmp_eq_u32 s0, 44
	s_cbranch_scc0 .LBB35_1441
; %bb.1440:
	global_load_ubyte v15, v[8:9], off
	s_mov_b32 s1, 0
	s_mov_b32 s6, -1
	s_waitcnt vmcnt(0)
	v_lshlrev_b32_e32 v16, 23, v15
	v_cmp_ne_u32_e32 vcc_lo, 0xff, v15
	v_cndmask_b32_e32 v16, 0x7f800001, v16, vcc_lo
	v_cmp_ne_u32_e32 vcc_lo, 0, v15
	v_cndmask_b32_e32 v15, 0x400000, v16, vcc_lo
	v_mov_b32_e32 v16, 0x7fc0
	v_cmp_o_f32_e32 vcc_lo, v15, v15
	v_add_nc_u32_e32 v15, 0x7fff, v15
	v_cndmask_b32_sdwa v15, v16, v15, vcc_lo dst_sel:DWORD dst_unused:UNUSED_PAD src0_sel:DWORD src1_sel:WORD_1
	s_branch .LBB35_1442
.LBB35_1441:
	s_mov_b32 s1, -1
                                        ; implicit-def: $vgpr15
.LBB35_1442:
	s_mov_b32 s7, 0
.LBB35_1443:
	s_and_b32 vcc_lo, exec_lo, s7
	s_cbranch_vccz .LBB35_1447
; %bb.1444:
	s_cmp_eq_u32 s0, 29
	s_cbranch_scc0 .LBB35_1446
; %bb.1445:
	global_load_dwordx2 v[15:16], v[8:9], off
	s_mov_b32 s1, 0
	s_mov_b32 s6, -1
	s_mov_b32 s7, 0
	s_waitcnt vmcnt(0)
	v_ffbh_u32_e32 v17, v16
	v_min_u32_e32 v17, 32, v17
	v_lshlrev_b64 v[15:16], v17, v[15:16]
	v_min_u32_e32 v15, 1, v15
	v_or_b32_e32 v15, v16, v15
	v_sub_nc_u32_e32 v16, 32, v17
	v_cvt_f32_u32_e32 v15, v15
	v_ldexp_f32 v15, v15, v16
	v_bfe_u32 v16, v15, 16, 1
	v_add3_u32 v15, v15, v16, 0x7fff
	v_lshrrev_b32_e32 v15, 16, v15
	s_branch .LBB35_1448
.LBB35_1446:
	s_mov_b32 s1, -1
                                        ; implicit-def: $vgpr15
.LBB35_1447:
	s_mov_b32 s7, 0
.LBB35_1448:
	s_and_b32 vcc_lo, exec_lo, s7
	s_cbranch_vccz .LBB35_1466
; %bb.1449:
	s_cmp_lt_i32 s0, 27
	s_cbranch_scc1 .LBB35_1452
; %bb.1450:
	s_cmp_gt_i32 s0, 27
	s_cbranch_scc0 .LBB35_1453
; %bb.1451:
	global_load_dword v15, v[8:9], off
	s_mov_b32 s6, 0
	s_waitcnt vmcnt(0)
	v_cvt_f32_u32_e32 v15, v15
	v_bfe_u32 v16, v15, 16, 1
	v_add3_u32 v15, v15, v16, 0x7fff
	v_lshrrev_b32_e32 v15, 16, v15
	s_branch .LBB35_1454
.LBB35_1452:
	s_mov_b32 s6, -1
                                        ; implicit-def: $vgpr15
	s_branch .LBB35_1457
.LBB35_1453:
	s_mov_b32 s6, -1
                                        ; implicit-def: $vgpr15
.LBB35_1454:
	s_andn2_b32 vcc_lo, exec_lo, s6
	s_cbranch_vccnz .LBB35_1456
; %bb.1455:
	global_load_ushort v15, v[8:9], off
	s_waitcnt vmcnt(0)
	v_cvt_f32_u32_e32 v15, v15
	v_bfe_u32 v16, v15, 16, 1
	v_add3_u32 v15, v15, v16, 0x7fff
	v_lshrrev_b32_e32 v15, 16, v15
.LBB35_1456:
	s_mov_b32 s6, 0
.LBB35_1457:
	s_andn2_b32 vcc_lo, exec_lo, s6
	s_cbranch_vccnz .LBB35_1465
; %bb.1458:
	global_load_ubyte v15, v[8:9], off
	s_mov_b32 s6, 0
	s_mov_b32 s7, exec_lo
	s_waitcnt vmcnt(0)
	v_cmpx_lt_i16_e32 0x7f, v15
	s_xor_b32 s7, exec_lo, s7
	s_cbranch_execz .LBB35_1479
; %bb.1459:
	s_mov_b32 s6, -1
	s_mov_b32 s14, exec_lo
	v_cmpx_eq_u16_e32 0x80, v15
; %bb.1460:
	s_xor_b32 s6, exec_lo, -1
; %bb.1461:
	s_or_b32 exec_lo, exec_lo, s14
	s_and_b32 s6, s6, exec_lo
	s_or_saveexec_b32 s7, s7
	v_mov_b32_e32 v16, 0x7f800001
	s_xor_b32 exec_lo, exec_lo, s7
	s_cbranch_execnz .LBB35_1480
.LBB35_1462:
	s_or_b32 exec_lo, exec_lo, s7
	s_and_saveexec_b32 s7, s6
	s_cbranch_execz .LBB35_1464
.LBB35_1463:
	v_and_b32_e32 v16, 0xffff, v15
	v_lshlrev_b32_e32 v15, 24, v15
	v_and_b32_e32 v17, 7, v16
	v_bfe_u32 v20, v16, 3, 4
	v_and_b32_e32 v15, 0x80000000, v15
	v_ffbh_u32_e32 v18, v17
	v_cmp_eq_u32_e32 vcc_lo, 0, v20
	v_min_u32_e32 v18, 32, v18
	v_subrev_nc_u32_e32 v19, 28, v18
	v_sub_nc_u32_e32 v18, 29, v18
	v_lshlrev_b32_e32 v16, v19, v16
	v_cndmask_b32_e32 v18, v20, v18, vcc_lo
	v_and_b32_e32 v16, 7, v16
	v_cndmask_b32_e32 v16, v17, v16, vcc_lo
	v_lshl_add_u32 v17, v18, 23, 0x3b800000
	v_lshlrev_b32_e32 v16, 20, v16
	v_or3_b32 v16, v15, v17, v16
.LBB35_1464:
	s_or_b32 exec_lo, exec_lo, s7
	v_bfe_u32 v15, v16, 16, 1
	v_cmp_o_f32_e32 vcc_lo, v16, v16
	v_add3_u32 v15, v16, v15, 0x7fff
	v_mov_b32_e32 v16, 0x7fc0
	v_cndmask_b32_sdwa v15, v16, v15, vcc_lo dst_sel:DWORD dst_unused:UNUSED_PAD src0_sel:DWORD src1_sel:WORD_1
.LBB35_1465:
	s_mov_b32 s6, -1
.LBB35_1466:
	s_mov_b32 s7, 0
.LBB35_1467:
	s_and_b32 vcc_lo, exec_lo, s7
	s_cbranch_vccz .LBB35_1500
; %bb.1468:
	s_cmp_gt_i32 s0, 22
	s_cbranch_scc0 .LBB35_1478
; %bb.1469:
	s_cmp_lt_i32 s0, 24
	s_cbranch_scc1 .LBB35_1481
; %bb.1470:
	s_cmp_gt_i32 s0, 24
	s_cbranch_scc0 .LBB35_1482
; %bb.1471:
	global_load_ubyte v15, v[8:9], off
	s_mov_b32 s6, exec_lo
	s_waitcnt vmcnt(0)
	v_cmpx_lt_i16_e32 0x7f, v15
	s_xor_b32 s6, exec_lo, s6
	s_cbranch_execz .LBB35_1494
; %bb.1472:
	s_mov_b32 s5, -1
	s_mov_b32 s7, exec_lo
	v_cmpx_eq_u16_e32 0x80, v15
; %bb.1473:
	s_xor_b32 s5, exec_lo, -1
; %bb.1474:
	s_or_b32 exec_lo, exec_lo, s7
	s_and_b32 s5, s5, exec_lo
	s_or_saveexec_b32 s6, s6
	v_mov_b32_e32 v16, 0x7f800001
	s_xor_b32 exec_lo, exec_lo, s6
	s_cbranch_execnz .LBB35_1495
.LBB35_1475:
	s_or_b32 exec_lo, exec_lo, s6
	s_and_saveexec_b32 s6, s5
	s_cbranch_execz .LBB35_1477
.LBB35_1476:
	v_and_b32_e32 v16, 0xffff, v15
	v_lshlrev_b32_e32 v15, 24, v15
	v_and_b32_e32 v17, 3, v16
	v_bfe_u32 v20, v16, 2, 5
	v_and_b32_e32 v15, 0x80000000, v15
	v_ffbh_u32_e32 v18, v17
	v_cmp_eq_u32_e32 vcc_lo, 0, v20
	v_min_u32_e32 v18, 32, v18
	v_subrev_nc_u32_e32 v19, 29, v18
	v_sub_nc_u32_e32 v18, 30, v18
	v_lshlrev_b32_e32 v16, v19, v16
	v_cndmask_b32_e32 v18, v20, v18, vcc_lo
	v_and_b32_e32 v16, 3, v16
	v_cndmask_b32_e32 v16, v17, v16, vcc_lo
	v_lshl_add_u32 v17, v18, 23, 0x37800000
	v_lshlrev_b32_e32 v16, 21, v16
	v_or3_b32 v16, v15, v17, v16
.LBB35_1477:
	s_or_b32 exec_lo, exec_lo, s6
	v_bfe_u32 v15, v16, 16, 1
	v_cmp_o_f32_e32 vcc_lo, v16, v16
	s_mov_b32 s5, 0
	v_add3_u32 v15, v16, v15, 0x7fff
	v_mov_b32_e32 v16, 0x7fc0
	v_cndmask_b32_sdwa v15, v16, v15, vcc_lo dst_sel:DWORD dst_unused:UNUSED_PAD src0_sel:DWORD src1_sel:WORD_1
	s_branch .LBB35_1483
.LBB35_1478:
	s_mov_b32 s5, -1
                                        ; implicit-def: $vgpr15
	s_branch .LBB35_1489
.LBB35_1479:
	s_or_saveexec_b32 s7, s7
	v_mov_b32_e32 v16, 0x7f800001
	s_xor_b32 exec_lo, exec_lo, s7
	s_cbranch_execz .LBB35_1462
.LBB35_1480:
	v_cmp_ne_u16_e32 vcc_lo, 0, v15
	v_mov_b32_e32 v16, 0
	s_andn2_b32 s6, s6, exec_lo
	s_and_b32 s14, vcc_lo, exec_lo
	s_or_b32 s6, s6, s14
	s_or_b32 exec_lo, exec_lo, s7
	s_and_saveexec_b32 s7, s6
	s_cbranch_execnz .LBB35_1463
	s_branch .LBB35_1464
.LBB35_1481:
	s_mov_b32 s5, -1
                                        ; implicit-def: $vgpr15
	s_branch .LBB35_1486
.LBB35_1482:
	s_mov_b32 s5, -1
                                        ; implicit-def: $vgpr15
.LBB35_1483:
	s_and_b32 vcc_lo, exec_lo, s5
	s_cbranch_vccz .LBB35_1485
; %bb.1484:
	global_load_ubyte v15, v[8:9], off
	s_waitcnt vmcnt(0)
	v_lshlrev_b32_e32 v15, 24, v15
	v_and_b32_e32 v16, 0x7f000000, v15
	v_ffbh_u32_e32 v17, v16
	v_add_nc_u32_e32 v19, 0x1000000, v16
	v_cmp_ne_u32_e32 vcc_lo, 0, v16
	v_min_u32_e32 v17, 32, v17
	v_sub_nc_u32_e64 v17, v17, 4 clamp
	v_lshlrev_b32_e32 v18, v17, v16
	v_lshlrev_b32_e32 v17, 23, v17
	v_lshrrev_b32_e32 v18, 4, v18
	v_sub_nc_u32_e32 v17, v18, v17
	v_ashrrev_i32_e32 v18, 8, v19
	v_add_nc_u32_e32 v17, 0x3c000000, v17
	v_and_or_b32 v17, 0x7f800000, v18, v17
	v_cndmask_b32_e32 v16, 0, v17, vcc_lo
	v_and_or_b32 v15, 0x80000000, v15, v16
	v_bfe_u32 v16, v16, 16, 1
	v_cmp_o_f32_e32 vcc_lo, v15, v15
	v_add3_u32 v15, v15, v16, 0x7fff
	v_mov_b32_e32 v16, 0x7fc0
	v_cndmask_b32_sdwa v15, v16, v15, vcc_lo dst_sel:DWORD dst_unused:UNUSED_PAD src0_sel:DWORD src1_sel:WORD_1
.LBB35_1485:
	s_mov_b32 s5, 0
.LBB35_1486:
	s_andn2_b32 vcc_lo, exec_lo, s5
	s_cbranch_vccnz .LBB35_1488
; %bb.1487:
	global_load_ubyte v15, v[8:9], off
	s_waitcnt vmcnt(0)
	v_lshlrev_b32_e32 v16, 25, v15
	v_lshlrev_b16 v15, 8, v15
	v_lshrrev_b32_e32 v17, 4, v16
	v_and_or_b32 v18, 0x7f00, v15, 0.5
	v_cmp_gt_u32_e32 vcc_lo, 0x8000000, v16
	v_bfe_i32 v15, v15, 0, 16
	v_or_b32_e32 v17, 0x70000000, v17
	v_add_f32_e32 v18, -0.5, v18
	v_mul_f32_e32 v17, 0x7800000, v17
	v_cndmask_b32_e32 v16, v17, v18, vcc_lo
	v_and_or_b32 v15, 0x80000000, v15, v16
	v_bfe_u32 v16, v16, 16, 1
	v_cmp_o_f32_e32 vcc_lo, v15, v15
	v_add3_u32 v15, v15, v16, 0x7fff
	v_mov_b32_e32 v16, 0x7fc0
	v_cndmask_b32_sdwa v15, v16, v15, vcc_lo dst_sel:DWORD dst_unused:UNUSED_PAD src0_sel:DWORD src1_sel:WORD_1
.LBB35_1488:
	s_mov_b32 s5, 0
	s_mov_b32 s6, -1
.LBB35_1489:
	s_andn2_b32 vcc_lo, exec_lo, s5
	s_mov_b32 s5, 0
	s_cbranch_vccnz .LBB35_1500
; %bb.1490:
	s_cmp_gt_i32 s0, 14
	s_cbranch_scc0 .LBB35_1493
; %bb.1491:
	s_cmp_eq_u32 s0, 15
	s_cbranch_scc0 .LBB35_1496
; %bb.1492:
	global_load_ushort v15, v[8:9], off
	s_mov_b32 s1, 0
	s_mov_b32 s6, -1
	s_branch .LBB35_1498
.LBB35_1493:
	s_mov_b32 s5, -1
	s_branch .LBB35_1497
.LBB35_1494:
	s_or_saveexec_b32 s6, s6
	v_mov_b32_e32 v16, 0x7f800001
	s_xor_b32 exec_lo, exec_lo, s6
	s_cbranch_execz .LBB35_1475
.LBB35_1495:
	v_cmp_ne_u16_e32 vcc_lo, 0, v15
	v_mov_b32_e32 v16, 0
	s_andn2_b32 s5, s5, exec_lo
	s_and_b32 s7, vcc_lo, exec_lo
	s_or_b32 s5, s5, s7
	s_or_b32 exec_lo, exec_lo, s6
	s_and_saveexec_b32 s6, s5
	s_cbranch_execnz .LBB35_1476
	s_branch .LBB35_1477
.LBB35_1496:
	s_mov_b32 s1, -1
.LBB35_1497:
                                        ; implicit-def: $vgpr15
.LBB35_1498:
	s_and_b32 vcc_lo, exec_lo, s5
	s_mov_b32 s5, 0
	s_cbranch_vccz .LBB35_1500
; %bb.1499:
	s_cmp_lg_u32 s0, 11
	s_mov_b32 s5, -1
	s_cselect_b32 s1, -1, 0
.LBB35_1500:
	s_and_b32 vcc_lo, exec_lo, s1
	s_cbranch_vccnz .LBB35_1567
; %bb.1501:
	s_andn2_b32 vcc_lo, exec_lo, s5
	s_cbranch_vccnz .LBB35_1503
.LBB35_1502:
	global_load_ubyte v15, v[8:9], off
	s_mov_b32 s6, -1
	s_waitcnt vmcnt(0)
	v_cmp_ne_u16_e32 vcc_lo, 0, v15
	v_cndmask_b32_e64 v15, 0, 1.0, vcc_lo
	v_lshrrev_b32_e32 v15, 16, v15
.LBB35_1503:
	s_branch .LBB35_1430
.LBB35_1504:
	s_and_b32 s0, 0xffff, s4
	s_cmp_lt_i32 s0, 5
	s_cbranch_scc1 .LBB35_1509
; %bb.1505:
	s_cmp_lt_i32 s0, 8
	s_cbranch_scc1 .LBB35_1510
; %bb.1506:
	;; [unrolled: 3-line block ×3, first 2 shown]
	s_cmp_gt_i32 s0, 9
	s_cbranch_scc0 .LBB35_1512
; %bb.1508:
	global_load_dwordx2 v[15:16], v[8:9], off
	s_mov_b32 s1, 0
	s_waitcnt vmcnt(0)
	v_cvt_f32_f64_e32 v15, v[15:16]
	v_bfe_u32 v16, v15, 16, 1
	v_cmp_o_f32_e32 vcc_lo, v15, v15
	v_add3_u32 v15, v15, v16, 0x7fff
	v_mov_b32_e32 v16, 0x7fc0
	v_cndmask_b32_sdwa v15, v16, v15, vcc_lo dst_sel:DWORD dst_unused:UNUSED_PAD src0_sel:DWORD src1_sel:WORD_1
	s_branch .LBB35_1513
.LBB35_1509:
	s_mov_b32 s1, -1
                                        ; implicit-def: $vgpr15
	s_branch .LBB35_1531
.LBB35_1510:
	s_mov_b32 s1, -1
                                        ; implicit-def: $vgpr15
	s_branch .LBB35_1519
.LBB35_1511:
	s_mov_b32 s1, -1
                                        ; implicit-def: $vgpr15
	s_branch .LBB35_1516
.LBB35_1512:
	s_mov_b32 s1, -1
                                        ; implicit-def: $vgpr15
.LBB35_1513:
	s_andn2_b32 vcc_lo, exec_lo, s1
	s_cbranch_vccnz .LBB35_1515
; %bb.1514:
	global_load_dword v15, v[8:9], off
	s_waitcnt vmcnt(0)
	v_bfe_u32 v16, v15, 16, 1
	v_cmp_o_f32_e32 vcc_lo, v15, v15
	v_add3_u32 v15, v15, v16, 0x7fff
	v_mov_b32_e32 v16, 0x7fc0
	v_cndmask_b32_sdwa v15, v16, v15, vcc_lo dst_sel:DWORD dst_unused:UNUSED_PAD src0_sel:DWORD src1_sel:WORD_1
.LBB35_1515:
	s_mov_b32 s1, 0
.LBB35_1516:
	s_andn2_b32 vcc_lo, exec_lo, s1
	s_cbranch_vccnz .LBB35_1518
; %bb.1517:
	global_load_dword v15, v[8:9], off
	s_waitcnt vmcnt(0)
	v_cvt_f32_f16_e32 v16, v15
	v_cmp_o_f16_e32 vcc_lo, v15, v15
	v_bfe_u32 v17, v16, 16, 1
	v_add3_u32 v15, v16, v17, 0x7fff
	v_mov_b32_e32 v16, 0x7fc0
	v_cndmask_b32_sdwa v15, v16, v15, vcc_lo dst_sel:DWORD dst_unused:UNUSED_PAD src0_sel:DWORD src1_sel:WORD_1
.LBB35_1518:
	s_mov_b32 s1, 0
.LBB35_1519:
	s_andn2_b32 vcc_lo, exec_lo, s1
	s_cbranch_vccnz .LBB35_1530
; %bb.1520:
	s_cmp_lt_i32 s0, 6
	s_cbranch_scc1 .LBB35_1523
; %bb.1521:
	s_cmp_gt_i32 s0, 6
	s_cbranch_scc0 .LBB35_1524
; %bb.1522:
	global_load_dwordx2 v[15:16], v[8:9], off
	s_mov_b32 s1, 0
	s_waitcnt vmcnt(0)
	v_cvt_f32_f64_e32 v15, v[15:16]
	v_bfe_u32 v16, v15, 16, 1
	v_cmp_o_f32_e32 vcc_lo, v15, v15
	v_add3_u32 v15, v15, v16, 0x7fff
	v_mov_b32_e32 v16, 0x7fc0
	v_cndmask_b32_sdwa v15, v16, v15, vcc_lo dst_sel:DWORD dst_unused:UNUSED_PAD src0_sel:DWORD src1_sel:WORD_1
	s_branch .LBB35_1525
.LBB35_1523:
	s_mov_b32 s1, -1
                                        ; implicit-def: $vgpr15
	s_branch .LBB35_1528
.LBB35_1524:
	s_mov_b32 s1, -1
                                        ; implicit-def: $vgpr15
.LBB35_1525:
	s_andn2_b32 vcc_lo, exec_lo, s1
	s_cbranch_vccnz .LBB35_1527
; %bb.1526:
	global_load_dword v15, v[8:9], off
	s_waitcnt vmcnt(0)
	v_bfe_u32 v16, v15, 16, 1
	v_cmp_o_f32_e32 vcc_lo, v15, v15
	v_add3_u32 v15, v15, v16, 0x7fff
	v_mov_b32_e32 v16, 0x7fc0
	v_cndmask_b32_sdwa v15, v16, v15, vcc_lo dst_sel:DWORD dst_unused:UNUSED_PAD src0_sel:DWORD src1_sel:WORD_1
.LBB35_1527:
	s_mov_b32 s1, 0
.LBB35_1528:
	s_andn2_b32 vcc_lo, exec_lo, s1
	s_cbranch_vccnz .LBB35_1530
; %bb.1529:
	global_load_ushort v15, v[8:9], off
	s_waitcnt vmcnt(0)
	v_cvt_f32_f16_e32 v16, v15
	v_cmp_o_f16_e32 vcc_lo, v15, v15
	v_bfe_u32 v17, v16, 16, 1
	v_add3_u32 v15, v16, v17, 0x7fff
	v_mov_b32_e32 v16, 0x7fc0
	v_cndmask_b32_sdwa v15, v16, v15, vcc_lo dst_sel:DWORD dst_unused:UNUSED_PAD src0_sel:DWORD src1_sel:WORD_1
.LBB35_1530:
	s_mov_b32 s1, 0
.LBB35_1531:
	s_andn2_b32 vcc_lo, exec_lo, s1
	s_cbranch_vccnz .LBB35_1551
; %bb.1532:
	s_cmp_lt_i32 s0, 2
	s_cbranch_scc1 .LBB35_1536
; %bb.1533:
	s_cmp_lt_i32 s0, 3
	s_cbranch_scc1 .LBB35_1537
; %bb.1534:
	s_cmp_gt_i32 s0, 3
	s_cbranch_scc0 .LBB35_1538
; %bb.1535:
	global_load_dwordx2 v[15:16], v[8:9], off
	s_mov_b32 s1, 0
	s_waitcnt vmcnt(0)
	v_xor_b32_e32 v17, v15, v16
	v_ffbh_i32_e32 v18, v16
	v_ashrrev_i32_e32 v17, 31, v17
	v_add_nc_u32_e32 v18, -1, v18
	v_add_nc_u32_e32 v17, 32, v17
	v_min_u32_e32 v17, v18, v17
	v_lshlrev_b64 v[15:16], v17, v[15:16]
	v_min_u32_e32 v15, 1, v15
	v_or_b32_e32 v15, v16, v15
	v_sub_nc_u32_e32 v16, 32, v17
	v_cvt_f32_i32_e32 v15, v15
	v_ldexp_f32 v15, v15, v16
	v_bfe_u32 v16, v15, 16, 1
	v_add3_u32 v15, v15, v16, 0x7fff
	v_lshrrev_b32_e32 v15, 16, v15
	s_branch .LBB35_1539
.LBB35_1536:
	s_mov_b32 s1, -1
                                        ; implicit-def: $vgpr15
	s_branch .LBB35_1545
.LBB35_1537:
	s_mov_b32 s1, -1
                                        ; implicit-def: $vgpr15
	s_branch .LBB35_1542
.LBB35_1538:
	s_mov_b32 s1, -1
                                        ; implicit-def: $vgpr15
.LBB35_1539:
	s_andn2_b32 vcc_lo, exec_lo, s1
	s_cbranch_vccnz .LBB35_1541
; %bb.1540:
	global_load_dword v15, v[8:9], off
	s_waitcnt vmcnt(0)
	v_cvt_f32_i32_e32 v15, v15
	v_bfe_u32 v16, v15, 16, 1
	v_add3_u32 v15, v15, v16, 0x7fff
	v_lshrrev_b32_e32 v15, 16, v15
.LBB35_1541:
	s_mov_b32 s1, 0
.LBB35_1542:
	s_andn2_b32 vcc_lo, exec_lo, s1
	s_cbranch_vccnz .LBB35_1544
; %bb.1543:
	global_load_sshort v15, v[8:9], off
	s_waitcnt vmcnt(0)
	v_cvt_f32_i32_e32 v15, v15
	v_bfe_u32 v16, v15, 16, 1
	v_add3_u32 v15, v15, v16, 0x7fff
	v_lshrrev_b32_e32 v15, 16, v15
.LBB35_1544:
	s_mov_b32 s1, 0
.LBB35_1545:
	s_andn2_b32 vcc_lo, exec_lo, s1
	s_cbranch_vccnz .LBB35_1551
; %bb.1546:
	s_cmp_gt_i32 s0, 0
	s_mov_b32 s0, 0
	s_cbranch_scc0 .LBB35_1548
; %bb.1547:
	global_load_sbyte v15, v[8:9], off
	s_waitcnt vmcnt(0)
	v_cvt_f32_i32_e32 v15, v15
	v_bfe_u32 v16, v15, 16, 1
	v_add3_u32 v15, v15, v16, 0x7fff
	v_lshrrev_b32_e32 v15, 16, v15
	s_branch .LBB35_1549
.LBB35_1548:
	s_mov_b32 s0, -1
                                        ; implicit-def: $vgpr15
.LBB35_1549:
	s_andn2_b32 vcc_lo, exec_lo, s0
	s_cbranch_vccnz .LBB35_1551
; %bb.1550:
	global_load_ubyte v8, v[8:9], off
	s_waitcnt vmcnt(0)
	v_cvt_f32_ubyte0_e32 v8, v8
	v_bfe_u32 v9, v8, 16, 1
	v_add3_u32 v8, v8, v9, 0x7fff
	v_lshrrev_b32_e32 v15, 16, v8
.LBB35_1551:
.LBB35_1552:
	s_waitcnt vmcnt(0)
	v_lshlrev_b32_e32 v9, 16, v15
                                        ; implicit-def: $vgpr17
                                        ; implicit-def: $vgpr16
	s_mov_b32 s1, exec_lo
	v_and_b32_e32 v15, 0x7fffffff, v9
	v_cmpx_ngt_f32_e64 0x48000000, |v9|
	s_xor_b32 s5, exec_lo, s1
	s_cbranch_execz .LBB35_1554
; %bb.1553:
	s_mov_b32 s0, 0x7fffff
	v_mov_b32_e32 v18, 0
	v_and_or_b32 v8, v15, s0, 0x800000
	v_lshrrev_b32_e32 v23, 23, v15
	v_mad_u64_u32 v[16:17], null, 0xfe5163ab, v8, 0
	v_add_nc_u32_e32 v24, 0xffffff88, v23
	v_cmp_lt_u32_e32 vcc_lo, 63, v24
	v_mad_u64_u32 v[19:20], null, 0x3c439041, v8, v[17:18]
	v_cndmask_b32_e64 v25, 0, 0xffffffc0, vcc_lo
	v_mov_b32_e32 v17, v20
	v_add_nc_u32_e32 v25, v25, v24
	v_mad_u64_u32 v[20:21], null, 0xdb629599, v8, v[17:18]
	v_cmp_lt_u32_e64 s0, 31, v25
	v_cndmask_b32_e64 v26, 0, 0xffffffe0, s0
	v_mov_b32_e32 v17, v21
	v_cndmask_b32_e32 v16, v20, v16, vcc_lo
	v_mad_u64_u32 v[21:22], null, 0xf534ddc0, v8, v[17:18]
	v_mov_b32_e32 v17, v22
	v_cndmask_b32_e32 v19, v21, v19, vcc_lo
	v_mad_u64_u32 v[22:23], null, 0xfc2757d1, v8, v[17:18]
	v_cndmask_b32_e64 v16, v19, v16, s0
	v_mov_b32_e32 v17, v23
	v_mad_u64_u32 v[23:24], null, 0x4e441529, v8, v[17:18]
	v_mov_b32_e32 v17, v24
	v_add_nc_u32_e32 v24, v26, v25
	v_cndmask_b32_e32 v25, v23, v21, vcc_lo
	v_mad_u64_u32 v[17:18], null, 0xa2f9836e, v8, v[17:18]
	v_cmp_lt_u32_e64 s1, 31, v24
	v_cndmask_b32_e64 v8, 0, 0xffffffe0, s1
	v_cndmask_b32_e32 v17, v17, v22, vcc_lo
	v_cndmask_b32_e32 v18, v18, v23, vcc_lo
	;; [unrolled: 1-line block ×3, first 2 shown]
	v_add_nc_u32_e32 v8, v8, v24
	v_cndmask_b32_e64 v21, v17, v25, s0
	v_cndmask_b32_e64 v17, v18, v17, s0
	;; [unrolled: 1-line block ×4, first 2 shown]
	v_sub_nc_u32_e32 v23, 32, v8
	v_cmp_eq_u32_e32 vcc_lo, 0, v8
	v_cndmask_b32_e64 v17, v17, v21, s1
	v_cndmask_b32_e64 v21, v21, v18, s1
	;; [unrolled: 1-line block ×4, first 2 shown]
	v_alignbit_b32 v24, v17, v21, v23
	v_alignbit_b32 v20, v21, v18, v23
	;; [unrolled: 1-line block ×3, first 2 shown]
	v_cndmask_b32_e32 v8, v24, v17, vcc_lo
	v_cndmask_b32_e32 v17, v20, v21, vcc_lo
	;; [unrolled: 1-line block ×3, first 2 shown]
	v_bfe_u32 v19, v8, 29, 1
	v_alignbit_b32 v20, v8, v17, 30
	v_alignbit_b32 v17, v17, v18, 30
	;; [unrolled: 1-line block ×3, first 2 shown]
	v_sub_nc_u32_e32 v21, 0, v19
	v_xor_b32_e32 v20, v20, v21
	v_xor_b32_e32 v17, v17, v21
	;; [unrolled: 1-line block ×3, first 2 shown]
	v_lshrrev_b32_e32 v21, 29, v8
	v_lshrrev_b32_e32 v8, 30, v8
	v_ffbh_u32_e32 v22, v20
	v_min_u32_e32 v22, 32, v22
	v_sub_nc_u32_e32 v18, 31, v22
	v_lshlrev_b32_e32 v23, 23, v22
	v_alignbit_b32 v20, v20, v17, v18
	v_alignbit_b32 v16, v17, v16, v18
	v_lshlrev_b32_e32 v17, 31, v21
	v_alignbit_b32 v18, v20, v16, 9
	v_or_b32_e32 v21, 0.5, v17
	v_lshrrev_b32_e32 v20, 9, v20
	v_or_b32_e32 v17, 0x33000000, v17
	v_ffbh_u32_e32 v24, v18
	v_sub_nc_u32_e32 v21, v21, v23
	v_min_u32_e32 v23, 32, v24
	v_or_b32_e32 v20, v20, v21
	v_not_b32_e32 v21, v23
	v_mul_f32_e32 v24, 0x3fc90fda, v20
	v_add_lshl_u32 v22, v23, v22, 23
	v_alignbit_b32 v16, v18, v16, v21
	v_fma_f32 v18, 0x3fc90fda, v20, -v24
	v_sub_nc_u32_e32 v17, v17, v22
	v_lshrrev_b32_e32 v16, 9, v16
	v_fmamk_f32 v18, v20, 0x33a22168, v18
	v_or_b32_e32 v16, v17, v16
	v_add_nc_u32_e32 v17, v19, v8
	v_fmac_f32_e32 v18, 0x3fc90fda, v16
	v_add_f32_e32 v16, v24, v18
.LBB35_1554:
	s_andn2_saveexec_b32 s0, s5
; %bb.1555:
	v_mul_f32_e64 v8, 0x3f22f983, |v9|
	v_rndne_f32_e32 v8, v8
	v_fma_f32 v16, 0xbfc90fda, v8, |v9|
	v_cvt_i32_f32_e32 v17, v8
	v_fmamk_f32 v16, v8, 0xb3a22168, v16
	v_fmamk_f32 v16, v8, 0xa7c234c4, v16
; %bb.1556:
	s_or_b32 exec_lo, exec_lo, s0
	v_add_co_u32 v7, s0, s10, v7
	v_add_co_ci_u32_e64 v8, null, s11, 0, s0
	s_cmp_lt_i32 s4, 11
	s_cbranch_scc1 .LBB35_1563
; %bb.1557:
	s_and_b32 s0, 0xffff, s4
	s_mov_b32 s5, 0
	s_cmp_gt_i32 s0, 25
	s_cbranch_scc0 .LBB35_1564
; %bb.1558:
	s_cmp_gt_i32 s0, 28
	s_cbranch_scc0 .LBB35_1565
; %bb.1559:
	;; [unrolled: 3-line block ×4, first 2 shown]
	s_cmp_eq_u32 s0, 46
	s_mov_b32 s7, 0
	s_cbranch_scc0 .LBB35_1569
; %bb.1562:
	global_load_dword v18, v[7:8], off
	s_mov_b32 s1, 0
	s_mov_b32 s6, -1
	s_branch .LBB35_1571
.LBB35_1563:
	s_mov_b32 s0, -1
	s_mov_b32 s6, 0
                                        ; implicit-def: $vgpr18
	s_branch .LBB35_1637
.LBB35_1564:
	s_mov_b32 s7, -1
	s_mov_b32 s6, 0
	s_mov_b32 s1, 0
                                        ; implicit-def: $vgpr18
	s_branch .LBB35_1600
.LBB35_1565:
	s_mov_b32 s7, -1
	s_mov_b32 s6, 0
	s_mov_b32 s1, 0
                                        ; implicit-def: $vgpr18
	s_branch .LBB35_1581
.LBB35_1566:
	s_mov_b32 s7, -1
	s_mov_b32 s6, 0
	s_mov_b32 s1, 0
                                        ; implicit-def: $vgpr18
	s_branch .LBB35_1576
.LBB35_1567:
	s_or_b32 s2, s2, exec_lo
	s_trap 2
	s_cbranch_execz .LBB35_1502
	s_branch .LBB35_1503
.LBB35_1568:
	s_mov_b32 s7, -1
	s_mov_b32 s6, 0
	s_mov_b32 s1, 0
	s_branch .LBB35_1570
.LBB35_1569:
	s_mov_b32 s1, -1
	s_mov_b32 s6, 0
.LBB35_1570:
                                        ; implicit-def: $vgpr18
.LBB35_1571:
	s_and_b32 vcc_lo, exec_lo, s7
	s_cbranch_vccz .LBB35_1575
; %bb.1572:
	s_cmp_eq_u32 s0, 44
	s_cbranch_scc0 .LBB35_1574
; %bb.1573:
	global_load_ubyte v18, v[7:8], off
	s_mov_b32 s1, 0
	s_mov_b32 s6, -1
	s_waitcnt vmcnt(0)
	v_lshlrev_b32_e32 v19, 23, v18
	v_cmp_ne_u32_e32 vcc_lo, 0xff, v18
	v_cndmask_b32_e32 v19, 0x7f800001, v19, vcc_lo
	v_cmp_ne_u32_e32 vcc_lo, 0, v18
	v_cndmask_b32_e32 v18, 0x400000, v19, vcc_lo
	v_mov_b32_e32 v19, 0x7fc0
	v_cmp_o_f32_e32 vcc_lo, v18, v18
	v_add_nc_u32_e32 v18, 0x7fff, v18
	v_cndmask_b32_sdwa v18, v19, v18, vcc_lo dst_sel:DWORD dst_unused:UNUSED_PAD src0_sel:DWORD src1_sel:WORD_1
	s_branch .LBB35_1575
.LBB35_1574:
	s_mov_b32 s1, -1
                                        ; implicit-def: $vgpr18
.LBB35_1575:
	s_mov_b32 s7, 0
.LBB35_1576:
	s_and_b32 vcc_lo, exec_lo, s7
	s_cbranch_vccz .LBB35_1580
; %bb.1577:
	s_cmp_eq_u32 s0, 29
	s_cbranch_scc0 .LBB35_1579
; %bb.1578:
	global_load_dwordx2 v[18:19], v[7:8], off
	s_mov_b32 s1, 0
	s_mov_b32 s6, -1
	s_mov_b32 s7, 0
	s_waitcnt vmcnt(0)
	v_ffbh_u32_e32 v20, v19
	v_min_u32_e32 v20, 32, v20
	v_lshlrev_b64 v[18:19], v20, v[18:19]
	v_min_u32_e32 v18, 1, v18
	v_or_b32_e32 v18, v19, v18
	v_sub_nc_u32_e32 v19, 32, v20
	v_cvt_f32_u32_e32 v18, v18
	v_ldexp_f32 v18, v18, v19
	v_bfe_u32 v19, v18, 16, 1
	v_add3_u32 v18, v18, v19, 0x7fff
	v_lshrrev_b32_e32 v18, 16, v18
	s_branch .LBB35_1581
.LBB35_1579:
	s_mov_b32 s1, -1
                                        ; implicit-def: $vgpr18
.LBB35_1580:
	s_mov_b32 s7, 0
.LBB35_1581:
	s_and_b32 vcc_lo, exec_lo, s7
	s_cbranch_vccz .LBB35_1599
; %bb.1582:
	s_cmp_lt_i32 s0, 27
	s_cbranch_scc1 .LBB35_1585
; %bb.1583:
	s_cmp_gt_i32 s0, 27
	s_cbranch_scc0 .LBB35_1586
; %bb.1584:
	global_load_dword v18, v[7:8], off
	s_mov_b32 s6, 0
	s_waitcnt vmcnt(0)
	v_cvt_f32_u32_e32 v18, v18
	v_bfe_u32 v19, v18, 16, 1
	v_add3_u32 v18, v18, v19, 0x7fff
	v_lshrrev_b32_e32 v18, 16, v18
	s_branch .LBB35_1587
.LBB35_1585:
	s_mov_b32 s6, -1
                                        ; implicit-def: $vgpr18
	s_branch .LBB35_1590
.LBB35_1586:
	s_mov_b32 s6, -1
                                        ; implicit-def: $vgpr18
.LBB35_1587:
	s_andn2_b32 vcc_lo, exec_lo, s6
	s_cbranch_vccnz .LBB35_1589
; %bb.1588:
	global_load_ushort v18, v[7:8], off
	s_waitcnt vmcnt(0)
	v_cvt_f32_u32_e32 v18, v18
	v_bfe_u32 v19, v18, 16, 1
	v_add3_u32 v18, v18, v19, 0x7fff
	v_lshrrev_b32_e32 v18, 16, v18
.LBB35_1589:
	s_mov_b32 s6, 0
.LBB35_1590:
	s_andn2_b32 vcc_lo, exec_lo, s6
	s_cbranch_vccnz .LBB35_1598
; %bb.1591:
	global_load_ubyte v18, v[7:8], off
	s_mov_b32 s6, 0
	s_mov_b32 s7, exec_lo
	s_waitcnt vmcnt(0)
	v_cmpx_lt_i16_e32 0x7f, v18
	s_xor_b32 s7, exec_lo, s7
	s_cbranch_execz .LBB35_1612
; %bb.1592:
	s_mov_b32 s6, -1
	s_mov_b32 s10, exec_lo
	v_cmpx_eq_u16_e32 0x80, v18
; %bb.1593:
	s_xor_b32 s6, exec_lo, -1
; %bb.1594:
	s_or_b32 exec_lo, exec_lo, s10
	s_and_b32 s6, s6, exec_lo
	s_or_saveexec_b32 s7, s7
	v_mov_b32_e32 v19, 0x7f800001
	s_xor_b32 exec_lo, exec_lo, s7
	s_cbranch_execnz .LBB35_1613
.LBB35_1595:
	s_or_b32 exec_lo, exec_lo, s7
	s_and_saveexec_b32 s7, s6
	s_cbranch_execz .LBB35_1597
.LBB35_1596:
	v_and_b32_e32 v19, 0xffff, v18
	v_lshlrev_b32_e32 v18, 24, v18
	v_and_b32_e32 v20, 7, v19
	v_bfe_u32 v23, v19, 3, 4
	v_and_b32_e32 v18, 0x80000000, v18
	v_ffbh_u32_e32 v21, v20
	v_cmp_eq_u32_e32 vcc_lo, 0, v23
	v_min_u32_e32 v21, 32, v21
	v_subrev_nc_u32_e32 v22, 28, v21
	v_sub_nc_u32_e32 v21, 29, v21
	v_lshlrev_b32_e32 v19, v22, v19
	v_cndmask_b32_e32 v21, v23, v21, vcc_lo
	v_and_b32_e32 v19, 7, v19
	v_cndmask_b32_e32 v19, v20, v19, vcc_lo
	v_lshl_add_u32 v20, v21, 23, 0x3b800000
	v_lshlrev_b32_e32 v19, 20, v19
	v_or3_b32 v19, v18, v20, v19
.LBB35_1597:
	s_or_b32 exec_lo, exec_lo, s7
	v_bfe_u32 v18, v19, 16, 1
	v_cmp_o_f32_e32 vcc_lo, v19, v19
	v_add3_u32 v18, v19, v18, 0x7fff
	v_mov_b32_e32 v19, 0x7fc0
	v_cndmask_b32_sdwa v18, v19, v18, vcc_lo dst_sel:DWORD dst_unused:UNUSED_PAD src0_sel:DWORD src1_sel:WORD_1
.LBB35_1598:
	s_mov_b32 s6, -1
.LBB35_1599:
	s_mov_b32 s7, 0
.LBB35_1600:
	s_and_b32 vcc_lo, exec_lo, s7
	s_cbranch_vccz .LBB35_1633
; %bb.1601:
	s_cmp_gt_i32 s0, 22
	s_cbranch_scc0 .LBB35_1611
; %bb.1602:
	s_cmp_lt_i32 s0, 24
	s_cbranch_scc1 .LBB35_1614
; %bb.1603:
	s_cmp_gt_i32 s0, 24
	s_cbranch_scc0 .LBB35_1615
; %bb.1604:
	global_load_ubyte v18, v[7:8], off
	s_mov_b32 s6, exec_lo
	s_waitcnt vmcnt(0)
	v_cmpx_lt_i16_e32 0x7f, v18
	s_xor_b32 s6, exec_lo, s6
	s_cbranch_execz .LBB35_1627
; %bb.1605:
	s_mov_b32 s5, -1
	s_mov_b32 s7, exec_lo
	v_cmpx_eq_u16_e32 0x80, v18
; %bb.1606:
	s_xor_b32 s5, exec_lo, -1
; %bb.1607:
	s_or_b32 exec_lo, exec_lo, s7
	s_and_b32 s5, s5, exec_lo
	s_or_saveexec_b32 s6, s6
	v_mov_b32_e32 v19, 0x7f800001
	s_xor_b32 exec_lo, exec_lo, s6
	s_cbranch_execnz .LBB35_1628
.LBB35_1608:
	s_or_b32 exec_lo, exec_lo, s6
	s_and_saveexec_b32 s6, s5
	s_cbranch_execz .LBB35_1610
.LBB35_1609:
	v_and_b32_e32 v19, 0xffff, v18
	v_lshlrev_b32_e32 v18, 24, v18
	v_and_b32_e32 v20, 3, v19
	v_bfe_u32 v23, v19, 2, 5
	v_and_b32_e32 v18, 0x80000000, v18
	v_ffbh_u32_e32 v21, v20
	v_cmp_eq_u32_e32 vcc_lo, 0, v23
	v_min_u32_e32 v21, 32, v21
	v_subrev_nc_u32_e32 v22, 29, v21
	v_sub_nc_u32_e32 v21, 30, v21
	v_lshlrev_b32_e32 v19, v22, v19
	v_cndmask_b32_e32 v21, v23, v21, vcc_lo
	v_and_b32_e32 v19, 3, v19
	v_cndmask_b32_e32 v19, v20, v19, vcc_lo
	v_lshl_add_u32 v20, v21, 23, 0x37800000
	v_lshlrev_b32_e32 v19, 21, v19
	v_or3_b32 v19, v18, v20, v19
.LBB35_1610:
	s_or_b32 exec_lo, exec_lo, s6
	v_bfe_u32 v18, v19, 16, 1
	v_cmp_o_f32_e32 vcc_lo, v19, v19
	s_mov_b32 s5, 0
	v_add3_u32 v18, v19, v18, 0x7fff
	v_mov_b32_e32 v19, 0x7fc0
	v_cndmask_b32_sdwa v18, v19, v18, vcc_lo dst_sel:DWORD dst_unused:UNUSED_PAD src0_sel:DWORD src1_sel:WORD_1
	s_branch .LBB35_1616
.LBB35_1611:
	s_mov_b32 s5, -1
                                        ; implicit-def: $vgpr18
	s_branch .LBB35_1622
.LBB35_1612:
	s_or_saveexec_b32 s7, s7
	v_mov_b32_e32 v19, 0x7f800001
	s_xor_b32 exec_lo, exec_lo, s7
	s_cbranch_execz .LBB35_1595
.LBB35_1613:
	v_cmp_ne_u16_e32 vcc_lo, 0, v18
	v_mov_b32_e32 v19, 0
	s_andn2_b32 s6, s6, exec_lo
	s_and_b32 s10, vcc_lo, exec_lo
	s_or_b32 s6, s6, s10
	s_or_b32 exec_lo, exec_lo, s7
	s_and_saveexec_b32 s7, s6
	s_cbranch_execnz .LBB35_1596
	s_branch .LBB35_1597
.LBB35_1614:
	s_mov_b32 s5, -1
                                        ; implicit-def: $vgpr18
	s_branch .LBB35_1619
.LBB35_1615:
	s_mov_b32 s5, -1
                                        ; implicit-def: $vgpr18
.LBB35_1616:
	s_and_b32 vcc_lo, exec_lo, s5
	s_cbranch_vccz .LBB35_1618
; %bb.1617:
	global_load_ubyte v18, v[7:8], off
	s_waitcnt vmcnt(0)
	v_lshlrev_b32_e32 v18, 24, v18
	v_and_b32_e32 v19, 0x7f000000, v18
	v_ffbh_u32_e32 v20, v19
	v_add_nc_u32_e32 v22, 0x1000000, v19
	v_cmp_ne_u32_e32 vcc_lo, 0, v19
	v_min_u32_e32 v20, 32, v20
	v_sub_nc_u32_e64 v20, v20, 4 clamp
	v_lshlrev_b32_e32 v21, v20, v19
	v_lshlrev_b32_e32 v20, 23, v20
	v_lshrrev_b32_e32 v21, 4, v21
	v_sub_nc_u32_e32 v20, v21, v20
	v_ashrrev_i32_e32 v21, 8, v22
	v_add_nc_u32_e32 v20, 0x3c000000, v20
	v_and_or_b32 v20, 0x7f800000, v21, v20
	v_cndmask_b32_e32 v19, 0, v20, vcc_lo
	v_and_or_b32 v18, 0x80000000, v18, v19
	v_bfe_u32 v19, v19, 16, 1
	v_cmp_o_f32_e32 vcc_lo, v18, v18
	v_add3_u32 v18, v18, v19, 0x7fff
	v_mov_b32_e32 v19, 0x7fc0
	v_cndmask_b32_sdwa v18, v19, v18, vcc_lo dst_sel:DWORD dst_unused:UNUSED_PAD src0_sel:DWORD src1_sel:WORD_1
.LBB35_1618:
	s_mov_b32 s5, 0
.LBB35_1619:
	s_andn2_b32 vcc_lo, exec_lo, s5
	s_cbranch_vccnz .LBB35_1621
; %bb.1620:
	global_load_ubyte v18, v[7:8], off
	s_waitcnt vmcnt(0)
	v_lshlrev_b32_e32 v19, 25, v18
	v_lshlrev_b16 v18, 8, v18
	v_lshrrev_b32_e32 v20, 4, v19
	v_and_or_b32 v21, 0x7f00, v18, 0.5
	v_cmp_gt_u32_e32 vcc_lo, 0x8000000, v19
	v_bfe_i32 v18, v18, 0, 16
	v_or_b32_e32 v20, 0x70000000, v20
	v_add_f32_e32 v21, -0.5, v21
	v_mul_f32_e32 v20, 0x7800000, v20
	v_cndmask_b32_e32 v19, v20, v21, vcc_lo
	v_and_or_b32 v18, 0x80000000, v18, v19
	v_bfe_u32 v19, v19, 16, 1
	v_cmp_o_f32_e32 vcc_lo, v18, v18
	v_add3_u32 v18, v18, v19, 0x7fff
	v_mov_b32_e32 v19, 0x7fc0
	v_cndmask_b32_sdwa v18, v19, v18, vcc_lo dst_sel:DWORD dst_unused:UNUSED_PAD src0_sel:DWORD src1_sel:WORD_1
.LBB35_1621:
	s_mov_b32 s5, 0
	s_mov_b32 s6, -1
.LBB35_1622:
	s_andn2_b32 vcc_lo, exec_lo, s5
	s_mov_b32 s5, 0
	s_cbranch_vccnz .LBB35_1633
; %bb.1623:
	s_cmp_gt_i32 s0, 14
	s_cbranch_scc0 .LBB35_1626
; %bb.1624:
	s_cmp_eq_u32 s0, 15
	s_cbranch_scc0 .LBB35_1629
; %bb.1625:
	global_load_ushort v18, v[7:8], off
	s_mov_b32 s1, 0
	s_mov_b32 s6, -1
	s_branch .LBB35_1631
.LBB35_1626:
	s_mov_b32 s5, -1
	s_branch .LBB35_1630
.LBB35_1627:
	s_or_saveexec_b32 s6, s6
	v_mov_b32_e32 v19, 0x7f800001
	s_xor_b32 exec_lo, exec_lo, s6
	s_cbranch_execz .LBB35_1608
.LBB35_1628:
	v_cmp_ne_u16_e32 vcc_lo, 0, v18
	v_mov_b32_e32 v19, 0
	s_andn2_b32 s5, s5, exec_lo
	s_and_b32 s7, vcc_lo, exec_lo
	s_or_b32 s5, s5, s7
	s_or_b32 exec_lo, exec_lo, s6
	s_and_saveexec_b32 s6, s5
	s_cbranch_execnz .LBB35_1609
	s_branch .LBB35_1610
.LBB35_1629:
	s_mov_b32 s1, -1
.LBB35_1630:
                                        ; implicit-def: $vgpr18
.LBB35_1631:
	s_and_b32 vcc_lo, exec_lo, s5
	s_mov_b32 s5, 0
	s_cbranch_vccz .LBB35_1633
; %bb.1632:
	s_cmp_lg_u32 s0, 11
	s_mov_b32 s5, -1
	s_cselect_b32 s1, -1, 0
.LBB35_1633:
	s_and_b32 vcc_lo, exec_lo, s1
	s_cbranch_vccnz .LBB35_2166
; %bb.1634:
	s_andn2_b32 vcc_lo, exec_lo, s5
	s_cbranch_vccnz .LBB35_1636
.LBB35_1635:
	global_load_ubyte v18, v[7:8], off
	s_mov_b32 s6, -1
	s_waitcnt vmcnt(0)
	v_cmp_ne_u16_e32 vcc_lo, 0, v18
	v_cndmask_b32_e64 v18, 0, 1.0, vcc_lo
	v_lshrrev_b32_e32 v18, 16, v18
.LBB35_1636:
	s_mov_b32 s0, 0
.LBB35_1637:
	s_and_b32 vcc_lo, exec_lo, s0
	s_cbranch_vccz .LBB35_1686
; %bb.1638:
	s_and_b32 s0, 0xffff, s4
	s_cmp_lt_i32 s0, 5
	s_cbranch_scc1 .LBB35_1643
; %bb.1639:
	s_cmp_lt_i32 s0, 8
	s_cbranch_scc1 .LBB35_1644
; %bb.1640:
	;; [unrolled: 3-line block ×3, first 2 shown]
	s_cmp_gt_i32 s0, 9
	s_cbranch_scc0 .LBB35_1646
; %bb.1642:
	global_load_dwordx2 v[18:19], v[7:8], off
	s_mov_b32 s1, 0
	s_waitcnt vmcnt(0)
	v_cvt_f32_f64_e32 v18, v[18:19]
	v_bfe_u32 v19, v18, 16, 1
	v_cmp_o_f32_e32 vcc_lo, v18, v18
	v_add3_u32 v18, v18, v19, 0x7fff
	v_mov_b32_e32 v19, 0x7fc0
	v_cndmask_b32_sdwa v18, v19, v18, vcc_lo dst_sel:DWORD dst_unused:UNUSED_PAD src0_sel:DWORD src1_sel:WORD_1
	s_branch .LBB35_1647
.LBB35_1643:
	s_mov_b32 s1, -1
                                        ; implicit-def: $vgpr18
	s_branch .LBB35_1665
.LBB35_1644:
	s_mov_b32 s1, -1
                                        ; implicit-def: $vgpr18
	s_branch .LBB35_1653
.LBB35_1645:
	s_mov_b32 s1, -1
                                        ; implicit-def: $vgpr18
	s_branch .LBB35_1650
.LBB35_1646:
	s_mov_b32 s1, -1
                                        ; implicit-def: $vgpr18
.LBB35_1647:
	s_andn2_b32 vcc_lo, exec_lo, s1
	s_cbranch_vccnz .LBB35_1649
; %bb.1648:
	global_load_dword v18, v[7:8], off
	s_waitcnt vmcnt(0)
	v_bfe_u32 v19, v18, 16, 1
	v_cmp_o_f32_e32 vcc_lo, v18, v18
	v_add3_u32 v18, v18, v19, 0x7fff
	v_mov_b32_e32 v19, 0x7fc0
	v_cndmask_b32_sdwa v18, v19, v18, vcc_lo dst_sel:DWORD dst_unused:UNUSED_PAD src0_sel:DWORD src1_sel:WORD_1
.LBB35_1649:
	s_mov_b32 s1, 0
.LBB35_1650:
	s_andn2_b32 vcc_lo, exec_lo, s1
	s_cbranch_vccnz .LBB35_1652
; %bb.1651:
	global_load_dword v18, v[7:8], off
	s_waitcnt vmcnt(0)
	v_cvt_f32_f16_e32 v19, v18
	v_cmp_o_f16_e32 vcc_lo, v18, v18
	v_bfe_u32 v20, v19, 16, 1
	v_add3_u32 v18, v19, v20, 0x7fff
	v_mov_b32_e32 v19, 0x7fc0
	v_cndmask_b32_sdwa v18, v19, v18, vcc_lo dst_sel:DWORD dst_unused:UNUSED_PAD src0_sel:DWORD src1_sel:WORD_1
.LBB35_1652:
	s_mov_b32 s1, 0
.LBB35_1653:
	s_andn2_b32 vcc_lo, exec_lo, s1
	s_cbranch_vccnz .LBB35_1664
; %bb.1654:
	s_cmp_lt_i32 s0, 6
	s_cbranch_scc1 .LBB35_1657
; %bb.1655:
	s_cmp_gt_i32 s0, 6
	s_cbranch_scc0 .LBB35_1658
; %bb.1656:
	global_load_dwordx2 v[18:19], v[7:8], off
	s_mov_b32 s1, 0
	s_waitcnt vmcnt(0)
	v_cvt_f32_f64_e32 v18, v[18:19]
	v_bfe_u32 v19, v18, 16, 1
	v_cmp_o_f32_e32 vcc_lo, v18, v18
	v_add3_u32 v18, v18, v19, 0x7fff
	v_mov_b32_e32 v19, 0x7fc0
	v_cndmask_b32_sdwa v18, v19, v18, vcc_lo dst_sel:DWORD dst_unused:UNUSED_PAD src0_sel:DWORD src1_sel:WORD_1
	s_branch .LBB35_1659
.LBB35_1657:
	s_mov_b32 s1, -1
                                        ; implicit-def: $vgpr18
	s_branch .LBB35_1662
.LBB35_1658:
	s_mov_b32 s1, -1
                                        ; implicit-def: $vgpr18
.LBB35_1659:
	s_andn2_b32 vcc_lo, exec_lo, s1
	s_cbranch_vccnz .LBB35_1661
; %bb.1660:
	global_load_dword v18, v[7:8], off
	s_waitcnt vmcnt(0)
	v_bfe_u32 v19, v18, 16, 1
	v_cmp_o_f32_e32 vcc_lo, v18, v18
	v_add3_u32 v18, v18, v19, 0x7fff
	v_mov_b32_e32 v19, 0x7fc0
	v_cndmask_b32_sdwa v18, v19, v18, vcc_lo dst_sel:DWORD dst_unused:UNUSED_PAD src0_sel:DWORD src1_sel:WORD_1
.LBB35_1661:
	s_mov_b32 s1, 0
.LBB35_1662:
	s_andn2_b32 vcc_lo, exec_lo, s1
	s_cbranch_vccnz .LBB35_1664
; %bb.1663:
	global_load_ushort v18, v[7:8], off
	s_waitcnt vmcnt(0)
	v_cvt_f32_f16_e32 v19, v18
	v_cmp_o_f16_e32 vcc_lo, v18, v18
	v_bfe_u32 v20, v19, 16, 1
	v_add3_u32 v18, v19, v20, 0x7fff
	v_mov_b32_e32 v19, 0x7fc0
	v_cndmask_b32_sdwa v18, v19, v18, vcc_lo dst_sel:DWORD dst_unused:UNUSED_PAD src0_sel:DWORD src1_sel:WORD_1
.LBB35_1664:
	s_mov_b32 s1, 0
.LBB35_1665:
	s_andn2_b32 vcc_lo, exec_lo, s1
	s_cbranch_vccnz .LBB35_1685
; %bb.1666:
	s_cmp_lt_i32 s0, 2
	s_cbranch_scc1 .LBB35_1670
; %bb.1667:
	s_cmp_lt_i32 s0, 3
	s_cbranch_scc1 .LBB35_1671
; %bb.1668:
	s_cmp_gt_i32 s0, 3
	s_cbranch_scc0 .LBB35_1672
; %bb.1669:
	global_load_dwordx2 v[18:19], v[7:8], off
	s_mov_b32 s1, 0
	s_waitcnt vmcnt(0)
	v_xor_b32_e32 v20, v18, v19
	v_ffbh_i32_e32 v21, v19
	v_ashrrev_i32_e32 v20, 31, v20
	v_add_nc_u32_e32 v21, -1, v21
	v_add_nc_u32_e32 v20, 32, v20
	v_min_u32_e32 v20, v21, v20
	v_lshlrev_b64 v[18:19], v20, v[18:19]
	v_min_u32_e32 v18, 1, v18
	v_or_b32_e32 v18, v19, v18
	v_sub_nc_u32_e32 v19, 32, v20
	v_cvt_f32_i32_e32 v18, v18
	v_ldexp_f32 v18, v18, v19
	v_bfe_u32 v19, v18, 16, 1
	v_add3_u32 v18, v18, v19, 0x7fff
	v_lshrrev_b32_e32 v18, 16, v18
	s_branch .LBB35_1673
.LBB35_1670:
	s_mov_b32 s1, -1
                                        ; implicit-def: $vgpr18
	s_branch .LBB35_1679
.LBB35_1671:
	s_mov_b32 s1, -1
                                        ; implicit-def: $vgpr18
	s_branch .LBB35_1676
.LBB35_1672:
	s_mov_b32 s1, -1
                                        ; implicit-def: $vgpr18
.LBB35_1673:
	s_andn2_b32 vcc_lo, exec_lo, s1
	s_cbranch_vccnz .LBB35_1675
; %bb.1674:
	global_load_dword v18, v[7:8], off
	s_waitcnt vmcnt(0)
	v_cvt_f32_i32_e32 v18, v18
	v_bfe_u32 v19, v18, 16, 1
	v_add3_u32 v18, v18, v19, 0x7fff
	v_lshrrev_b32_e32 v18, 16, v18
.LBB35_1675:
	s_mov_b32 s1, 0
.LBB35_1676:
	s_andn2_b32 vcc_lo, exec_lo, s1
	s_cbranch_vccnz .LBB35_1678
; %bb.1677:
	global_load_sshort v18, v[7:8], off
	s_waitcnt vmcnt(0)
	v_cvt_f32_i32_e32 v18, v18
	v_bfe_u32 v19, v18, 16, 1
	v_add3_u32 v18, v18, v19, 0x7fff
	v_lshrrev_b32_e32 v18, 16, v18
.LBB35_1678:
	s_mov_b32 s1, 0
.LBB35_1679:
	s_andn2_b32 vcc_lo, exec_lo, s1
	s_cbranch_vccnz .LBB35_1685
; %bb.1680:
	s_cmp_gt_i32 s0, 0
	s_mov_b32 s0, 0
	s_cbranch_scc0 .LBB35_1682
; %bb.1681:
	global_load_sbyte v18, v[7:8], off
	s_waitcnt vmcnt(0)
	v_cvt_f32_i32_e32 v18, v18
	v_bfe_u32 v19, v18, 16, 1
	v_add3_u32 v18, v18, v19, 0x7fff
	v_lshrrev_b32_e32 v18, 16, v18
	s_branch .LBB35_1683
.LBB35_1682:
	s_mov_b32 s0, -1
                                        ; implicit-def: $vgpr18
.LBB35_1683:
	s_andn2_b32 vcc_lo, exec_lo, s0
	s_cbranch_vccnz .LBB35_1685
; %bb.1684:
	global_load_ubyte v7, v[7:8], off
	s_waitcnt vmcnt(0)
	v_cvt_f32_ubyte0_e32 v7, v7
	v_bfe_u32 v8, v7, 16, 1
	v_add3_u32 v7, v7, v8, 0x7fff
	v_lshrrev_b32_e32 v18, 16, v7
.LBB35_1685:
	s_mov_b32 s6, -1
.LBB35_1686:
	s_andn2_b32 vcc_lo, exec_lo, s6
	s_cbranch_vccnz .LBB35_2121
; %bb.1687:
	s_waitcnt vmcnt(0)
	v_lshlrev_b32_e32 v7, 16, v18
                                        ; implicit-def: $vgpr19
                                        ; implicit-def: $vgpr18
	s_mov_b32 s1, exec_lo
	v_and_b32_e32 v8, 0x7fffffff, v7
	v_cmpx_ngt_f32_e64 0x48000000, |v7|
	s_xor_b32 s4, exec_lo, s1
	s_cbranch_execz .LBB35_1689
; %bb.1688:
	s_mov_b32 s0, 0x7fffff
	v_mov_b32_e32 v20, 0
	v_and_or_b32 v27, v8, s0, 0x800000
	v_lshrrev_b32_e32 v25, 23, v8
	v_mad_u64_u32 v[18:19], null, 0xfe5163ab, v27, 0
	v_add_nc_u32_e32 v26, 0xffffff88, v25
	v_cmp_lt_u32_e32 vcc_lo, 63, v26
	v_mad_u64_u32 v[21:22], null, 0x3c439041, v27, v[19:20]
	v_cndmask_b32_e64 v28, 0, 0xffffffc0, vcc_lo
	v_mov_b32_e32 v19, v22
	v_add_nc_u32_e32 v28, v28, v26
	v_mad_u64_u32 v[22:23], null, 0xdb629599, v27, v[19:20]
	v_cmp_lt_u32_e64 s0, 31, v28
	v_cndmask_b32_e64 v29, 0, 0xffffffe0, s0
	v_mov_b32_e32 v19, v23
	v_cndmask_b32_e32 v18, v22, v18, vcc_lo
	v_mad_u64_u32 v[23:24], null, 0xf534ddc0, v27, v[19:20]
	v_mov_b32_e32 v19, v24
	v_cndmask_b32_e32 v21, v23, v21, vcc_lo
	v_mad_u64_u32 v[24:25], null, 0xfc2757d1, v27, v[19:20]
	v_cndmask_b32_e64 v18, v21, v18, s0
	v_mov_b32_e32 v19, v25
	v_mad_u64_u32 v[25:26], null, 0x4e441529, v27, v[19:20]
	v_mov_b32_e32 v19, v26
	v_add_nc_u32_e32 v26, v29, v28
	v_cndmask_b32_e32 v28, v25, v23, vcc_lo
	v_mad_u64_u32 v[19:20], null, 0xa2f9836e, v27, v[19:20]
	v_cmp_lt_u32_e64 s1, 31, v26
	v_cndmask_b32_e64 v27, 0, 0xffffffe0, s1
	v_cndmask_b32_e32 v19, v19, v24, vcc_lo
	v_cndmask_b32_e32 v20, v20, v25, vcc_lo
	;; [unrolled: 1-line block ×3, first 2 shown]
	v_add_nc_u32_e32 v25, v27, v26
	v_cndmask_b32_e64 v23, v19, v28, s0
	v_cndmask_b32_e64 v19, v20, v19, s0
	;; [unrolled: 1-line block ×4, first 2 shown]
	v_sub_nc_u32_e32 v26, 32, v25
	v_cmp_eq_u32_e32 vcc_lo, 0, v25
	v_cndmask_b32_e64 v19, v19, v23, s1
	v_cndmask_b32_e64 v23, v23, v20, s1
	;; [unrolled: 1-line block ×4, first 2 shown]
	v_alignbit_b32 v27, v19, v23, v26
	v_alignbit_b32 v22, v23, v20, v26
	;; [unrolled: 1-line block ×3, first 2 shown]
	v_cndmask_b32_e32 v19, v27, v19, vcc_lo
	v_cndmask_b32_e32 v21, v22, v23, vcc_lo
	;; [unrolled: 1-line block ×3, first 2 shown]
	v_bfe_u32 v22, v19, 29, 1
	v_alignbit_b32 v23, v19, v21, 30
	v_alignbit_b32 v21, v21, v20, 30
	;; [unrolled: 1-line block ×3, first 2 shown]
	v_sub_nc_u32_e32 v24, 0, v22
	v_xor_b32_e32 v23, v23, v24
	v_xor_b32_e32 v20, v21, v24
	;; [unrolled: 1-line block ×3, first 2 shown]
	v_lshrrev_b32_e32 v24, 29, v19
	v_lshrrev_b32_e32 v19, 30, v19
	v_ffbh_u32_e32 v25, v23
	v_add_nc_u32_e32 v19, v22, v19
	v_min_u32_e32 v25, 32, v25
	v_sub_nc_u32_e32 v21, 31, v25
	v_lshlrev_b32_e32 v26, 23, v25
	v_alignbit_b32 v23, v23, v20, v21
	v_alignbit_b32 v18, v20, v18, v21
	v_lshlrev_b32_e32 v20, 31, v24
	v_alignbit_b32 v21, v23, v18, 9
	v_or_b32_e32 v24, 0.5, v20
	v_lshrrev_b32_e32 v23, 9, v23
	v_or_b32_e32 v20, 0x33000000, v20
	v_ffbh_u32_e32 v27, v21
	v_sub_nc_u32_e32 v24, v24, v26
	v_min_u32_e32 v26, 32, v27
	v_or_b32_e32 v23, v23, v24
	v_not_b32_e32 v24, v26
	v_mul_f32_e32 v27, 0x3fc90fda, v23
	v_add_lshl_u32 v25, v26, v25, 23
	v_alignbit_b32 v18, v21, v18, v24
	v_fma_f32 v21, 0x3fc90fda, v23, -v27
	v_sub_nc_u32_e32 v20, v20, v25
	v_lshrrev_b32_e32 v18, 9, v18
	v_fmamk_f32 v21, v23, 0x33a22168, v21
	v_or_b32_e32 v18, v20, v18
	v_fmac_f32_e32 v21, 0x3fc90fda, v18
	v_add_f32_e32 v18, v27, v21
.LBB35_1689:
	s_andn2_saveexec_b32 s0, s4
; %bb.1690:
	v_mul_f32_e64 v18, 0x3f22f983, |v7|
	v_rndne_f32_e32 v19, v18
	v_fma_f32 v18, 0xbfc90fda, v19, |v7|
	v_fmamk_f32 v18, v19, 0xb3a22168, v18
	v_fmamk_f32 v18, v19, 0xa7c234c4, v18
	v_cvt_i32_f32_e32 v19, v19
; %bb.1691:
	s_or_b32 exec_lo, exec_lo, s0
	v_mul_f32_e32 v20, v5, v5
	s_mov_b32 s0, 0xb94c1982
	s_mov_b32 s1, 0x37d75334
	v_lshlrev_b32_e32 v23, 30, v12
	v_and_b32_e32 v12, 1, v12
	v_fmaak_f32 v21, s0, v20, 0x3c0881c4
	v_fmaak_f32 v22, s1, v20, 0xbab64f3b
	s_bfe_u32 s1, s3, 0x80008
	v_and_b32_e32 v23, 0x80000000, v23
	v_cmp_eq_u32_e32 vcc_lo, 0, v12
	v_fmaak_f32 v21, v20, v21, 0xbe2aaa9d
	v_fmaak_f32 v22, v20, v22, 0x3d2aabf7
	s_mov_b32 s6, 0
	v_xor_b32_e32 v3, v3, v23
	s_cmp_lt_i32 s1, 11
	v_mul_f32_e32 v21, v20, v21
	v_fmaak_f32 v22, v20, v22, 0xbf000004
	v_fmac_f32_e32 v5, v5, v21
	v_fma_f32 v20, v20, v22, 1.0
	v_cndmask_b32_e32 v5, v20, v5, vcc_lo
	v_cmp_class_f32_e64 vcc_lo, v1, 0x1f8
	v_xor3_b32 v3, v3, v5, v1
	v_mov_b32_e32 v5, 0x7fc0
	v_cndmask_b32_e32 v1, 0x7fc00000, v3, vcc_lo
	v_bfe_u32 v3, v1, 16, 1
	v_cmp_o_f32_e32 vcc_lo, v1, v1
	v_add3_u32 v1, v1, v3, 0x7fff
	v_cndmask_b32_sdwa v1, v5, v1, vcc_lo dst_sel:DWORD dst_unused:UNUSED_PAD src0_sel:DWORD src1_sel:WORD_1
	v_add_co_u32 v5, s0, s8, v6
	v_add_co_ci_u32_e64 v6, null, s9, 0, s0
	s_mov_b32 s0, -1
	s_cbranch_scc1 .LBB35_1770
; %bb.1692:
	s_and_b32 s4, 0xffff, s1
	s_mov_b32 s7, -1
	s_mov_b32 s5, 0
	s_cmp_gt_i32 s4, 25
	s_mov_b32 s0, 0
	s_cbranch_scc0 .LBB35_1725
; %bb.1693:
	s_cmp_gt_i32 s4, 28
	s_cbranch_scc0 .LBB35_1708
; %bb.1694:
	s_cmp_gt_i32 s4, 43
	;; [unrolled: 3-line block ×3, first 2 shown]
	s_cbranch_scc0 .LBB35_1698
; %bb.1696:
	s_mov_b32 s0, -1
	s_mov_b32 s7, 0
	s_cmp_eq_u32 s4, 46
	s_cbranch_scc0 .LBB35_1698
; %bb.1697:
	v_and_b32_e32 v3, 0xffff, v1
	s_mov_b32 s0, 0
	s_mov_b32 s6, -1
	global_store_dword v[5:6], v3, off
.LBB35_1698:
	s_and_b32 vcc_lo, exec_lo, s7
	s_cbranch_vccz .LBB35_1703
; %bb.1699:
	s_cmp_eq_u32 s4, 44
	s_mov_b32 s0, -1
	s_cbranch_scc0 .LBB35_1703
; %bb.1700:
	v_and_b32_e32 v3, 0xffff, v1
	v_mov_b32_e32 v12, 0xff
	s_mov_b32 s6, exec_lo
	v_bfe_u32 v20, v3, 7, 8
	v_cmpx_ne_u32_e32 0xff, v20
	s_cbranch_execz .LBB35_1702
; %bb.1701:
	v_lshlrev_b32_e32 v12, 16, v3
	v_and_b32_e32 v21, 64, v3
	v_lshrrev_b32_e32 v3, 7, v3
	v_and_or_b32 v12, 0x3f0000, v12, v20
	v_cmp_ne_u32_e32 vcc_lo, 0, v21
	v_cmp_ne_u32_e64 s0, 0, v12
	s_and_b32 s0, vcc_lo, s0
	v_cndmask_b32_e64 v12, 0, 1, s0
	v_add_nc_u32_e32 v12, v3, v12
.LBB35_1702:
	s_or_b32 exec_lo, exec_lo, s6
	s_mov_b32 s0, 0
	s_mov_b32 s6, -1
	global_store_byte v[5:6], v12, off
.LBB35_1703:
	s_mov_b32 s7, 0
.LBB35_1704:
	s_and_b32 vcc_lo, exec_lo, s7
	s_cbranch_vccz .LBB35_1707
; %bb.1705:
	s_cmp_eq_u32 s4, 29
	s_mov_b32 s0, -1
	s_cbranch_scc0 .LBB35_1707
; %bb.1706:
	v_lshlrev_b32_e32 v3, 16, v1
	s_mov_b32 s0, 0
	s_mov_b32 s6, -1
	v_trunc_f32_e32 v3, v3
	v_mul_f32_e32 v12, 0x2f800000, v3
	v_floor_f32_e32 v12, v12
	v_fmamk_f32 v3, v12, 0xcf800000, v3
	v_cvt_u32_f32_e32 v21, v12
	v_cvt_u32_f32_e32 v20, v3
	global_store_dwordx2 v[5:6], v[20:21], off
.LBB35_1707:
	s_mov_b32 s7, 0
.LBB35_1708:
	s_and_b32 vcc_lo, exec_lo, s7
	s_cbranch_vccz .LBB35_1724
; %bb.1709:
	s_cmp_lt_i32 s4, 27
	s_mov_b32 s6, -1
	s_cbranch_scc1 .LBB35_1715
; %bb.1710:
	s_cmp_gt_i32 s4, 27
	s_cbranch_scc0 .LBB35_1712
; %bb.1711:
	v_lshlrev_b32_e32 v3, 16, v1
	s_mov_b32 s6, 0
	v_cvt_u32_f32_e32 v3, v3
	global_store_dword v[5:6], v3, off
.LBB35_1712:
	s_andn2_b32 vcc_lo, exec_lo, s6
	s_cbranch_vccnz .LBB35_1714
; %bb.1713:
	v_lshlrev_b32_e32 v3, 16, v1
	v_cvt_u32_f32_e32 v3, v3
	global_store_short v[5:6], v3, off
.LBB35_1714:
	s_mov_b32 s6, 0
.LBB35_1715:
	s_andn2_b32 vcc_lo, exec_lo, s6
	s_cbranch_vccnz .LBB35_1723
; %bb.1716:
	v_lshlrev_b32_e32 v20, 16, v1
	v_mov_b32_e32 v21, 0x80
	s_mov_b32 s6, exec_lo
	v_and_b32_e32 v12, 0x7fffffff, v20
	v_cmpx_gt_u32_e32 0x43800000, v12
	s_cbranch_execz .LBB35_1722
; %bb.1717:
	v_and_b32_e32 v3, 0xffff, v1
	v_cmp_lt_u32_e32 vcc_lo, 0x3bffffff, v12
	s_mov_b32 s7, 0
                                        ; implicit-def: $vgpr12
	s_and_saveexec_b32 s10, vcc_lo
	s_xor_b32 s10, exec_lo, s10
	s_cbranch_execz .LBB35_2167
; %bb.1718:
	v_bfe_u32 v12, v3, 4, 1
	s_mov_b32 s7, exec_lo
	v_add3_u32 v12, v20, v12, 0x487ffff
                                        ; implicit-def: $vgpr20
	v_lshrrev_b32_e32 v12, 20, v12
	s_andn2_saveexec_b32 s10, s10
	s_cbranch_execnz .LBB35_2168
.LBB35_1719:
	s_or_b32 exec_lo, exec_lo, s10
	v_mov_b32_e32 v21, 0
	s_and_saveexec_b32 s10, s7
.LBB35_1720:
	v_lshrrev_b32_e32 v3, 8, v3
	v_and_or_b32 v21, 0x80, v3, v12
.LBB35_1721:
	s_or_b32 exec_lo, exec_lo, s10
.LBB35_1722:
	s_or_b32 exec_lo, exec_lo, s6
	global_store_byte v[5:6], v21, off
.LBB35_1723:
	s_mov_b32 s6, -1
.LBB35_1724:
	s_mov_b32 s7, 0
.LBB35_1725:
	s_and_b32 vcc_lo, exec_lo, s7
	s_cbranch_vccz .LBB35_1765
; %bb.1726:
	s_cmp_gt_i32 s4, 22
	s_mov_b32 s5, -1
	s_cbranch_scc0 .LBB35_1758
; %bb.1727:
	s_cmp_lt_i32 s4, 24
	s_cbranch_scc1 .LBB35_1747
; %bb.1728:
	s_cmp_gt_i32 s4, 24
	s_cbranch_scc0 .LBB35_1736
; %bb.1729:
	v_lshlrev_b32_e32 v20, 16, v1
	v_mov_b32_e32 v21, 0x80
	s_mov_b32 s5, exec_lo
	v_and_b32_e32 v12, 0x7fffffff, v20
	v_cmpx_gt_u32_e32 0x47800000, v12
	s_cbranch_execz .LBB35_1735
; %bb.1730:
	v_and_b32_e32 v3, 0xffff, v1
	v_cmp_lt_u32_e32 vcc_lo, 0x37ffffff, v12
	s_mov_b32 s6, 0
                                        ; implicit-def: $vgpr12
	s_and_saveexec_b32 s7, vcc_lo
	s_xor_b32 s7, exec_lo, s7
	s_cbranch_execz .LBB35_2170
; %bb.1731:
	v_bfe_u32 v12, v3, 5, 1
	s_mov_b32 s6, exec_lo
	v_add3_u32 v12, v20, v12, 0x88fffff
                                        ; implicit-def: $vgpr20
	v_lshrrev_b32_e32 v12, 21, v12
	s_andn2_saveexec_b32 s7, s7
	s_cbranch_execnz .LBB35_2171
.LBB35_1732:
	s_or_b32 exec_lo, exec_lo, s7
	v_mov_b32_e32 v21, 0
	s_and_saveexec_b32 s7, s6
.LBB35_1733:
	v_lshrrev_b32_e32 v3, 8, v3
	v_and_or_b32 v21, 0x80, v3, v12
.LBB35_1734:
	s_or_b32 exec_lo, exec_lo, s7
.LBB35_1735:
	s_or_b32 exec_lo, exec_lo, s5
	s_mov_b32 s5, 0
	global_store_byte v[5:6], v21, off
.LBB35_1736:
	s_and_b32 vcc_lo, exec_lo, s5
	s_cbranch_vccz .LBB35_1746
; %bb.1737:
	v_lshlrev_b32_e32 v20, 16, v1
	v_and_b32_e32 v3, 0xffff, v1
	s_mov_b32 s5, exec_lo
                                        ; implicit-def: $vgpr12
	v_and_b32_e32 v21, 0x7fffffff, v20
	v_cmpx_gt_u32_e32 0x43f00000, v21
	s_xor_b32 s5, exec_lo, s5
	s_cbranch_execz .LBB35_1743
; %bb.1738:
	s_mov_b32 s6, exec_lo
                                        ; implicit-def: $vgpr12
	v_cmpx_lt_u32_e32 0x3c7fffff, v21
	s_xor_b32 s6, exec_lo, s6
; %bb.1739:
	v_bfe_u32 v12, v3, 4, 1
	v_add3_u32 v12, v20, v12, 0x407ffff
	v_and_b32_e32 v20, 0xff00000, v12
	v_lshrrev_b32_e32 v12, 20, v12
	v_cmp_ne_u32_e32 vcc_lo, 0x7f00000, v20
                                        ; implicit-def: $vgpr20
	v_cndmask_b32_e32 v12, 0x7e, v12, vcc_lo
; %bb.1740:
	s_andn2_saveexec_b32 s6, s6
; %bb.1741:
	v_add_f32_e64 v12, 0x46800000, |v20|
; %bb.1742:
	s_or_b32 exec_lo, exec_lo, s6
                                        ; implicit-def: $vgpr21
.LBB35_1743:
	s_andn2_saveexec_b32 s5, s5
; %bb.1744:
	v_mov_b32_e32 v12, 0x7f
	v_cmp_lt_u32_e32 vcc_lo, 0x7f800000, v21
	v_cndmask_b32_e32 v12, 0x7e, v12, vcc_lo
; %bb.1745:
	s_or_b32 exec_lo, exec_lo, s5
	v_lshrrev_b32_e32 v3, 8, v3
	v_and_or_b32 v3, 0x80, v3, v12
	global_store_byte v[5:6], v3, off
.LBB35_1746:
	s_mov_b32 s5, 0
.LBB35_1747:
	s_andn2_b32 vcc_lo, exec_lo, s5
	s_cbranch_vccnz .LBB35_1757
; %bb.1748:
	v_lshlrev_b32_e32 v20, 16, v1
	v_and_b32_e32 v3, 0xffff, v1
	s_mov_b32 s5, exec_lo
                                        ; implicit-def: $vgpr12
	v_and_b32_e32 v21, 0x7fffffff, v20
	v_cmpx_gt_u32_e32 0x47800000, v21
	s_xor_b32 s5, exec_lo, s5
	s_cbranch_execz .LBB35_1754
; %bb.1749:
	s_mov_b32 s6, exec_lo
                                        ; implicit-def: $vgpr12
	v_cmpx_lt_u32_e32 0x387fffff, v21
	s_xor_b32 s6, exec_lo, s6
; %bb.1750:
	v_bfe_u32 v12, v3, 5, 1
	v_add3_u32 v12, v20, v12, 0x80fffff
                                        ; implicit-def: $vgpr20
	v_lshrrev_b32_e32 v12, 21, v12
; %bb.1751:
	s_andn2_saveexec_b32 s6, s6
; %bb.1752:
	v_add_f32_e64 v12, 0x43000000, |v20|
; %bb.1753:
	s_or_b32 exec_lo, exec_lo, s6
                                        ; implicit-def: $vgpr21
.LBB35_1754:
	s_andn2_saveexec_b32 s5, s5
; %bb.1755:
	v_mov_b32_e32 v12, 0x7f
	v_cmp_lt_u32_e32 vcc_lo, 0x7f800000, v21
	v_cndmask_b32_e32 v12, 0x7c, v12, vcc_lo
; %bb.1756:
	s_or_b32 exec_lo, exec_lo, s5
	v_lshrrev_b32_e32 v3, 8, v3
	v_and_or_b32 v3, 0x80, v3, v12
	global_store_byte v[5:6], v3, off
.LBB35_1757:
	s_mov_b32 s5, 0
	s_mov_b32 s6, -1
.LBB35_1758:
	s_andn2_b32 vcc_lo, exec_lo, s5
	s_mov_b32 s5, 0
	s_cbranch_vccnz .LBB35_1765
; %bb.1759:
	s_cmp_gt_i32 s4, 14
	s_mov_b32 s5, -1
	s_cbranch_scc0 .LBB35_1763
; %bb.1760:
	s_cmp_eq_u32 s4, 15
	s_mov_b32 s0, -1
	s_cbranch_scc0 .LBB35_1762
; %bb.1761:
	s_mov_b32 s0, 0
	s_mov_b32 s6, -1
	global_store_short v[5:6], v1, off
.LBB35_1762:
	s_mov_b32 s5, 0
.LBB35_1763:
	s_and_b32 vcc_lo, exec_lo, s5
	s_mov_b32 s5, 0
	s_cbranch_vccz .LBB35_1765
; %bb.1764:
	s_cmp_lg_u32 s4, 11
	s_mov_b32 s5, -1
	s_cselect_b32 s0, -1, 0
.LBB35_1765:
	s_and_b32 vcc_lo, exec_lo, s0
	s_cbranch_vccnz .LBB35_2169
; %bb.1766:
	s_andn2_b32 vcc_lo, exec_lo, s5
	s_cbranch_vccnz .LBB35_1768
.LBB35_1767:
	v_and_b32_e32 v3, 0x7fff, v1
	s_mov_b32 s6, -1
	v_cmp_ne_u16_e32 vcc_lo, 0, v3
	v_cndmask_b32_e64 v3, 0, 1, vcc_lo
	global_store_byte v[5:6], v3, off
.LBB35_1768:
.LBB35_1769:
	s_andn2_b32 vcc_lo, exec_lo, s6
	s_cbranch_vccz .LBB35_1809
	s_branch .LBB35_2121
.LBB35_1770:
	s_and_b32 vcc_lo, exec_lo, s0
	s_cbranch_vccz .LBB35_1769
; %bb.1771:
	s_and_b32 s0, 0xffff, s1
	s_mov_b32 s1, -1
	s_cmp_lt_i32 s0, 5
	s_cbranch_scc1 .LBB35_1792
; %bb.1772:
	s_cmp_lt_i32 s0, 8
	s_cbranch_scc1 .LBB35_1782
; %bb.1773:
	;; [unrolled: 3-line block ×3, first 2 shown]
	s_cmp_gt_i32 s0, 9
	s_cbranch_scc0 .LBB35_1776
; %bb.1775:
	v_lshlrev_b32_e32 v3, 16, v1
	v_mov_b32_e32 v22, 0
	s_mov_b32 s1, 0
	v_cvt_f64_f32_e32 v[20:21], v3
	v_mov_b32_e32 v23, v22
	global_store_dwordx4 v[5:6], v[20:23], off
.LBB35_1776:
	s_andn2_b32 vcc_lo, exec_lo, s1
	s_cbranch_vccnz .LBB35_1778
; %bb.1777:
	v_lshlrev_b32_e32 v20, 16, v1
	v_mov_b32_e32 v21, 0
	global_store_dwordx2 v[5:6], v[20:21], off
.LBB35_1778:
	s_mov_b32 s1, 0
.LBB35_1779:
	s_andn2_b32 vcc_lo, exec_lo, s1
	s_cbranch_vccnz .LBB35_1781
; %bb.1780:
	v_lshlrev_b32_e32 v3, 16, v1
	v_cvt_f16_f32_e32 v3, v3
	v_and_b32_e32 v3, 0xffff, v3
	global_store_dword v[5:6], v3, off
.LBB35_1781:
	s_mov_b32 s1, 0
.LBB35_1782:
	s_andn2_b32 vcc_lo, exec_lo, s1
	s_cbranch_vccnz .LBB35_1791
; %bb.1783:
	s_cmp_lt_i32 s0, 6
	s_mov_b32 s1, -1
	s_cbranch_scc1 .LBB35_1789
; %bb.1784:
	s_cmp_gt_i32 s0, 6
	s_cbranch_scc0 .LBB35_1786
; %bb.1785:
	v_lshlrev_b32_e32 v3, 16, v1
	s_mov_b32 s1, 0
	v_cvt_f64_f32_e32 v[20:21], v3
	global_store_dwordx2 v[5:6], v[20:21], off
.LBB35_1786:
	s_andn2_b32 vcc_lo, exec_lo, s1
	s_cbranch_vccnz .LBB35_1788
; %bb.1787:
	v_lshlrev_b32_e32 v3, 16, v1
	global_store_dword v[5:6], v3, off
.LBB35_1788:
	s_mov_b32 s1, 0
.LBB35_1789:
	s_andn2_b32 vcc_lo, exec_lo, s1
	s_cbranch_vccnz .LBB35_1791
; %bb.1790:
	v_lshlrev_b32_e32 v3, 16, v1
	v_cvt_f16_f32_e32 v3, v3
	global_store_short v[5:6], v3, off
.LBB35_1791:
	s_mov_b32 s1, 0
.LBB35_1792:
	s_andn2_b32 vcc_lo, exec_lo, s1
	s_cbranch_vccnz .LBB35_1808
; %bb.1793:
	s_cmp_lt_i32 s0, 2
	s_mov_b32 s1, -1
	s_cbranch_scc1 .LBB35_1803
; %bb.1794:
	s_cmp_lt_i32 s0, 3
	s_cbranch_scc1 .LBB35_1800
; %bb.1795:
	s_cmp_gt_i32 s0, 3
	s_cbranch_scc0 .LBB35_1797
; %bb.1796:
	v_lshlrev_b32_e32 v3, 16, v1
	s_mov_b32 s1, 0
	v_trunc_f32_e32 v3, v3
	v_mul_f32_e64 v12, 0x2f800000, |v3|
	v_floor_f32_e32 v12, v12
	v_fma_f32 v20, 0xcf800000, v12, |v3|
	v_ashrrev_i32_e32 v3, 31, v3
	v_cvt_u32_f32_e32 v12, v12
	v_cvt_u32_f32_e32 v20, v20
	v_xor_b32_e32 v12, v12, v3
	v_xor_b32_e32 v20, v20, v3
	v_sub_co_u32 v20, vcc_lo, v20, v3
	v_sub_co_ci_u32_e64 v21, null, v12, v3, vcc_lo
	global_store_dwordx2 v[5:6], v[20:21], off
.LBB35_1797:
	s_andn2_b32 vcc_lo, exec_lo, s1
	s_cbranch_vccnz .LBB35_1799
; %bb.1798:
	v_lshlrev_b32_e32 v3, 16, v1
	v_cvt_i32_f32_e32 v3, v3
	global_store_dword v[5:6], v3, off
.LBB35_1799:
	s_mov_b32 s1, 0
.LBB35_1800:
	s_andn2_b32 vcc_lo, exec_lo, s1
	s_cbranch_vccnz .LBB35_1802
; %bb.1801:
	v_lshlrev_b32_e32 v3, 16, v1
	v_cvt_i32_f32_e32 v3, v3
	global_store_short v[5:6], v3, off
.LBB35_1802:
	s_mov_b32 s1, 0
.LBB35_1803:
	s_andn2_b32 vcc_lo, exec_lo, s1
	s_cbranch_vccnz .LBB35_1808
; %bb.1804:
	v_lshlrev_b32_e32 v1, 16, v1
	s_cmp_gt_i32 s0, 0
	s_mov_b32 s0, -1
	s_cbranch_scc0 .LBB35_1806
; %bb.1805:
	v_cvt_i32_f32_e32 v3, v1
	s_mov_b32 s0, 0
	global_store_byte v[5:6], v3, off
.LBB35_1806:
	s_andn2_b32 vcc_lo, exec_lo, s0
	s_cbranch_vccnz .LBB35_1808
; %bb.1807:
	v_trunc_f32_e32 v1, v1
	v_mul_f32_e64 v3, 0x2f800000, |v1|
	v_floor_f32_e32 v3, v3
	v_fma_f32 v3, 0xcf800000, v3, |v1|
	v_ashrrev_i32_e32 v1, 31, v1
	v_cvt_u32_f32_e32 v3, v3
	v_xor_b32_e32 v3, v3, v1
	v_sub_nc_u32_e32 v1, v3, v1
	global_store_byte v[5:6], v1, off
.LBB35_1808:
.LBB35_1809:
	v_mul_f32_e32 v1, v13, v13
	s_mov_b32 s0, 0xb94c1982
	s_mov_b32 s1, 0x37d75334
	v_lshlrev_b32_e32 v6, 30, v14
	v_and_b32_e32 v12, 1, v14
	v_fmaak_f32 v3, s0, v1, 0x3c0881c4
	v_fmaak_f32 v5, s1, v1, 0xbab64f3b
	s_lshr_b32 s0, s3, 8
	v_and_b32_e32 v6, 0x80000000, v6
	v_cmp_eq_u32_e32 vcc_lo, 0, v12
	v_fmaak_f32 v3, v1, v3, 0xbe2aaa9d
	v_fmaak_f32 v5, v1, v5, 0x3d2aabf7
	s_and_b32 s1, s0, 0xff
	s_mov_b32 s5, 0
	s_cmp_lt_i32 s1, 11
	v_mul_f32_e32 v3, v1, v3
	v_fmaak_f32 v5, v1, v5, 0xbf000004
	v_fmac_f32_e32 v13, v13, v3
	v_fma_f32 v1, v1, v5, 1.0
	v_xor_b32_e32 v3, v11, v6
	v_mov_b32_e32 v5, 0x7fc0
	v_cndmask_b32_e32 v1, v1, v13, vcc_lo
	v_cmp_class_f32_e64 vcc_lo, v10, 0x1f8
	v_xor3_b32 v1, v3, v1, v10
	v_cndmask_b32_e32 v1, 0x7fc00000, v1, vcc_lo
	v_bfe_u32 v3, v1, 16, 1
	v_cmp_o_f32_e32 vcc_lo, v1, v1
	v_add3_u32 v1, v1, v3, 0x7fff
	v_add_co_u32 v3, s0, s8, v4
	v_add_co_ci_u32_e64 v4, null, s9, 0, s0
	v_cndmask_b32_sdwa v1, v5, v1, vcc_lo dst_sel:DWORD dst_unused:UNUSED_PAD src0_sel:DWORD src1_sel:WORD_1
	s_mov_b32 s0, -1
	s_cbranch_scc1 .LBB35_1888
; %bb.1810:
	s_and_b32 s3, 0xffff, s1
	s_mov_b32 s6, -1
	s_mov_b32 s4, 0
	s_cmp_gt_i32 s3, 25
	s_mov_b32 s0, 0
	s_cbranch_scc0 .LBB35_1843
; %bb.1811:
	s_cmp_gt_i32 s3, 28
	s_cbranch_scc0 .LBB35_1826
; %bb.1812:
	s_cmp_gt_i32 s3, 43
	;; [unrolled: 3-line block ×3, first 2 shown]
	s_cbranch_scc0 .LBB35_1816
; %bb.1814:
	s_mov_b32 s0, -1
	s_mov_b32 s6, 0
	s_cmp_eq_u32 s3, 46
	s_cbranch_scc0 .LBB35_1816
; %bb.1815:
	v_and_b32_e32 v5, 0xffff, v1
	s_mov_b32 s0, 0
	s_mov_b32 s5, -1
	global_store_dword v[3:4], v5, off
.LBB35_1816:
	s_and_b32 vcc_lo, exec_lo, s6
	s_cbranch_vccz .LBB35_1821
; %bb.1817:
	s_cmp_eq_u32 s3, 44
	s_mov_b32 s0, -1
	s_cbranch_scc0 .LBB35_1821
; %bb.1818:
	v_and_b32_e32 v5, 0xffff, v1
	v_mov_b32_e32 v6, 0xff
	s_mov_b32 s5, exec_lo
	v_bfe_u32 v10, v5, 7, 8
	v_cmpx_ne_u32_e32 0xff, v10
	s_cbranch_execz .LBB35_1820
; %bb.1819:
	v_lshlrev_b32_e32 v6, 16, v5
	v_and_b32_e32 v11, 64, v5
	v_lshrrev_b32_e32 v5, 7, v5
	v_and_or_b32 v6, 0x3f0000, v6, v10
	v_cmp_ne_u32_e32 vcc_lo, 0, v11
	v_cmp_ne_u32_e64 s0, 0, v6
	s_and_b32 s0, vcc_lo, s0
	v_cndmask_b32_e64 v6, 0, 1, s0
	v_add_nc_u32_e32 v6, v5, v6
.LBB35_1820:
	s_or_b32 exec_lo, exec_lo, s5
	s_mov_b32 s0, 0
	s_mov_b32 s5, -1
	global_store_byte v[3:4], v6, off
.LBB35_1821:
	s_mov_b32 s6, 0
.LBB35_1822:
	s_and_b32 vcc_lo, exec_lo, s6
	s_cbranch_vccz .LBB35_1825
; %bb.1823:
	s_cmp_eq_u32 s3, 29
	s_mov_b32 s0, -1
	s_cbranch_scc0 .LBB35_1825
; %bb.1824:
	v_lshlrev_b32_e32 v5, 16, v1
	s_mov_b32 s0, 0
	s_mov_b32 s5, -1
	v_trunc_f32_e32 v5, v5
	v_mul_f32_e32 v6, 0x2f800000, v5
	v_floor_f32_e32 v6, v6
	v_fmamk_f32 v5, v6, 0xcf800000, v5
	v_cvt_u32_f32_e32 v6, v6
	v_cvt_u32_f32_e32 v5, v5
	global_store_dwordx2 v[3:4], v[5:6], off
.LBB35_1825:
	s_mov_b32 s6, 0
.LBB35_1826:
	s_and_b32 vcc_lo, exec_lo, s6
	s_cbranch_vccz .LBB35_1842
; %bb.1827:
	s_cmp_lt_i32 s3, 27
	s_mov_b32 s5, -1
	s_cbranch_scc1 .LBB35_1833
; %bb.1828:
	s_cmp_gt_i32 s3, 27
	s_cbranch_scc0 .LBB35_1830
; %bb.1829:
	v_lshlrev_b32_e32 v5, 16, v1
	s_mov_b32 s5, 0
	v_cvt_u32_f32_e32 v5, v5
	global_store_dword v[3:4], v5, off
.LBB35_1830:
	s_andn2_b32 vcc_lo, exec_lo, s5
	s_cbranch_vccnz .LBB35_1832
; %bb.1831:
	v_lshlrev_b32_e32 v5, 16, v1
	v_cvt_u32_f32_e32 v5, v5
	global_store_short v[3:4], v5, off
.LBB35_1832:
	s_mov_b32 s5, 0
.LBB35_1833:
	s_andn2_b32 vcc_lo, exec_lo, s5
	s_cbranch_vccnz .LBB35_1841
; %bb.1834:
	v_lshlrev_b32_e32 v10, 16, v1
	v_mov_b32_e32 v11, 0x80
	s_mov_b32 s5, exec_lo
	v_and_b32_e32 v6, 0x7fffffff, v10
	v_cmpx_gt_u32_e32 0x43800000, v6
	s_cbranch_execz .LBB35_1840
; %bb.1835:
	v_and_b32_e32 v5, 0xffff, v1
	v_cmp_lt_u32_e32 vcc_lo, 0x3bffffff, v6
	s_mov_b32 s6, 0
                                        ; implicit-def: $vgpr6
	s_and_saveexec_b32 s7, vcc_lo
	s_xor_b32 s7, exec_lo, s7
	s_cbranch_execz .LBB35_2172
; %bb.1836:
	v_bfe_u32 v6, v5, 4, 1
	s_mov_b32 s6, exec_lo
	v_add3_u32 v6, v10, v6, 0x487ffff
                                        ; implicit-def: $vgpr10
	v_lshrrev_b32_e32 v6, 20, v6
	s_andn2_saveexec_b32 s7, s7
	s_cbranch_execnz .LBB35_2173
.LBB35_1837:
	s_or_b32 exec_lo, exec_lo, s7
	v_mov_b32_e32 v11, 0
	s_and_saveexec_b32 s7, s6
.LBB35_1838:
	v_lshrrev_b32_e32 v5, 8, v5
	v_and_or_b32 v11, 0x80, v5, v6
.LBB35_1839:
	s_or_b32 exec_lo, exec_lo, s7
.LBB35_1840:
	s_or_b32 exec_lo, exec_lo, s5
	global_store_byte v[3:4], v11, off
.LBB35_1841:
	s_mov_b32 s5, -1
.LBB35_1842:
	s_mov_b32 s6, 0
.LBB35_1843:
	s_and_b32 vcc_lo, exec_lo, s6
	s_cbranch_vccz .LBB35_1883
; %bb.1844:
	s_cmp_gt_i32 s3, 22
	s_mov_b32 s4, -1
	s_cbranch_scc0 .LBB35_1876
; %bb.1845:
	s_cmp_lt_i32 s3, 24
	s_cbranch_scc1 .LBB35_1865
; %bb.1846:
	s_cmp_gt_i32 s3, 24
	s_cbranch_scc0 .LBB35_1854
; %bb.1847:
	v_lshlrev_b32_e32 v10, 16, v1
	v_mov_b32_e32 v11, 0x80
	s_mov_b32 s4, exec_lo
	v_and_b32_e32 v6, 0x7fffffff, v10
	v_cmpx_gt_u32_e32 0x47800000, v6
	s_cbranch_execz .LBB35_1853
; %bb.1848:
	v_and_b32_e32 v5, 0xffff, v1
	v_cmp_lt_u32_e32 vcc_lo, 0x37ffffff, v6
	s_mov_b32 s5, 0
                                        ; implicit-def: $vgpr6
	s_and_saveexec_b32 s6, vcc_lo
	s_xor_b32 s6, exec_lo, s6
	s_cbranch_execz .LBB35_2175
; %bb.1849:
	v_bfe_u32 v6, v5, 5, 1
	s_mov_b32 s5, exec_lo
	v_add3_u32 v6, v10, v6, 0x88fffff
                                        ; implicit-def: $vgpr10
	v_lshrrev_b32_e32 v6, 21, v6
	s_andn2_saveexec_b32 s6, s6
	s_cbranch_execnz .LBB35_2176
.LBB35_1850:
	s_or_b32 exec_lo, exec_lo, s6
	v_mov_b32_e32 v11, 0
	s_and_saveexec_b32 s6, s5
.LBB35_1851:
	v_lshrrev_b32_e32 v5, 8, v5
	v_and_or_b32 v11, 0x80, v5, v6
.LBB35_1852:
	s_or_b32 exec_lo, exec_lo, s6
.LBB35_1853:
	s_or_b32 exec_lo, exec_lo, s4
	s_mov_b32 s4, 0
	global_store_byte v[3:4], v11, off
.LBB35_1854:
	s_and_b32 vcc_lo, exec_lo, s4
	s_cbranch_vccz .LBB35_1864
; %bb.1855:
	v_lshlrev_b32_e32 v10, 16, v1
	v_and_b32_e32 v5, 0xffff, v1
	s_mov_b32 s4, exec_lo
                                        ; implicit-def: $vgpr6
	v_and_b32_e32 v11, 0x7fffffff, v10
	v_cmpx_gt_u32_e32 0x43f00000, v11
	s_xor_b32 s4, exec_lo, s4
	s_cbranch_execz .LBB35_1861
; %bb.1856:
	s_mov_b32 s5, exec_lo
                                        ; implicit-def: $vgpr6
	v_cmpx_lt_u32_e32 0x3c7fffff, v11
	s_xor_b32 s5, exec_lo, s5
; %bb.1857:
	v_bfe_u32 v6, v5, 4, 1
	v_add3_u32 v6, v10, v6, 0x407ffff
	v_and_b32_e32 v10, 0xff00000, v6
	v_lshrrev_b32_e32 v6, 20, v6
	v_cmp_ne_u32_e32 vcc_lo, 0x7f00000, v10
                                        ; implicit-def: $vgpr10
	v_cndmask_b32_e32 v6, 0x7e, v6, vcc_lo
; %bb.1858:
	s_andn2_saveexec_b32 s5, s5
; %bb.1859:
	v_add_f32_e64 v6, 0x46800000, |v10|
; %bb.1860:
	s_or_b32 exec_lo, exec_lo, s5
                                        ; implicit-def: $vgpr11
.LBB35_1861:
	s_andn2_saveexec_b32 s4, s4
; %bb.1862:
	v_mov_b32_e32 v6, 0x7f
	v_cmp_lt_u32_e32 vcc_lo, 0x7f800000, v11
	v_cndmask_b32_e32 v6, 0x7e, v6, vcc_lo
; %bb.1863:
	s_or_b32 exec_lo, exec_lo, s4
	v_lshrrev_b32_e32 v5, 8, v5
	v_and_or_b32 v5, 0x80, v5, v6
	global_store_byte v[3:4], v5, off
.LBB35_1864:
	s_mov_b32 s4, 0
.LBB35_1865:
	s_andn2_b32 vcc_lo, exec_lo, s4
	s_cbranch_vccnz .LBB35_1875
; %bb.1866:
	v_lshlrev_b32_e32 v10, 16, v1
	v_and_b32_e32 v5, 0xffff, v1
	s_mov_b32 s4, exec_lo
                                        ; implicit-def: $vgpr6
	v_and_b32_e32 v11, 0x7fffffff, v10
	v_cmpx_gt_u32_e32 0x47800000, v11
	s_xor_b32 s4, exec_lo, s4
	s_cbranch_execz .LBB35_1872
; %bb.1867:
	s_mov_b32 s5, exec_lo
                                        ; implicit-def: $vgpr6
	v_cmpx_lt_u32_e32 0x387fffff, v11
	s_xor_b32 s5, exec_lo, s5
; %bb.1868:
	v_bfe_u32 v6, v5, 5, 1
	v_add3_u32 v6, v10, v6, 0x80fffff
                                        ; implicit-def: $vgpr10
	v_lshrrev_b32_e32 v6, 21, v6
; %bb.1869:
	s_andn2_saveexec_b32 s5, s5
; %bb.1870:
	v_add_f32_e64 v6, 0x43000000, |v10|
; %bb.1871:
	s_or_b32 exec_lo, exec_lo, s5
                                        ; implicit-def: $vgpr11
.LBB35_1872:
	s_andn2_saveexec_b32 s4, s4
; %bb.1873:
	v_mov_b32_e32 v6, 0x7f
	v_cmp_lt_u32_e32 vcc_lo, 0x7f800000, v11
	v_cndmask_b32_e32 v6, 0x7c, v6, vcc_lo
; %bb.1874:
	s_or_b32 exec_lo, exec_lo, s4
	v_lshrrev_b32_e32 v5, 8, v5
	v_and_or_b32 v5, 0x80, v5, v6
	global_store_byte v[3:4], v5, off
.LBB35_1875:
	s_mov_b32 s4, 0
	s_mov_b32 s5, -1
.LBB35_1876:
	s_andn2_b32 vcc_lo, exec_lo, s4
	s_mov_b32 s4, 0
	s_cbranch_vccnz .LBB35_1883
; %bb.1877:
	s_cmp_gt_i32 s3, 14
	s_mov_b32 s4, -1
	s_cbranch_scc0 .LBB35_1881
; %bb.1878:
	s_cmp_eq_u32 s3, 15
	s_mov_b32 s0, -1
	s_cbranch_scc0 .LBB35_1880
; %bb.1879:
	s_mov_b32 s0, 0
	s_mov_b32 s5, -1
	global_store_short v[3:4], v1, off
.LBB35_1880:
	s_mov_b32 s4, 0
.LBB35_1881:
	s_and_b32 vcc_lo, exec_lo, s4
	s_mov_b32 s4, 0
	s_cbranch_vccz .LBB35_1883
; %bb.1882:
	s_cmp_lg_u32 s3, 11
	s_mov_b32 s4, -1
	s_cselect_b32 s0, -1, 0
.LBB35_1883:
	s_and_b32 vcc_lo, exec_lo, s0
	s_cbranch_vccnz .LBB35_2174
; %bb.1884:
	s_andn2_b32 vcc_lo, exec_lo, s4
	s_cbranch_vccnz .LBB35_1886
.LBB35_1885:
	v_and_b32_e32 v5, 0x7fff, v1
	s_mov_b32 s5, -1
	v_cmp_ne_u16_e32 vcc_lo, 0, v5
	v_cndmask_b32_e64 v5, 0, 1, vcc_lo
	global_store_byte v[3:4], v5, off
.LBB35_1886:
.LBB35_1887:
	s_andn2_b32 vcc_lo, exec_lo, s5
	s_cbranch_vccz .LBB35_1927
	s_branch .LBB35_2121
.LBB35_1888:
	s_and_b32 vcc_lo, exec_lo, s0
	s_cbranch_vccz .LBB35_1887
; %bb.1889:
	s_and_b32 s0, 0xffff, s1
	s_mov_b32 s3, -1
	s_cmp_lt_i32 s0, 5
	s_cbranch_scc1 .LBB35_1910
; %bb.1890:
	s_cmp_lt_i32 s0, 8
	s_cbranch_scc1 .LBB35_1900
; %bb.1891:
	s_cmp_lt_i32 s0, 9
	s_cbranch_scc1 .LBB35_1897
; %bb.1892:
	s_cmp_gt_i32 s0, 9
	s_cbranch_scc0 .LBB35_1894
; %bb.1893:
	v_lshlrev_b32_e32 v5, 16, v1
	v_mov_b32_e32 v12, 0
	s_mov_b32 s3, 0
	v_cvt_f64_f32_e32 v[10:11], v5
	v_mov_b32_e32 v13, v12
	global_store_dwordx4 v[3:4], v[10:13], off
.LBB35_1894:
	s_andn2_b32 vcc_lo, exec_lo, s3
	s_cbranch_vccnz .LBB35_1896
; %bb.1895:
	v_lshlrev_b32_e32 v5, 16, v1
	v_mov_b32_e32 v6, 0
	global_store_dwordx2 v[3:4], v[5:6], off
.LBB35_1896:
	s_mov_b32 s3, 0
.LBB35_1897:
	s_andn2_b32 vcc_lo, exec_lo, s3
	s_cbranch_vccnz .LBB35_1899
; %bb.1898:
	v_lshlrev_b32_e32 v5, 16, v1
	v_cvt_f16_f32_e32 v5, v5
	v_and_b32_e32 v5, 0xffff, v5
	global_store_dword v[3:4], v5, off
.LBB35_1899:
	s_mov_b32 s3, 0
.LBB35_1900:
	s_andn2_b32 vcc_lo, exec_lo, s3
	s_cbranch_vccnz .LBB35_1909
; %bb.1901:
	s_cmp_lt_i32 s0, 6
	s_mov_b32 s3, -1
	s_cbranch_scc1 .LBB35_1907
; %bb.1902:
	s_cmp_gt_i32 s0, 6
	s_cbranch_scc0 .LBB35_1904
; %bb.1903:
	v_lshlrev_b32_e32 v5, 16, v1
	s_mov_b32 s3, 0
	v_cvt_f64_f32_e32 v[5:6], v5
	global_store_dwordx2 v[3:4], v[5:6], off
.LBB35_1904:
	s_andn2_b32 vcc_lo, exec_lo, s3
	s_cbranch_vccnz .LBB35_1906
; %bb.1905:
	v_lshlrev_b32_e32 v5, 16, v1
	global_store_dword v[3:4], v5, off
.LBB35_1906:
	s_mov_b32 s3, 0
.LBB35_1907:
	s_andn2_b32 vcc_lo, exec_lo, s3
	s_cbranch_vccnz .LBB35_1909
; %bb.1908:
	v_lshlrev_b32_e32 v5, 16, v1
	v_cvt_f16_f32_e32 v5, v5
	global_store_short v[3:4], v5, off
.LBB35_1909:
	s_mov_b32 s3, 0
.LBB35_1910:
	s_andn2_b32 vcc_lo, exec_lo, s3
	s_cbranch_vccnz .LBB35_1926
; %bb.1911:
	s_cmp_lt_i32 s0, 2
	s_mov_b32 s3, -1
	s_cbranch_scc1 .LBB35_1921
; %bb.1912:
	s_cmp_lt_i32 s0, 3
	s_cbranch_scc1 .LBB35_1918
; %bb.1913:
	s_cmp_gt_i32 s0, 3
	s_cbranch_scc0 .LBB35_1915
; %bb.1914:
	v_lshlrev_b32_e32 v5, 16, v1
	s_mov_b32 s3, 0
	v_trunc_f32_e32 v5, v5
	v_mul_f32_e64 v6, 0x2f800000, |v5|
	v_ashrrev_i32_e32 v11, 31, v5
	v_floor_f32_e32 v6, v6
	v_fma_f32 v10, 0xcf800000, v6, |v5|
	v_cvt_u32_f32_e32 v6, v6
	v_cvt_u32_f32_e32 v5, v10
	v_xor_b32_e32 v6, v6, v11
	v_xor_b32_e32 v5, v5, v11
	v_sub_co_u32 v5, vcc_lo, v5, v11
	v_sub_co_ci_u32_e64 v6, null, v6, v11, vcc_lo
	global_store_dwordx2 v[3:4], v[5:6], off
.LBB35_1915:
	s_andn2_b32 vcc_lo, exec_lo, s3
	s_cbranch_vccnz .LBB35_1917
; %bb.1916:
	v_lshlrev_b32_e32 v5, 16, v1
	v_cvt_i32_f32_e32 v5, v5
	global_store_dword v[3:4], v5, off
.LBB35_1917:
	s_mov_b32 s3, 0
.LBB35_1918:
	s_andn2_b32 vcc_lo, exec_lo, s3
	s_cbranch_vccnz .LBB35_1920
; %bb.1919:
	v_lshlrev_b32_e32 v5, 16, v1
	v_cvt_i32_f32_e32 v5, v5
	global_store_short v[3:4], v5, off
.LBB35_1920:
	s_mov_b32 s3, 0
.LBB35_1921:
	s_andn2_b32 vcc_lo, exec_lo, s3
	s_cbranch_vccnz .LBB35_1926
; %bb.1922:
	v_lshlrev_b32_e32 v1, 16, v1
	s_cmp_gt_i32 s0, 0
	s_mov_b32 s0, -1
	s_cbranch_scc0 .LBB35_1924
; %bb.1923:
	v_cvt_i32_f32_e32 v5, v1
	s_mov_b32 s0, 0
	global_store_byte v[3:4], v5, off
.LBB35_1924:
	s_andn2_b32 vcc_lo, exec_lo, s0
	s_cbranch_vccnz .LBB35_1926
; %bb.1925:
	v_trunc_f32_e32 v1, v1
	v_mul_f32_e64 v5, 0x2f800000, |v1|
	v_floor_f32_e32 v5, v5
	v_fma_f32 v5, 0xcf800000, v5, |v1|
	v_ashrrev_i32_e32 v1, 31, v1
	v_cvt_u32_f32_e32 v5, v5
	v_xor_b32_e32 v5, v5, v1
	v_sub_nc_u32_e32 v1, v5, v1
	global_store_byte v[3:4], v1, off
.LBB35_1926:
.LBB35_1927:
	v_mul_f32_e32 v1, v16, v16
	s_mov_b32 s0, 0xb94c1982
	s_mov_b32 s3, 0x37d75334
	v_lshlrev_b32_e32 v5, 30, v17
	v_and_b32_e32 v6, 1, v17
	v_fmaak_f32 v3, s0, v1, 0x3c0881c4
	v_fmaak_f32 v4, s3, v1, 0xbab64f3b
	s_mov_b32 s5, 0
	v_and_b32_e32 v5, 0x80000000, v5
	v_cmp_eq_u32_e32 vcc_lo, 0, v6
	v_fmaak_f32 v3, v1, v3, 0xbe2aaa9d
	v_fmaak_f32 v4, v1, v4, 0x3d2aabf7
	s_cmp_lt_i32 s1, 11
	v_mul_f32_e32 v3, v1, v3
	v_fmaak_f32 v4, v1, v4, 0xbf000004
	v_fmac_f32_e32 v16, v16, v3
	v_fma_f32 v1, v1, v4, 1.0
	v_xor_b32_e32 v3, v15, v5
	v_mov_b32_e32 v4, 0x7fc0
	v_cndmask_b32_e32 v1, v1, v16, vcc_lo
	v_cmp_class_f32_e64 vcc_lo, v9, 0x1f8
	v_xor3_b32 v1, v3, v1, v9
	v_cndmask_b32_e32 v1, 0x7fc00000, v1, vcc_lo
	v_bfe_u32 v3, v1, 16, 1
	v_cmp_o_f32_e32 vcc_lo, v1, v1
	v_add3_u32 v1, v1, v3, 0x7fff
	v_cndmask_b32_sdwa v3, v4, v1, vcc_lo dst_sel:DWORD dst_unused:UNUSED_PAD src0_sel:DWORD src1_sel:WORD_1
	v_add_co_u32 v1, s0, s8, v2
	v_add_co_ci_u32_e64 v2, null, s9, 0, s0
	s_mov_b32 s0, -1
	s_cbranch_scc1 .LBB35_2082
; %bb.1928:
	s_and_b32 s3, 0xffff, s1
	s_mov_b32 s6, -1
	s_mov_b32 s4, 0
	s_cmp_gt_i32 s3, 25
	s_mov_b32 s0, 0
	s_cbranch_scc0 .LBB35_1961
; %bb.1929:
	s_cmp_gt_i32 s3, 28
	s_cbranch_scc0 .LBB35_1944
; %bb.1930:
	s_cmp_gt_i32 s3, 43
	;; [unrolled: 3-line block ×3, first 2 shown]
	s_cbranch_scc0 .LBB35_1934
; %bb.1932:
	s_mov_b32 s0, -1
	s_mov_b32 s6, 0
	s_cmp_eq_u32 s3, 46
	s_cbranch_scc0 .LBB35_1934
; %bb.1933:
	v_and_b32_e32 v4, 0xffff, v3
	s_mov_b32 s0, 0
	s_mov_b32 s5, -1
	global_store_dword v[1:2], v4, off
.LBB35_1934:
	s_and_b32 vcc_lo, exec_lo, s6
	s_cbranch_vccz .LBB35_1939
; %bb.1935:
	s_cmp_eq_u32 s3, 44
	s_mov_b32 s0, -1
	s_cbranch_scc0 .LBB35_1939
; %bb.1936:
	v_and_b32_e32 v4, 0xffff, v3
	v_mov_b32_e32 v5, 0xff
	s_mov_b32 s5, exec_lo
	v_bfe_u32 v6, v4, 7, 8
	v_cmpx_ne_u32_e32 0xff, v6
	s_cbranch_execz .LBB35_1938
; %bb.1937:
	v_lshlrev_b32_e32 v5, 16, v4
	v_and_b32_e32 v9, 64, v4
	v_lshrrev_b32_e32 v4, 7, v4
	v_and_or_b32 v5, 0x3f0000, v5, v6
	v_cmp_ne_u32_e32 vcc_lo, 0, v9
	v_cmp_ne_u32_e64 s0, 0, v5
	s_and_b32 s0, vcc_lo, s0
	v_cndmask_b32_e64 v5, 0, 1, s0
	v_add_nc_u32_e32 v5, v4, v5
.LBB35_1938:
	s_or_b32 exec_lo, exec_lo, s5
	s_mov_b32 s0, 0
	s_mov_b32 s5, -1
	global_store_byte v[1:2], v5, off
.LBB35_1939:
	s_mov_b32 s6, 0
.LBB35_1940:
	s_and_b32 vcc_lo, exec_lo, s6
	s_cbranch_vccz .LBB35_1943
; %bb.1941:
	s_cmp_eq_u32 s3, 29
	s_mov_b32 s0, -1
	s_cbranch_scc0 .LBB35_1943
; %bb.1942:
	v_lshlrev_b32_e32 v4, 16, v3
	s_mov_b32 s0, 0
	s_mov_b32 s5, -1
	v_trunc_f32_e32 v4, v4
	v_mul_f32_e32 v5, 0x2f800000, v4
	v_floor_f32_e32 v5, v5
	v_fmamk_f32 v4, v5, 0xcf800000, v4
	v_cvt_u32_f32_e32 v5, v5
	v_cvt_u32_f32_e32 v4, v4
	global_store_dwordx2 v[1:2], v[4:5], off
.LBB35_1943:
	s_mov_b32 s6, 0
.LBB35_1944:
	s_and_b32 vcc_lo, exec_lo, s6
	s_cbranch_vccz .LBB35_1960
; %bb.1945:
	s_cmp_lt_i32 s3, 27
	s_mov_b32 s5, -1
	s_cbranch_scc1 .LBB35_1951
; %bb.1946:
	s_cmp_gt_i32 s3, 27
	s_cbranch_scc0 .LBB35_1948
; %bb.1947:
	v_lshlrev_b32_e32 v4, 16, v3
	s_mov_b32 s5, 0
	v_cvt_u32_f32_e32 v4, v4
	global_store_dword v[1:2], v4, off
.LBB35_1948:
	s_andn2_b32 vcc_lo, exec_lo, s5
	s_cbranch_vccnz .LBB35_1950
; %bb.1949:
	v_lshlrev_b32_e32 v4, 16, v3
	v_cvt_u32_f32_e32 v4, v4
	global_store_short v[1:2], v4, off
.LBB35_1950:
	s_mov_b32 s5, 0
.LBB35_1951:
	s_andn2_b32 vcc_lo, exec_lo, s5
	s_cbranch_vccnz .LBB35_1959
; %bb.1952:
	v_lshlrev_b32_e32 v6, 16, v3
	v_mov_b32_e32 v9, 0x80
	s_mov_b32 s5, exec_lo
	v_and_b32_e32 v5, 0x7fffffff, v6
	v_cmpx_gt_u32_e32 0x43800000, v5
	s_cbranch_execz .LBB35_1958
; %bb.1953:
	v_and_b32_e32 v4, 0xffff, v3
	v_cmp_lt_u32_e32 vcc_lo, 0x3bffffff, v5
	s_mov_b32 s6, 0
                                        ; implicit-def: $vgpr5
	s_and_saveexec_b32 s7, vcc_lo
	s_xor_b32 s7, exec_lo, s7
	s_cbranch_execz .LBB35_2177
; %bb.1954:
	v_bfe_u32 v5, v4, 4, 1
	s_mov_b32 s6, exec_lo
	v_add3_u32 v5, v6, v5, 0x487ffff
                                        ; implicit-def: $vgpr6
	v_lshrrev_b32_e32 v5, 20, v5
	s_andn2_saveexec_b32 s7, s7
	s_cbranch_execnz .LBB35_2178
.LBB35_1955:
	s_or_b32 exec_lo, exec_lo, s7
	v_mov_b32_e32 v9, 0
	s_and_saveexec_b32 s7, s6
.LBB35_1956:
	v_lshrrev_b32_e32 v4, 8, v4
	v_and_or_b32 v9, 0x80, v4, v5
.LBB35_1957:
	s_or_b32 exec_lo, exec_lo, s7
.LBB35_1958:
	s_or_b32 exec_lo, exec_lo, s5
	global_store_byte v[1:2], v9, off
.LBB35_1959:
	s_mov_b32 s5, -1
.LBB35_1960:
	s_mov_b32 s6, 0
.LBB35_1961:
	s_and_b32 vcc_lo, exec_lo, s6
	s_cbranch_vccz .LBB35_2001
; %bb.1962:
	s_cmp_gt_i32 s3, 22
	s_mov_b32 s4, -1
	s_cbranch_scc0 .LBB35_1994
; %bb.1963:
	s_cmp_lt_i32 s3, 24
	s_cbranch_scc1 .LBB35_1983
; %bb.1964:
	s_cmp_gt_i32 s3, 24
	s_cbranch_scc0 .LBB35_1972
; %bb.1965:
	v_lshlrev_b32_e32 v6, 16, v3
	v_mov_b32_e32 v9, 0x80
	s_mov_b32 s4, exec_lo
	v_and_b32_e32 v5, 0x7fffffff, v6
	v_cmpx_gt_u32_e32 0x47800000, v5
	s_cbranch_execz .LBB35_1971
; %bb.1966:
	v_and_b32_e32 v4, 0xffff, v3
	v_cmp_lt_u32_e32 vcc_lo, 0x37ffffff, v5
	s_mov_b32 s5, 0
                                        ; implicit-def: $vgpr5
	s_and_saveexec_b32 s6, vcc_lo
	s_xor_b32 s6, exec_lo, s6
	s_cbranch_execz .LBB35_2180
; %bb.1967:
	v_bfe_u32 v5, v4, 5, 1
	s_mov_b32 s5, exec_lo
	v_add3_u32 v5, v6, v5, 0x88fffff
                                        ; implicit-def: $vgpr6
	v_lshrrev_b32_e32 v5, 21, v5
	s_andn2_saveexec_b32 s6, s6
	s_cbranch_execnz .LBB35_2181
.LBB35_1968:
	s_or_b32 exec_lo, exec_lo, s6
	v_mov_b32_e32 v9, 0
	s_and_saveexec_b32 s6, s5
.LBB35_1969:
	v_lshrrev_b32_e32 v4, 8, v4
	v_and_or_b32 v9, 0x80, v4, v5
.LBB35_1970:
	s_or_b32 exec_lo, exec_lo, s6
.LBB35_1971:
	s_or_b32 exec_lo, exec_lo, s4
	s_mov_b32 s4, 0
	global_store_byte v[1:2], v9, off
.LBB35_1972:
	s_and_b32 vcc_lo, exec_lo, s4
	s_cbranch_vccz .LBB35_1982
; %bb.1973:
	v_lshlrev_b32_e32 v6, 16, v3
	v_and_b32_e32 v4, 0xffff, v3
	s_mov_b32 s4, exec_lo
                                        ; implicit-def: $vgpr5
	v_and_b32_e32 v9, 0x7fffffff, v6
	v_cmpx_gt_u32_e32 0x43f00000, v9
	s_xor_b32 s4, exec_lo, s4
	s_cbranch_execz .LBB35_1979
; %bb.1974:
	s_mov_b32 s5, exec_lo
                                        ; implicit-def: $vgpr5
	v_cmpx_lt_u32_e32 0x3c7fffff, v9
	s_xor_b32 s5, exec_lo, s5
; %bb.1975:
	v_bfe_u32 v5, v4, 4, 1
	v_add3_u32 v5, v6, v5, 0x407ffff
	v_and_b32_e32 v6, 0xff00000, v5
	v_lshrrev_b32_e32 v5, 20, v5
	v_cmp_ne_u32_e32 vcc_lo, 0x7f00000, v6
                                        ; implicit-def: $vgpr6
	v_cndmask_b32_e32 v5, 0x7e, v5, vcc_lo
; %bb.1976:
	s_andn2_saveexec_b32 s5, s5
; %bb.1977:
	v_add_f32_e64 v5, 0x46800000, |v6|
; %bb.1978:
	s_or_b32 exec_lo, exec_lo, s5
                                        ; implicit-def: $vgpr9
.LBB35_1979:
	s_andn2_saveexec_b32 s4, s4
; %bb.1980:
	v_mov_b32_e32 v5, 0x7f
	v_cmp_lt_u32_e32 vcc_lo, 0x7f800000, v9
	v_cndmask_b32_e32 v5, 0x7e, v5, vcc_lo
; %bb.1981:
	s_or_b32 exec_lo, exec_lo, s4
	v_lshrrev_b32_e32 v4, 8, v4
	v_and_or_b32 v4, 0x80, v4, v5
	global_store_byte v[1:2], v4, off
.LBB35_1982:
	s_mov_b32 s4, 0
.LBB35_1983:
	s_andn2_b32 vcc_lo, exec_lo, s4
	s_cbranch_vccnz .LBB35_1993
; %bb.1984:
	v_lshlrev_b32_e32 v6, 16, v3
	v_and_b32_e32 v4, 0xffff, v3
	s_mov_b32 s4, exec_lo
                                        ; implicit-def: $vgpr5
	v_and_b32_e32 v9, 0x7fffffff, v6
	v_cmpx_gt_u32_e32 0x47800000, v9
	s_xor_b32 s4, exec_lo, s4
	s_cbranch_execz .LBB35_1990
; %bb.1985:
	s_mov_b32 s5, exec_lo
                                        ; implicit-def: $vgpr5
	v_cmpx_lt_u32_e32 0x387fffff, v9
	s_xor_b32 s5, exec_lo, s5
; %bb.1986:
	v_bfe_u32 v5, v4, 5, 1
	v_add3_u32 v5, v6, v5, 0x80fffff
                                        ; implicit-def: $vgpr6
	v_lshrrev_b32_e32 v5, 21, v5
; %bb.1987:
	s_andn2_saveexec_b32 s5, s5
; %bb.1988:
	v_add_f32_e64 v5, 0x43000000, |v6|
; %bb.1989:
	s_or_b32 exec_lo, exec_lo, s5
                                        ; implicit-def: $vgpr9
.LBB35_1990:
	s_andn2_saveexec_b32 s4, s4
; %bb.1991:
	v_mov_b32_e32 v5, 0x7f
	v_cmp_lt_u32_e32 vcc_lo, 0x7f800000, v9
	v_cndmask_b32_e32 v5, 0x7c, v5, vcc_lo
; %bb.1992:
	s_or_b32 exec_lo, exec_lo, s4
	v_lshrrev_b32_e32 v4, 8, v4
	v_and_or_b32 v4, 0x80, v4, v5
	global_store_byte v[1:2], v4, off
.LBB35_1993:
	s_mov_b32 s4, 0
	s_mov_b32 s5, -1
.LBB35_1994:
	s_andn2_b32 vcc_lo, exec_lo, s4
	s_mov_b32 s4, 0
	s_cbranch_vccnz .LBB35_2001
; %bb.1995:
	s_cmp_gt_i32 s3, 14
	s_mov_b32 s4, -1
	s_cbranch_scc0 .LBB35_1999
; %bb.1996:
	s_cmp_eq_u32 s3, 15
	s_mov_b32 s0, -1
	s_cbranch_scc0 .LBB35_1998
; %bb.1997:
	s_mov_b32 s0, 0
	s_mov_b32 s5, -1
	global_store_short v[1:2], v3, off
.LBB35_1998:
	s_mov_b32 s4, 0
.LBB35_1999:
	s_and_b32 vcc_lo, exec_lo, s4
	s_mov_b32 s4, 0
	s_cbranch_vccz .LBB35_2001
; %bb.2000:
	s_cmp_lg_u32 s3, 11
	s_mov_b32 s4, -1
	s_cselect_b32 s0, -1, 0
.LBB35_2001:
	s_and_b32 vcc_lo, exec_lo, s0
	s_cbranch_vccnz .LBB35_2179
; %bb.2002:
	s_andn2_b32 vcc_lo, exec_lo, s4
	s_cbranch_vccnz .LBB35_2004
.LBB35_2003:
	v_and_b32_e32 v4, 0x7fff, v3
	s_mov_b32 s5, -1
	v_cmp_ne_u16_e32 vcc_lo, 0, v4
	v_cndmask_b32_e64 v4, 0, 1, vcc_lo
	global_store_byte v[1:2], v4, off
.LBB35_2004:
.LBB35_2005:
	s_andn2_b32 vcc_lo, exec_lo, s5
	s_cbranch_vccnz .LBB35_2121
.LBB35_2006:
	v_mul_f32_e32 v1, v18, v18
	s_mov_b32 s0, 0xb94c1982
	s_mov_b32 s3, 0x37d75334
	v_lshlrev_b32_e32 v4, 30, v19
	v_and_b32_e32 v5, 1, v19
	v_fmaak_f32 v2, s0, v1, 0x3c0881c4
	v_fmaak_f32 v3, s3, v1, 0xbab64f3b
	v_add_co_u32 v0, s0, s8, v0
	v_and_b32_e32 v4, 0x80000000, v4
	v_fmaak_f32 v2, v1, v2, 0xbe2aaa9d
	v_fmaak_f32 v3, v1, v3, 0x3d2aabf7
	v_cmp_eq_u32_e32 vcc_lo, 0, v5
	s_mov_b32 s4, 0
	s_cmp_lt_i32 s1, 11
	v_mul_f32_e32 v2, v1, v2
	v_fmaak_f32 v3, v1, v3, 0xbf000004
	v_fmac_f32_e32 v18, v18, v2
	v_fma_f32 v1, v1, v3, 1.0
	v_xor_b32_e32 v2, v8, v4
	v_mov_b32_e32 v3, 0x7fc0
	v_cndmask_b32_e32 v1, v1, v18, vcc_lo
	v_cmp_class_f32_e64 vcc_lo, v7, 0x1f8
	v_xor3_b32 v1, v2, v1, v7
	v_cndmask_b32_e32 v1, 0x7fc00000, v1, vcc_lo
	v_bfe_u32 v2, v1, 16, 1
	v_cmp_o_f32_e32 vcc_lo, v1, v1
	v_add3_u32 v1, v1, v2, 0x7fff
	v_cndmask_b32_sdwa v2, v3, v1, vcc_lo dst_sel:DWORD dst_unused:UNUSED_PAD src0_sel:DWORD src1_sel:WORD_1
	v_add_co_ci_u32_e64 v1, null, s9, 0, s0
	s_mov_b32 s0, -1
	s_cbranch_scc1 .LBB35_2122
; %bb.2007:
	s_and_b32 s3, 0xffff, s1
	s_mov_b32 s5, -1
	s_cmp_gt_i32 s3, 25
	s_mov_b32 s0, 0
	s_cbranch_scc0 .LBB35_2040
; %bb.2008:
	s_cmp_gt_i32 s3, 28
	s_cbranch_scc0 .LBB35_2024
; %bb.2009:
	s_cmp_gt_i32 s3, 43
	;; [unrolled: 3-line block ×3, first 2 shown]
	s_cbranch_scc0 .LBB35_2014
; %bb.2011:
	s_cmp_eq_u32 s3, 46
	s_mov_b32 s0, -1
	s_cbranch_scc0 .LBB35_2013
; %bb.2012:
	v_and_b32_e32 v3, 0xffff, v2
	s_mov_b32 s0, 0
	global_store_dword v[0:1], v3, off
.LBB35_2013:
	s_mov_b32 s5, 0
.LBB35_2014:
	s_and_b32 vcc_lo, exec_lo, s5
	s_cbranch_vccz .LBB35_2019
; %bb.2015:
	s_cmp_eq_u32 s3, 44
	s_mov_b32 s0, -1
	s_cbranch_scc0 .LBB35_2019
; %bb.2016:
	v_and_b32_e32 v3, 0xffff, v2
	v_mov_b32_e32 v4, 0xff
	s_mov_b32 s5, exec_lo
	v_bfe_u32 v5, v3, 7, 8
	v_cmpx_ne_u32_e32 0xff, v5
	s_cbranch_execz .LBB35_2018
; %bb.2017:
	v_lshlrev_b32_e32 v4, 16, v3
	v_and_b32_e32 v6, 64, v3
	v_lshrrev_b32_e32 v3, 7, v3
	v_and_or_b32 v4, 0x3f0000, v4, v5
	v_cmp_ne_u32_e32 vcc_lo, 0, v6
	v_cmp_ne_u32_e64 s0, 0, v4
	s_and_b32 s0, vcc_lo, s0
	v_cndmask_b32_e64 v4, 0, 1, s0
	v_add_nc_u32_e32 v4, v3, v4
.LBB35_2018:
	s_or_b32 exec_lo, exec_lo, s5
	s_mov_b32 s0, 0
	global_store_byte v[0:1], v4, off
.LBB35_2019:
	s_mov_b32 s5, 0
.LBB35_2020:
	s_and_b32 vcc_lo, exec_lo, s5
	s_cbranch_vccz .LBB35_2023
; %bb.2021:
	s_cmp_eq_u32 s3, 29
	s_mov_b32 s0, -1
	s_cbranch_scc0 .LBB35_2023
; %bb.2022:
	v_lshlrev_b32_e32 v3, 16, v2
	s_mov_b32 s0, 0
	v_trunc_f32_e32 v3, v3
	v_mul_f32_e32 v4, 0x2f800000, v3
	v_floor_f32_e32 v4, v4
	v_fmamk_f32 v3, v4, 0xcf800000, v3
	v_cvt_u32_f32_e32 v4, v4
	v_cvt_u32_f32_e32 v3, v3
	global_store_dwordx2 v[0:1], v[3:4], off
.LBB35_2023:
	s_mov_b32 s5, 0
.LBB35_2024:
	s_and_b32 vcc_lo, exec_lo, s5
	s_cbranch_vccz .LBB35_2039
; %bb.2025:
	s_cmp_lt_i32 s3, 27
	s_mov_b32 s5, -1
	s_cbranch_scc1 .LBB35_2031
; %bb.2026:
	s_cmp_gt_i32 s3, 27
	s_cbranch_scc0 .LBB35_2028
; %bb.2027:
	v_lshlrev_b32_e32 v3, 16, v2
	s_mov_b32 s5, 0
	v_cvt_u32_f32_e32 v3, v3
	global_store_dword v[0:1], v3, off
.LBB35_2028:
	s_andn2_b32 vcc_lo, exec_lo, s5
	s_cbranch_vccnz .LBB35_2030
; %bb.2029:
	v_lshlrev_b32_e32 v3, 16, v2
	v_cvt_u32_f32_e32 v3, v3
	global_store_short v[0:1], v3, off
.LBB35_2030:
	s_mov_b32 s5, 0
.LBB35_2031:
	s_andn2_b32 vcc_lo, exec_lo, s5
	s_cbranch_vccnz .LBB35_2039
; %bb.2032:
	v_lshlrev_b32_e32 v5, 16, v2
	v_mov_b32_e32 v6, 0x80
	s_mov_b32 s5, exec_lo
	v_and_b32_e32 v4, 0x7fffffff, v5
	v_cmpx_gt_u32_e32 0x43800000, v4
	s_cbranch_execz .LBB35_2038
; %bb.2033:
	v_and_b32_e32 v3, 0xffff, v2
	v_cmp_lt_u32_e32 vcc_lo, 0x3bffffff, v4
	s_mov_b32 s6, 0
                                        ; implicit-def: $vgpr4
	s_and_saveexec_b32 s7, vcc_lo
	s_xor_b32 s7, exec_lo, s7
	s_cbranch_execz .LBB35_2182
; %bb.2034:
	v_bfe_u32 v4, v3, 4, 1
	s_mov_b32 s6, exec_lo
	v_add3_u32 v4, v5, v4, 0x487ffff
                                        ; implicit-def: $vgpr5
	v_lshrrev_b32_e32 v4, 20, v4
	s_andn2_saveexec_b32 s7, s7
	s_cbranch_execnz .LBB35_2183
.LBB35_2035:
	s_or_b32 exec_lo, exec_lo, s7
	v_mov_b32_e32 v6, 0
	s_and_saveexec_b32 s7, s6
.LBB35_2036:
	v_lshrrev_b32_e32 v3, 8, v3
	v_and_or_b32 v6, 0x80, v3, v4
.LBB35_2037:
	s_or_b32 exec_lo, exec_lo, s7
.LBB35_2038:
	s_or_b32 exec_lo, exec_lo, s5
	global_store_byte v[0:1], v6, off
.LBB35_2039:
	s_mov_b32 s5, 0
.LBB35_2040:
	s_and_b32 vcc_lo, exec_lo, s5
	s_cbranch_vccz .LBB35_2080
; %bb.2041:
	s_cmp_gt_i32 s3, 22
	s_mov_b32 s4, -1
	s_cbranch_scc0 .LBB35_2073
; %bb.2042:
	s_cmp_lt_i32 s3, 24
	s_cbranch_scc1 .LBB35_2062
; %bb.2043:
	s_cmp_gt_i32 s3, 24
	s_cbranch_scc0 .LBB35_2051
; %bb.2044:
	v_lshlrev_b32_e32 v5, 16, v2
	v_mov_b32_e32 v6, 0x80
	s_mov_b32 s4, exec_lo
	v_and_b32_e32 v4, 0x7fffffff, v5
	v_cmpx_gt_u32_e32 0x47800000, v4
	s_cbranch_execz .LBB35_2050
; %bb.2045:
	v_and_b32_e32 v3, 0xffff, v2
	v_cmp_lt_u32_e32 vcc_lo, 0x37ffffff, v4
	s_mov_b32 s5, 0
                                        ; implicit-def: $vgpr4
	s_and_saveexec_b32 s6, vcc_lo
	s_xor_b32 s6, exec_lo, s6
	s_cbranch_execz .LBB35_2185
; %bb.2046:
	v_bfe_u32 v4, v3, 5, 1
	s_mov_b32 s5, exec_lo
	v_add3_u32 v4, v5, v4, 0x88fffff
                                        ; implicit-def: $vgpr5
	v_lshrrev_b32_e32 v4, 21, v4
	s_andn2_saveexec_b32 s6, s6
	s_cbranch_execnz .LBB35_2186
.LBB35_2047:
	s_or_b32 exec_lo, exec_lo, s6
	v_mov_b32_e32 v6, 0
	s_and_saveexec_b32 s6, s5
.LBB35_2048:
	v_lshrrev_b32_e32 v3, 8, v3
	v_and_or_b32 v6, 0x80, v3, v4
.LBB35_2049:
	s_or_b32 exec_lo, exec_lo, s6
.LBB35_2050:
	s_or_b32 exec_lo, exec_lo, s4
	s_mov_b32 s4, 0
	global_store_byte v[0:1], v6, off
.LBB35_2051:
	s_and_b32 vcc_lo, exec_lo, s4
	s_cbranch_vccz .LBB35_2061
; %bb.2052:
	v_lshlrev_b32_e32 v5, 16, v2
	v_and_b32_e32 v3, 0xffff, v2
	s_mov_b32 s4, exec_lo
                                        ; implicit-def: $vgpr4
	v_and_b32_e32 v6, 0x7fffffff, v5
	v_cmpx_gt_u32_e32 0x43f00000, v6
	s_xor_b32 s4, exec_lo, s4
	s_cbranch_execz .LBB35_2058
; %bb.2053:
	s_mov_b32 s5, exec_lo
                                        ; implicit-def: $vgpr4
	v_cmpx_lt_u32_e32 0x3c7fffff, v6
	s_xor_b32 s5, exec_lo, s5
; %bb.2054:
	v_bfe_u32 v4, v3, 4, 1
	v_add3_u32 v4, v5, v4, 0x407ffff
	v_and_b32_e32 v5, 0xff00000, v4
	v_lshrrev_b32_e32 v4, 20, v4
	v_cmp_ne_u32_e32 vcc_lo, 0x7f00000, v5
                                        ; implicit-def: $vgpr5
	v_cndmask_b32_e32 v4, 0x7e, v4, vcc_lo
; %bb.2055:
	s_andn2_saveexec_b32 s5, s5
; %bb.2056:
	v_add_f32_e64 v4, 0x46800000, |v5|
; %bb.2057:
	s_or_b32 exec_lo, exec_lo, s5
                                        ; implicit-def: $vgpr6
.LBB35_2058:
	s_andn2_saveexec_b32 s4, s4
; %bb.2059:
	v_mov_b32_e32 v4, 0x7f
	v_cmp_lt_u32_e32 vcc_lo, 0x7f800000, v6
	v_cndmask_b32_e32 v4, 0x7e, v4, vcc_lo
; %bb.2060:
	s_or_b32 exec_lo, exec_lo, s4
	v_lshrrev_b32_e32 v3, 8, v3
	v_and_or_b32 v3, 0x80, v3, v4
	global_store_byte v[0:1], v3, off
.LBB35_2061:
	s_mov_b32 s4, 0
.LBB35_2062:
	s_andn2_b32 vcc_lo, exec_lo, s4
	s_cbranch_vccnz .LBB35_2072
; %bb.2063:
	v_lshlrev_b32_e32 v5, 16, v2
	v_and_b32_e32 v3, 0xffff, v2
	s_mov_b32 s4, exec_lo
                                        ; implicit-def: $vgpr4
	v_and_b32_e32 v6, 0x7fffffff, v5
	v_cmpx_gt_u32_e32 0x47800000, v6
	s_xor_b32 s4, exec_lo, s4
	s_cbranch_execz .LBB35_2069
; %bb.2064:
	s_mov_b32 s5, exec_lo
                                        ; implicit-def: $vgpr4
	v_cmpx_lt_u32_e32 0x387fffff, v6
	s_xor_b32 s5, exec_lo, s5
; %bb.2065:
	v_bfe_u32 v4, v3, 5, 1
	v_add3_u32 v4, v5, v4, 0x80fffff
                                        ; implicit-def: $vgpr5
	v_lshrrev_b32_e32 v4, 21, v4
; %bb.2066:
	s_andn2_saveexec_b32 s5, s5
; %bb.2067:
	v_add_f32_e64 v4, 0x43000000, |v5|
; %bb.2068:
	s_or_b32 exec_lo, exec_lo, s5
                                        ; implicit-def: $vgpr6
.LBB35_2069:
	s_andn2_saveexec_b32 s4, s4
; %bb.2070:
	v_mov_b32_e32 v4, 0x7f
	v_cmp_lt_u32_e32 vcc_lo, 0x7f800000, v6
	v_cndmask_b32_e32 v4, 0x7c, v4, vcc_lo
; %bb.2071:
	s_or_b32 exec_lo, exec_lo, s4
	v_lshrrev_b32_e32 v3, 8, v3
	v_and_or_b32 v3, 0x80, v3, v4
	global_store_byte v[0:1], v3, off
.LBB35_2072:
	s_mov_b32 s4, 0
.LBB35_2073:
	s_andn2_b32 vcc_lo, exec_lo, s4
	s_mov_b32 s4, 0
	s_cbranch_vccnz .LBB35_2080
; %bb.2074:
	s_cmp_gt_i32 s3, 14
	s_mov_b32 s4, -1
	s_cbranch_scc0 .LBB35_2078
; %bb.2075:
	s_cmp_eq_u32 s3, 15
	s_mov_b32 s0, -1
	s_cbranch_scc0 .LBB35_2077
; %bb.2076:
	s_mov_b32 s0, 0
	global_store_short v[0:1], v2, off
.LBB35_2077:
	s_mov_b32 s4, 0
.LBB35_2078:
	s_and_b32 vcc_lo, exec_lo, s4
	s_mov_b32 s4, 0
	s_cbranch_vccz .LBB35_2080
; %bb.2079:
	s_cmp_lg_u32 s3, 11
	s_mov_b32 s4, -1
	s_cselect_b32 s0, -1, 0
.LBB35_2080:
	s_and_b32 vcc_lo, exec_lo, s0
	s_cbranch_vccnz .LBB35_2184
.LBB35_2081:
	s_mov_b32 s0, 0
	s_branch .LBB35_2122
.LBB35_2082:
	s_and_b32 vcc_lo, exec_lo, s0
	s_cbranch_vccz .LBB35_2005
; %bb.2083:
	s_and_b32 s0, 0xffff, s1
	s_mov_b32 s3, -1
	s_cmp_lt_i32 s0, 5
	s_cbranch_scc1 .LBB35_2104
; %bb.2084:
	s_cmp_lt_i32 s0, 8
	s_cbranch_scc1 .LBB35_2094
; %bb.2085:
	;; [unrolled: 3-line block ×3, first 2 shown]
	s_cmp_gt_i32 s0, 9
	s_cbranch_scc0 .LBB35_2088
; %bb.2087:
	v_lshlrev_b32_e32 v4, 16, v3
	v_mov_b32_e32 v11, 0
	s_mov_b32 s3, 0
	v_cvt_f64_f32_e32 v[9:10], v4
	v_mov_b32_e32 v12, v11
	global_store_dwordx4 v[1:2], v[9:12], off
.LBB35_2088:
	s_andn2_b32 vcc_lo, exec_lo, s3
	s_cbranch_vccnz .LBB35_2090
; %bb.2089:
	v_lshlrev_b32_e32 v4, 16, v3
	v_mov_b32_e32 v5, 0
	global_store_dwordx2 v[1:2], v[4:5], off
.LBB35_2090:
	s_mov_b32 s3, 0
.LBB35_2091:
	s_andn2_b32 vcc_lo, exec_lo, s3
	s_cbranch_vccnz .LBB35_2093
; %bb.2092:
	v_lshlrev_b32_e32 v4, 16, v3
	v_cvt_f16_f32_e32 v4, v4
	v_and_b32_e32 v4, 0xffff, v4
	global_store_dword v[1:2], v4, off
.LBB35_2093:
	s_mov_b32 s3, 0
.LBB35_2094:
	s_andn2_b32 vcc_lo, exec_lo, s3
	s_cbranch_vccnz .LBB35_2103
; %bb.2095:
	s_cmp_lt_i32 s0, 6
	s_mov_b32 s3, -1
	s_cbranch_scc1 .LBB35_2101
; %bb.2096:
	s_cmp_gt_i32 s0, 6
	s_cbranch_scc0 .LBB35_2098
; %bb.2097:
	v_lshlrev_b32_e32 v4, 16, v3
	s_mov_b32 s3, 0
	v_cvt_f64_f32_e32 v[4:5], v4
	global_store_dwordx2 v[1:2], v[4:5], off
.LBB35_2098:
	s_andn2_b32 vcc_lo, exec_lo, s3
	s_cbranch_vccnz .LBB35_2100
; %bb.2099:
	v_lshlrev_b32_e32 v4, 16, v3
	global_store_dword v[1:2], v4, off
.LBB35_2100:
	s_mov_b32 s3, 0
.LBB35_2101:
	s_andn2_b32 vcc_lo, exec_lo, s3
	s_cbranch_vccnz .LBB35_2103
; %bb.2102:
	v_lshlrev_b32_e32 v4, 16, v3
	v_cvt_f16_f32_e32 v4, v4
	global_store_short v[1:2], v4, off
.LBB35_2103:
	s_mov_b32 s3, 0
.LBB35_2104:
	s_andn2_b32 vcc_lo, exec_lo, s3
	s_cbranch_vccnz .LBB35_2120
; %bb.2105:
	s_cmp_lt_i32 s0, 2
	s_mov_b32 s3, -1
	s_cbranch_scc1 .LBB35_2115
; %bb.2106:
	s_cmp_lt_i32 s0, 3
	s_cbranch_scc1 .LBB35_2112
; %bb.2107:
	s_cmp_gt_i32 s0, 3
	s_cbranch_scc0 .LBB35_2109
; %bb.2108:
	v_lshlrev_b32_e32 v4, 16, v3
	s_mov_b32 s3, 0
	v_trunc_f32_e32 v4, v4
	v_mul_f32_e64 v5, 0x2f800000, |v4|
	v_ashrrev_i32_e32 v9, 31, v4
	v_floor_f32_e32 v5, v5
	v_fma_f32 v6, 0xcf800000, v5, |v4|
	v_cvt_u32_f32_e32 v5, v5
	v_cvt_u32_f32_e32 v4, v6
	v_xor_b32_e32 v5, v5, v9
	v_xor_b32_e32 v4, v4, v9
	v_sub_co_u32 v4, vcc_lo, v4, v9
	v_sub_co_ci_u32_e64 v5, null, v5, v9, vcc_lo
	global_store_dwordx2 v[1:2], v[4:5], off
.LBB35_2109:
	s_andn2_b32 vcc_lo, exec_lo, s3
	s_cbranch_vccnz .LBB35_2111
; %bb.2110:
	v_lshlrev_b32_e32 v4, 16, v3
	v_cvt_i32_f32_e32 v4, v4
	global_store_dword v[1:2], v4, off
.LBB35_2111:
	s_mov_b32 s3, 0
.LBB35_2112:
	s_andn2_b32 vcc_lo, exec_lo, s3
	s_cbranch_vccnz .LBB35_2114
; %bb.2113:
	v_lshlrev_b32_e32 v4, 16, v3
	v_cvt_i32_f32_e32 v4, v4
	global_store_short v[1:2], v4, off
.LBB35_2114:
	s_mov_b32 s3, 0
.LBB35_2115:
	s_andn2_b32 vcc_lo, exec_lo, s3
	s_cbranch_vccnz .LBB35_2120
; %bb.2116:
	s_cmp_gt_i32 s0, 0
	s_mov_b32 s0, -1
	s_cbranch_scc0 .LBB35_2118
; %bb.2117:
	v_lshlrev_b32_e32 v4, 16, v3
	s_mov_b32 s0, 0
	v_cvt_i32_f32_e32 v4, v4
	global_store_byte v[1:2], v4, off
.LBB35_2118:
	s_andn2_b32 vcc_lo, exec_lo, s0
	s_cbranch_vccnz .LBB35_2120
; %bb.2119:
	v_lshlrev_b32_e32 v3, 16, v3
	v_trunc_f32_e32 v3, v3
	v_mul_f32_e64 v4, 0x2f800000, |v3|
	v_floor_f32_e32 v4, v4
	v_fma_f32 v4, 0xcf800000, v4, |v3|
	v_ashrrev_i32_e32 v3, 31, v3
	v_cvt_u32_f32_e32 v4, v4
	v_xor_b32_e32 v4, v4, v3
	v_sub_nc_u32_e32 v3, v4, v3
	global_store_byte v[1:2], v3, off
.LBB35_2120:
	s_branch .LBB35_2006
.LBB35_2121:
	s_mov_b32 s0, 0
	s_mov_b32 s4, 0
                                        ; implicit-def: $vgpr0_vgpr1
                                        ; implicit-def: $sgpr1
                                        ; implicit-def: $vgpr2
.LBB35_2122:
	s_andn2_b32 s3, s12, exec_lo
	s_and_b32 s2, s2, exec_lo
	s_and_b32 s0, s0, exec_lo
	;; [unrolled: 1-line block ×3, first 2 shown]
	s_or_b32 s12, s3, s2
.LBB35_2123:
	s_or_b32 exec_lo, exec_lo, s13
	s_and_saveexec_b32 s2, s12
	s_cbranch_execz .LBB35_2126
; %bb.2124:
	; divergent unreachable
	s_or_b32 exec_lo, exec_lo, s2
	s_and_saveexec_b32 s2, s26
	s_xor_b32 s2, exec_lo, s2
	s_cbranch_execnz .LBB35_2127
.LBB35_2125:
	s_or_b32 exec_lo, exec_lo, s2
	s_and_saveexec_b32 s2, s0
	s_cbranch_execnz .LBB35_2128
	s_branch .LBB35_2165
.LBB35_2126:
	s_or_b32 exec_lo, exec_lo, s2
	s_and_saveexec_b32 s2, s26
	s_xor_b32 s2, exec_lo, s2
	s_cbranch_execz .LBB35_2125
.LBB35_2127:
	s_waitcnt vmcnt(0)
	v_and_b32_e32 v3, 0x7fff, v2
	v_cmp_ne_u16_e32 vcc_lo, 0, v3
	v_cndmask_b32_e64 v3, 0, 1, vcc_lo
	global_store_byte v[0:1], v3, off
	s_or_b32 exec_lo, exec_lo, s2
	s_and_saveexec_b32 s2, s0
	s_cbranch_execz .LBB35_2165
.LBB35_2128:
	s_sext_i32_i16 s2, s1
	s_mov_b32 s0, -1
	s_cmp_lt_i32 s2, 5
	s_cbranch_scc1 .LBB35_2149
; %bb.2129:
	s_cmp_lt_i32 s2, 8
	s_cbranch_scc1 .LBB35_2139
; %bb.2130:
	;; [unrolled: 3-line block ×3, first 2 shown]
	s_cmp_gt_i32 s2, 9
	s_cbranch_scc0 .LBB35_2133
; %bb.2132:
	s_waitcnt vmcnt(0)
	v_lshlrev_b32_e32 v3, 16, v2
	v_mov_b32_e32 v5, 0
	s_mov_b32 s0, 0
	v_cvt_f64_f32_e32 v[3:4], v3
	v_mov_b32_e32 v6, v5
	global_store_dwordx4 v[0:1], v[3:6], off
.LBB35_2133:
	s_andn2_b32 vcc_lo, exec_lo, s0
	s_cbranch_vccnz .LBB35_2135
; %bb.2134:
	s_waitcnt vmcnt(0)
	v_lshlrev_b32_e32 v3, 16, v2
	v_mov_b32_e32 v4, 0
	global_store_dwordx2 v[0:1], v[3:4], off
.LBB35_2135:
	s_mov_b32 s0, 0
.LBB35_2136:
	s_andn2_b32 vcc_lo, exec_lo, s0
	s_cbranch_vccnz .LBB35_2138
; %bb.2137:
	s_waitcnt vmcnt(0)
	v_lshlrev_b32_e32 v3, 16, v2
	v_cvt_f16_f32_e32 v3, v3
	v_and_b32_e32 v3, 0xffff, v3
	global_store_dword v[0:1], v3, off
.LBB35_2138:
	s_mov_b32 s0, 0
.LBB35_2139:
	s_andn2_b32 vcc_lo, exec_lo, s0
	s_cbranch_vccnz .LBB35_2148
; %bb.2140:
	s_sext_i32_i16 s2, s1
	s_mov_b32 s0, -1
	s_cmp_lt_i32 s2, 6
	s_cbranch_scc1 .LBB35_2146
; %bb.2141:
	s_cmp_gt_i32 s2, 6
	s_cbranch_scc0 .LBB35_2143
; %bb.2142:
	s_waitcnt vmcnt(0)
	v_lshlrev_b32_e32 v3, 16, v2
	s_mov_b32 s0, 0
	v_cvt_f64_f32_e32 v[3:4], v3
	global_store_dwordx2 v[0:1], v[3:4], off
.LBB35_2143:
	s_andn2_b32 vcc_lo, exec_lo, s0
	s_cbranch_vccnz .LBB35_2145
; %bb.2144:
	s_waitcnt vmcnt(0)
	v_lshlrev_b32_e32 v3, 16, v2
	global_store_dword v[0:1], v3, off
.LBB35_2145:
	s_mov_b32 s0, 0
.LBB35_2146:
	s_andn2_b32 vcc_lo, exec_lo, s0
	s_cbranch_vccnz .LBB35_2148
; %bb.2147:
	s_waitcnt vmcnt(0)
	v_lshlrev_b32_e32 v3, 16, v2
	v_cvt_f16_f32_e32 v3, v3
	global_store_short v[0:1], v3, off
.LBB35_2148:
	s_mov_b32 s0, 0
.LBB35_2149:
	s_andn2_b32 vcc_lo, exec_lo, s0
	s_cbranch_vccnz .LBB35_2165
; %bb.2150:
	s_sext_i32_i16 s2, s1
	s_mov_b32 s0, -1
	s_cmp_lt_i32 s2, 2
	s_cbranch_scc1 .LBB35_2160
; %bb.2151:
	s_cmp_lt_i32 s2, 3
	s_cbranch_scc1 .LBB35_2157
; %bb.2152:
	s_cmp_gt_i32 s2, 3
	s_cbranch_scc0 .LBB35_2154
; %bb.2153:
	s_waitcnt vmcnt(0)
	v_lshlrev_b32_e32 v3, 16, v2
	s_mov_b32 s0, 0
	v_trunc_f32_e32 v3, v3
	v_mul_f32_e64 v4, 0x2f800000, |v3|
	v_ashrrev_i32_e32 v6, 31, v3
	v_floor_f32_e32 v4, v4
	v_fma_f32 v5, 0xcf800000, v4, |v3|
	v_cvt_u32_f32_e32 v4, v4
	v_cvt_u32_f32_e32 v3, v5
	v_xor_b32_e32 v4, v4, v6
	v_xor_b32_e32 v3, v3, v6
	v_sub_co_u32 v3, vcc_lo, v3, v6
	v_sub_co_ci_u32_e64 v4, null, v4, v6, vcc_lo
	global_store_dwordx2 v[0:1], v[3:4], off
.LBB35_2154:
	s_andn2_b32 vcc_lo, exec_lo, s0
	s_cbranch_vccnz .LBB35_2156
; %bb.2155:
	s_waitcnt vmcnt(0)
	v_lshlrev_b32_e32 v3, 16, v2
	v_cvt_i32_f32_e32 v3, v3
	global_store_dword v[0:1], v3, off
.LBB35_2156:
	s_mov_b32 s0, 0
.LBB35_2157:
	s_andn2_b32 vcc_lo, exec_lo, s0
	s_cbranch_vccnz .LBB35_2159
; %bb.2158:
	s_waitcnt vmcnt(0)
	v_lshlrev_b32_e32 v3, 16, v2
	v_cvt_i32_f32_e32 v3, v3
	global_store_short v[0:1], v3, off
.LBB35_2159:
	s_mov_b32 s0, 0
.LBB35_2160:
	s_andn2_b32 vcc_lo, exec_lo, s0
	s_cbranch_vccnz .LBB35_2165
; %bb.2161:
	s_sext_i32_i16 s0, s1
	s_cmp_gt_i32 s0, 0
	s_mov_b32 s0, -1
	s_cbranch_scc0 .LBB35_2163
; %bb.2162:
	s_waitcnt vmcnt(0)
	v_lshlrev_b32_e32 v3, 16, v2
	s_mov_b32 s0, 0
	v_cvt_i32_f32_e32 v3, v3
	global_store_byte v[0:1], v3, off
.LBB35_2163:
	s_andn2_b32 vcc_lo, exec_lo, s0
	s_cbranch_vccnz .LBB35_2165
; %bb.2164:
	v_lshlrev_b32_e32 v2, 16, v2
	v_trunc_f32_e32 v2, v2
	s_waitcnt vmcnt(0)
	v_mul_f32_e64 v3, 0x2f800000, |v2|
	v_floor_f32_e32 v3, v3
	v_fma_f32 v3, 0xcf800000, v3, |v2|
	v_ashrrev_i32_e32 v2, 31, v2
	v_cvt_u32_f32_e32 v3, v3
	v_xor_b32_e32 v3, v3, v2
	v_sub_nc_u32_e32 v2, v3, v2
	global_store_byte v[0:1], v2, off
	s_endpgm
.LBB35_2165:
	s_endpgm
.LBB35_2166:
	s_or_b32 s2, s2, exec_lo
	s_trap 2
	s_cbranch_execz .LBB35_1635
	s_branch .LBB35_1636
.LBB35_2167:
	s_andn2_saveexec_b32 s10, s10
	s_cbranch_execz .LBB35_1719
.LBB35_2168:
	v_add_f32_e64 v12, 0x46000000, |v20|
	s_andn2_b32 s7, s7, exec_lo
	v_and_b32_e32 v12, 0xff, v12
	v_cmp_ne_u32_e32 vcc_lo, 0, v12
	s_and_b32 s11, vcc_lo, exec_lo
	s_or_b32 s7, s7, s11
	s_or_b32 exec_lo, exec_lo, s10
	v_mov_b32_e32 v21, 0
	s_and_saveexec_b32 s10, s7
	s_cbranch_execnz .LBB35_1720
	s_branch .LBB35_1721
.LBB35_2169:
	s_or_b32 s2, s2, exec_lo
	s_trap 2
	s_cbranch_execz .LBB35_1767
	s_branch .LBB35_1768
.LBB35_2170:
	s_andn2_saveexec_b32 s7, s7
	s_cbranch_execz .LBB35_1732
.LBB35_2171:
	v_add_f32_e64 v12, 0x42800000, |v20|
	s_andn2_b32 s6, s6, exec_lo
	v_and_b32_e32 v12, 0xff, v12
	v_cmp_ne_u32_e32 vcc_lo, 0, v12
	s_and_b32 s10, vcc_lo, exec_lo
	s_or_b32 s6, s6, s10
	s_or_b32 exec_lo, exec_lo, s7
	v_mov_b32_e32 v21, 0
	s_and_saveexec_b32 s7, s6
	s_cbranch_execnz .LBB35_1733
	s_branch .LBB35_1734
.LBB35_2172:
	s_andn2_saveexec_b32 s7, s7
	s_cbranch_execz .LBB35_1837
.LBB35_2173:
	v_add_f32_e64 v6, 0x46000000, |v10|
	s_andn2_b32 s6, s6, exec_lo
	v_and_b32_e32 v6, 0xff, v6
	v_cmp_ne_u32_e32 vcc_lo, 0, v6
	s_and_b32 s10, vcc_lo, exec_lo
	s_or_b32 s6, s6, s10
	s_or_b32 exec_lo, exec_lo, s7
	v_mov_b32_e32 v11, 0
	s_and_saveexec_b32 s7, s6
	s_cbranch_execnz .LBB35_1838
	s_branch .LBB35_1839
.LBB35_2174:
	s_or_b32 s2, s2, exec_lo
	s_trap 2
	s_cbranch_execz .LBB35_1885
	s_branch .LBB35_1886
.LBB35_2175:
	s_andn2_saveexec_b32 s6, s6
	s_cbranch_execz .LBB35_1850
.LBB35_2176:
	v_add_f32_e64 v6, 0x42800000, |v10|
	s_andn2_b32 s5, s5, exec_lo
	v_and_b32_e32 v6, 0xff, v6
	v_cmp_ne_u32_e32 vcc_lo, 0, v6
	s_and_b32 s7, vcc_lo, exec_lo
	s_or_b32 s5, s5, s7
	s_or_b32 exec_lo, exec_lo, s6
	v_mov_b32_e32 v11, 0
	s_and_saveexec_b32 s6, s5
	s_cbranch_execnz .LBB35_1851
	s_branch .LBB35_1852
.LBB35_2177:
	s_andn2_saveexec_b32 s7, s7
	s_cbranch_execz .LBB35_1955
.LBB35_2178:
	v_add_f32_e64 v5, 0x46000000, |v6|
	s_andn2_b32 s6, s6, exec_lo
	v_and_b32_e32 v5, 0xff, v5
	v_cmp_ne_u32_e32 vcc_lo, 0, v5
	s_and_b32 s10, vcc_lo, exec_lo
	s_or_b32 s6, s6, s10
	s_or_b32 exec_lo, exec_lo, s7
	v_mov_b32_e32 v9, 0
	s_and_saveexec_b32 s7, s6
	s_cbranch_execnz .LBB35_1956
	s_branch .LBB35_1957
.LBB35_2179:
	s_or_b32 s2, s2, exec_lo
	s_trap 2
	s_cbranch_execz .LBB35_2003
	s_branch .LBB35_2004
.LBB35_2180:
	s_andn2_saveexec_b32 s6, s6
	s_cbranch_execz .LBB35_1968
.LBB35_2181:
	v_add_f32_e64 v5, 0x42800000, |v6|
	s_andn2_b32 s5, s5, exec_lo
	v_and_b32_e32 v5, 0xff, v5
	v_cmp_ne_u32_e32 vcc_lo, 0, v5
	s_and_b32 s7, vcc_lo, exec_lo
	s_or_b32 s5, s5, s7
	s_or_b32 exec_lo, exec_lo, s6
	v_mov_b32_e32 v9, 0
	s_and_saveexec_b32 s6, s5
	s_cbranch_execnz .LBB35_1969
	s_branch .LBB35_1970
.LBB35_2182:
	s_andn2_saveexec_b32 s7, s7
	s_cbranch_execz .LBB35_2035
.LBB35_2183:
	v_add_f32_e64 v4, 0x46000000, |v5|
	s_andn2_b32 s6, s6, exec_lo
	v_and_b32_e32 v4, 0xff, v4
	v_cmp_ne_u32_e32 vcc_lo, 0, v4
	s_and_b32 s8, vcc_lo, exec_lo
	s_or_b32 s6, s6, s8
	s_or_b32 exec_lo, exec_lo, s7
	v_mov_b32_e32 v6, 0
	s_and_saveexec_b32 s7, s6
	s_cbranch_execnz .LBB35_2036
	s_branch .LBB35_2037
.LBB35_2184:
	s_mov_b32 s4, 0
	s_or_b32 s2, s2, exec_lo
	s_trap 2
	s_branch .LBB35_2081
.LBB35_2185:
	s_andn2_saveexec_b32 s6, s6
	s_cbranch_execz .LBB35_2047
.LBB35_2186:
	v_add_f32_e64 v4, 0x42800000, |v5|
	s_andn2_b32 s5, s5, exec_lo
	v_and_b32_e32 v4, 0xff, v4
	v_cmp_ne_u32_e32 vcc_lo, 0, v4
	s_and_b32 s7, vcc_lo, exec_lo
	s_or_b32 s5, s5, s7
	s_or_b32 exec_lo, exec_lo, s6
	v_mov_b32_e32 v6, 0
	s_and_saveexec_b32 s6, s5
	s_cbranch_execnz .LBB35_2048
	s_branch .LBB35_2049
	.section	.rodata,"a",@progbits
	.p2align	6, 0x0
	.amdhsa_kernel _ZN2at6native32elementwise_kernel_manual_unrollILi128ELi4EZNS0_15gpu_kernel_implIZZZNS0_15sin_kernel_cudaERNS_18TensorIteratorBaseEENKUlvE0_clEvENKUlvE2_clEvEUlN3c108BFloat16EE_EEvS4_RKT_EUlibE0_EEviT1_
		.amdhsa_group_segment_fixed_size 0
		.amdhsa_private_segment_fixed_size 0
		.amdhsa_kernarg_size 360
		.amdhsa_user_sgpr_count 6
		.amdhsa_user_sgpr_private_segment_buffer 1
		.amdhsa_user_sgpr_dispatch_ptr 0
		.amdhsa_user_sgpr_queue_ptr 0
		.amdhsa_user_sgpr_kernarg_segment_ptr 1
		.amdhsa_user_sgpr_dispatch_id 0
		.amdhsa_user_sgpr_flat_scratch_init 0
		.amdhsa_user_sgpr_private_segment_size 0
		.amdhsa_wavefront_size32 1
		.amdhsa_uses_dynamic_stack 0
		.amdhsa_system_sgpr_private_segment_wavefront_offset 0
		.amdhsa_system_sgpr_workgroup_id_x 1
		.amdhsa_system_sgpr_workgroup_id_y 0
		.amdhsa_system_sgpr_workgroup_id_z 0
		.amdhsa_system_sgpr_workgroup_info 0
		.amdhsa_system_vgpr_workitem_id 0
		.amdhsa_next_free_vgpr 30
		.amdhsa_next_free_sgpr 68
		.amdhsa_reserve_vcc 1
		.amdhsa_reserve_flat_scratch 0
		.amdhsa_float_round_mode_32 0
		.amdhsa_float_round_mode_16_64 0
		.amdhsa_float_denorm_mode_32 3
		.amdhsa_float_denorm_mode_16_64 3
		.amdhsa_dx10_clamp 1
		.amdhsa_ieee_mode 1
		.amdhsa_fp16_overflow 0
		.amdhsa_workgroup_processor_mode 1
		.amdhsa_memory_ordered 1
		.amdhsa_forward_progress 1
		.amdhsa_shared_vgpr_count 0
		.amdhsa_exception_fp_ieee_invalid_op 0
		.amdhsa_exception_fp_denorm_src 0
		.amdhsa_exception_fp_ieee_div_zero 0
		.amdhsa_exception_fp_ieee_overflow 0
		.amdhsa_exception_fp_ieee_underflow 0
		.amdhsa_exception_fp_ieee_inexact 0
		.amdhsa_exception_int_div_zero 0
	.end_amdhsa_kernel
	.section	.text._ZN2at6native32elementwise_kernel_manual_unrollILi128ELi4EZNS0_15gpu_kernel_implIZZZNS0_15sin_kernel_cudaERNS_18TensorIteratorBaseEENKUlvE0_clEvENKUlvE2_clEvEUlN3c108BFloat16EE_EEvS4_RKT_EUlibE0_EEviT1_,"axG",@progbits,_ZN2at6native32elementwise_kernel_manual_unrollILi128ELi4EZNS0_15gpu_kernel_implIZZZNS0_15sin_kernel_cudaERNS_18TensorIteratorBaseEENKUlvE0_clEvENKUlvE2_clEvEUlN3c108BFloat16EE_EEvS4_RKT_EUlibE0_EEviT1_,comdat
.Lfunc_end35:
	.size	_ZN2at6native32elementwise_kernel_manual_unrollILi128ELi4EZNS0_15gpu_kernel_implIZZZNS0_15sin_kernel_cudaERNS_18TensorIteratorBaseEENKUlvE0_clEvENKUlvE2_clEvEUlN3c108BFloat16EE_EEvS4_RKT_EUlibE0_EEviT1_, .Lfunc_end35-_ZN2at6native32elementwise_kernel_manual_unrollILi128ELi4EZNS0_15gpu_kernel_implIZZZNS0_15sin_kernel_cudaERNS_18TensorIteratorBaseEENKUlvE0_clEvENKUlvE2_clEvEUlN3c108BFloat16EE_EEvS4_RKT_EUlibE0_EEviT1_
                                        ; -- End function
	.set _ZN2at6native32elementwise_kernel_manual_unrollILi128ELi4EZNS0_15gpu_kernel_implIZZZNS0_15sin_kernel_cudaERNS_18TensorIteratorBaseEENKUlvE0_clEvENKUlvE2_clEvEUlN3c108BFloat16EE_EEvS4_RKT_EUlibE0_EEviT1_.num_vgpr, 30
	.set _ZN2at6native32elementwise_kernel_manual_unrollILi128ELi4EZNS0_15gpu_kernel_implIZZZNS0_15sin_kernel_cudaERNS_18TensorIteratorBaseEENKUlvE0_clEvENKUlvE2_clEvEUlN3c108BFloat16EE_EEvS4_RKT_EUlibE0_EEviT1_.num_agpr, 0
	.set _ZN2at6native32elementwise_kernel_manual_unrollILi128ELi4EZNS0_15gpu_kernel_implIZZZNS0_15sin_kernel_cudaERNS_18TensorIteratorBaseEENKUlvE0_clEvENKUlvE2_clEvEUlN3c108BFloat16EE_EEvS4_RKT_EUlibE0_EEviT1_.numbered_sgpr, 68
	.set _ZN2at6native32elementwise_kernel_manual_unrollILi128ELi4EZNS0_15gpu_kernel_implIZZZNS0_15sin_kernel_cudaERNS_18TensorIteratorBaseEENKUlvE0_clEvENKUlvE2_clEvEUlN3c108BFloat16EE_EEvS4_RKT_EUlibE0_EEviT1_.num_named_barrier, 0
	.set _ZN2at6native32elementwise_kernel_manual_unrollILi128ELi4EZNS0_15gpu_kernel_implIZZZNS0_15sin_kernel_cudaERNS_18TensorIteratorBaseEENKUlvE0_clEvENKUlvE2_clEvEUlN3c108BFloat16EE_EEvS4_RKT_EUlibE0_EEviT1_.private_seg_size, 0
	.set _ZN2at6native32elementwise_kernel_manual_unrollILi128ELi4EZNS0_15gpu_kernel_implIZZZNS0_15sin_kernel_cudaERNS_18TensorIteratorBaseEENKUlvE0_clEvENKUlvE2_clEvEUlN3c108BFloat16EE_EEvS4_RKT_EUlibE0_EEviT1_.uses_vcc, 1
	.set _ZN2at6native32elementwise_kernel_manual_unrollILi128ELi4EZNS0_15gpu_kernel_implIZZZNS0_15sin_kernel_cudaERNS_18TensorIteratorBaseEENKUlvE0_clEvENKUlvE2_clEvEUlN3c108BFloat16EE_EEvS4_RKT_EUlibE0_EEviT1_.uses_flat_scratch, 0
	.set _ZN2at6native32elementwise_kernel_manual_unrollILi128ELi4EZNS0_15gpu_kernel_implIZZZNS0_15sin_kernel_cudaERNS_18TensorIteratorBaseEENKUlvE0_clEvENKUlvE2_clEvEUlN3c108BFloat16EE_EEvS4_RKT_EUlibE0_EEviT1_.has_dyn_sized_stack, 0
	.set _ZN2at6native32elementwise_kernel_manual_unrollILi128ELi4EZNS0_15gpu_kernel_implIZZZNS0_15sin_kernel_cudaERNS_18TensorIteratorBaseEENKUlvE0_clEvENKUlvE2_clEvEUlN3c108BFloat16EE_EEvS4_RKT_EUlibE0_EEviT1_.has_recursion, 0
	.set _ZN2at6native32elementwise_kernel_manual_unrollILi128ELi4EZNS0_15gpu_kernel_implIZZZNS0_15sin_kernel_cudaERNS_18TensorIteratorBaseEENKUlvE0_clEvENKUlvE2_clEvEUlN3c108BFloat16EE_EEvS4_RKT_EUlibE0_EEviT1_.has_indirect_call, 0
	.section	.AMDGPU.csdata,"",@progbits
; Kernel info:
; codeLenInByte = 48932
; TotalNumSgprs: 70
; NumVgprs: 30
; ScratchSize: 0
; MemoryBound: 0
; FloatMode: 240
; IeeeMode: 1
; LDSByteSize: 0 bytes/workgroup (compile time only)
; SGPRBlocks: 0
; VGPRBlocks: 3
; NumSGPRsForWavesPerEU: 70
; NumVGPRsForWavesPerEU: 30
; Occupancy: 16
; WaveLimiterHint : 1
; COMPUTE_PGM_RSRC2:SCRATCH_EN: 0
; COMPUTE_PGM_RSRC2:USER_SGPR: 6
; COMPUTE_PGM_RSRC2:TRAP_HANDLER: 0
; COMPUTE_PGM_RSRC2:TGID_X_EN: 1
; COMPUTE_PGM_RSRC2:TGID_Y_EN: 0
; COMPUTE_PGM_RSRC2:TGID_Z_EN: 0
; COMPUTE_PGM_RSRC2:TIDIG_COMP_CNT: 0
	.text
	.p2alignl 6, 3214868480
	.fill 48, 4, 3214868480
	.section	.AMDGPU.gpr_maximums,"",@progbits
	.set amdgpu.max_num_vgpr, 84
	.set amdgpu.max_num_agpr, 0
	.set amdgpu.max_num_sgpr, 32
	.text
	.type	__hip_cuid_de8cfb3554881902,@object ; @__hip_cuid_de8cfb3554881902
	.section	.bss,"aw",@nobits
	.globl	__hip_cuid_de8cfb3554881902
__hip_cuid_de8cfb3554881902:
	.byte	0                               ; 0x0
	.size	__hip_cuid_de8cfb3554881902, 1

	.ident	"AMD clang version 22.0.0git (https://github.com/RadeonOpenCompute/llvm-project roc-7.2.4 26084 f58b06dce1f9c15707c5f808fd002e18c2accf7e)"
	.section	".note.GNU-stack","",@progbits
	.addrsig
	.addrsig_sym __hip_cuid_de8cfb3554881902
	.amdgpu_metadata
---
amdhsa.kernels:
  - .args:
      - .offset:         0
        .size:           4
        .value_kind:     by_value
      - .offset:         4
        .size:           1
        .value_kind:     by_value
      - .offset:         8
        .size:           16
        .value_kind:     by_value
    .group_segment_fixed_size: 0
    .kernarg_segment_align: 8
    .kernarg_segment_size: 24
    .language:       OpenCL C
    .language_version:
      - 2
      - 0
    .max_flat_workgroup_size: 256
    .name:           _ZN2at6native29vectorized_elementwise_kernelILi16EZZZNS0_15sin_kernel_cudaERNS_18TensorIteratorBaseEENKUlvE0_clEvENKUlvE_clEvEUldE_St5arrayIPcLm2EEEEviT0_T1_
    .private_segment_fixed_size: 0
    .sgpr_count:     36
    .sgpr_spill_count: 0
    .symbol:         _ZN2at6native29vectorized_elementwise_kernelILi16EZZZNS0_15sin_kernel_cudaERNS_18TensorIteratorBaseEENKUlvE0_clEvENKUlvE_clEvEUldE_St5arrayIPcLm2EEEEviT0_T1_.kd
    .uniform_work_group_size: 1
    .uses_dynamic_stack: false
    .vgpr_count:     64
    .vgpr_spill_count: 0
    .wavefront_size: 32
    .workgroup_processor_mode: 1
  - .args:
      - .offset:         0
        .size:           4
        .value_kind:     by_value
      - .offset:         4
        .size:           1
        .value_kind:     by_value
      - .offset:         8
        .size:           16
        .value_kind:     by_value
    .group_segment_fixed_size: 0
    .kernarg_segment_align: 8
    .kernarg_segment_size: 24
    .language:       OpenCL C
    .language_version:
      - 2
      - 0
    .max_flat_workgroup_size: 256
    .name:           _ZN2at6native29vectorized_elementwise_kernelILi8EZZZNS0_15sin_kernel_cudaERNS_18TensorIteratorBaseEENKUlvE0_clEvENKUlvE_clEvEUldE_St5arrayIPcLm2EEEEviT0_T1_
    .private_segment_fixed_size: 0
    .sgpr_count:     36
    .sgpr_spill_count: 0
    .symbol:         _ZN2at6native29vectorized_elementwise_kernelILi8EZZZNS0_15sin_kernel_cudaERNS_18TensorIteratorBaseEENKUlvE0_clEvENKUlvE_clEvEUldE_St5arrayIPcLm2EEEEviT0_T1_.kd
    .uniform_work_group_size: 1
    .uses_dynamic_stack: false
    .vgpr_count:     64
    .vgpr_spill_count: 0
    .wavefront_size: 32
    .workgroup_processor_mode: 1
  - .args:
      - .offset:         0
        .size:           4
        .value_kind:     by_value
      - .offset:         4
        .size:           1
        .value_kind:     by_value
      - .offset:         8
        .size:           16
        .value_kind:     by_value
    .group_segment_fixed_size: 0
    .kernarg_segment_align: 8
    .kernarg_segment_size: 24
    .language:       OpenCL C
    .language_version:
      - 2
      - 0
    .max_flat_workgroup_size: 256
    .name:           _ZN2at6native29vectorized_elementwise_kernelILi4EZZZNS0_15sin_kernel_cudaERNS_18TensorIteratorBaseEENKUlvE0_clEvENKUlvE_clEvEUldE_St5arrayIPcLm2EEEEviT0_T1_
    .private_segment_fixed_size: 0
    .sgpr_count:     36
    .sgpr_spill_count: 0
    .symbol:         _ZN2at6native29vectorized_elementwise_kernelILi4EZZZNS0_15sin_kernel_cudaERNS_18TensorIteratorBaseEENKUlvE0_clEvENKUlvE_clEvEUldE_St5arrayIPcLm2EEEEviT0_T1_.kd
    .uniform_work_group_size: 1
    .uses_dynamic_stack: false
    .vgpr_count:     64
    .vgpr_spill_count: 0
    .wavefront_size: 32
    .workgroup_processor_mode: 1
  - .args:
      - .offset:         0
        .size:           4
        .value_kind:     by_value
      - .offset:         4
        .size:           1
        .value_kind:     by_value
      - .offset:         8
        .size:           16
        .value_kind:     by_value
    .group_segment_fixed_size: 0
    .kernarg_segment_align: 8
    .kernarg_segment_size: 24
    .language:       OpenCL C
    .language_version:
      - 2
      - 0
    .max_flat_workgroup_size: 256
    .name:           _ZN2at6native29vectorized_elementwise_kernelILi2EZZZNS0_15sin_kernel_cudaERNS_18TensorIteratorBaseEENKUlvE0_clEvENKUlvE_clEvEUldE_St5arrayIPcLm2EEEEviT0_T1_
    .private_segment_fixed_size: 0
    .sgpr_count:     36
    .sgpr_spill_count: 0
    .symbol:         _ZN2at6native29vectorized_elementwise_kernelILi2EZZZNS0_15sin_kernel_cudaERNS_18TensorIteratorBaseEENKUlvE0_clEvENKUlvE_clEvEUldE_St5arrayIPcLm2EEEEviT0_T1_.kd
    .uniform_work_group_size: 1
    .uses_dynamic_stack: false
    .vgpr_count:     64
    .vgpr_spill_count: 0
    .wavefront_size: 32
    .workgroup_processor_mode: 1
  - .args:
      - .offset:         0
        .size:           4
        .value_kind:     by_value
      - .offset:         4
        .size:           1
        .value_kind:     by_value
      - .offset:         8
        .size:           16
        .value_kind:     by_value
      - .offset:         24
        .size:           1
        .value_kind:     by_value
      - .offset:         25
        .size:           1
        .value_kind:     by_value
      - .offset:         26
        .size:           1
        .value_kind:     by_value
      - .offset:         27
        .size:           1
        .value_kind:     by_value
    .group_segment_fixed_size: 0
    .kernarg_segment_align: 8
    .kernarg_segment_size: 28
    .language:       OpenCL C
    .language_version:
      - 2
      - 0
    .max_flat_workgroup_size: 256
    .name:           _ZN2at6native27unrolled_elementwise_kernelIZZZNS0_15sin_kernel_cudaERNS_18TensorIteratorBaseEENKUlvE0_clEvENKUlvE_clEvEUldE_St5arrayIPcLm2EELi4E23TrivialOffsetCalculatorILi1EjESB_NS0_6memory15LoadWithoutCastENSC_16StoreWithoutCastEEEviT_T0_T2_T3_T4_T5_
    .private_segment_fixed_size: 0
    .sgpr_count:     14
    .sgpr_spill_count: 0
    .symbol:         _ZN2at6native27unrolled_elementwise_kernelIZZZNS0_15sin_kernel_cudaERNS_18TensorIteratorBaseEENKUlvE0_clEvENKUlvE_clEvEUldE_St5arrayIPcLm2EELi4E23TrivialOffsetCalculatorILi1EjESB_NS0_6memory15LoadWithoutCastENSC_16StoreWithoutCastEEEviT_T0_T2_T3_T4_T5_.kd
    .uniform_work_group_size: 1
    .uses_dynamic_stack: false
    .vgpr_count:     46
    .vgpr_spill_count: 0
    .wavefront_size: 32
    .workgroup_processor_mode: 1
  - .args:
      - .offset:         0
        .size:           4
        .value_kind:     by_value
      - .offset:         8
        .size:           352
        .value_kind:     by_value
    .group_segment_fixed_size: 0
    .kernarg_segment_align: 8
    .kernarg_segment_size: 360
    .language:       OpenCL C
    .language_version:
      - 2
      - 0
    .max_flat_workgroup_size: 128
    .name:           _ZN2at6native32elementwise_kernel_manual_unrollILi128ELi4EZNS0_22gpu_kernel_impl_nocastIZZZNS0_15sin_kernel_cudaERNS_18TensorIteratorBaseEENKUlvE0_clEvENKUlvE_clEvEUldE_EEvS4_RKT_EUlibE_EEviT1_
    .private_segment_fixed_size: 0
    .sgpr_count:     58
    .sgpr_spill_count: 0
    .symbol:         _ZN2at6native32elementwise_kernel_manual_unrollILi128ELi4EZNS0_22gpu_kernel_impl_nocastIZZZNS0_15sin_kernel_cudaERNS_18TensorIteratorBaseEENKUlvE0_clEvENKUlvE_clEvEUldE_EEvS4_RKT_EUlibE_EEviT1_.kd
    .uniform_work_group_size: 1
    .uses_dynamic_stack: false
    .vgpr_count:     62
    .vgpr_spill_count: 0
    .wavefront_size: 32
    .workgroup_processor_mode: 1
  - .args:
      - .offset:         0
        .size:           4
        .value_kind:     by_value
      - .offset:         8
        .size:           32
        .value_kind:     by_value
    .group_segment_fixed_size: 0
    .kernarg_segment_align: 8
    .kernarg_segment_size: 40
    .language:       OpenCL C
    .language_version:
      - 2
      - 0
    .max_flat_workgroup_size: 128
    .name:           _ZN2at6native32elementwise_kernel_manual_unrollILi128ELi4EZNS0_15gpu_kernel_implIZZZNS0_15sin_kernel_cudaERNS_18TensorIteratorBaseEENKUlvE0_clEvENKUlvE_clEvEUldE_EEvS4_RKT_EUlibE_EEviT1_
    .private_segment_fixed_size: 0
    .sgpr_count:     28
    .sgpr_spill_count: 0
    .symbol:         _ZN2at6native32elementwise_kernel_manual_unrollILi128ELi4EZNS0_15gpu_kernel_implIZZZNS0_15sin_kernel_cudaERNS_18TensorIteratorBaseEENKUlvE0_clEvENKUlvE_clEvEUldE_EEvS4_RKT_EUlibE_EEviT1_.kd
    .uniform_work_group_size: 1
    .uses_dynamic_stack: false
    .vgpr_count:     55
    .vgpr_spill_count: 0
    .wavefront_size: 32
    .workgroup_processor_mode: 1
  - .args:
      - .offset:         0
        .size:           4
        .value_kind:     by_value
      - .offset:         8
        .size:           352
        .value_kind:     by_value
    .group_segment_fixed_size: 0
    .kernarg_segment_align: 8
    .kernarg_segment_size: 360
    .language:       OpenCL C
    .language_version:
      - 2
      - 0
    .max_flat_workgroup_size: 128
    .name:           _ZN2at6native32elementwise_kernel_manual_unrollILi128ELi4EZNS0_15gpu_kernel_implIZZZNS0_15sin_kernel_cudaERNS_18TensorIteratorBaseEENKUlvE0_clEvENKUlvE_clEvEUldE_EEvS4_RKT_EUlibE0_EEviT1_
    .private_segment_fixed_size: 0
    .sgpr_count:     70
    .sgpr_spill_count: 0
    .symbol:         _ZN2at6native32elementwise_kernel_manual_unrollILi128ELi4EZNS0_15gpu_kernel_implIZZZNS0_15sin_kernel_cudaERNS_18TensorIteratorBaseEENKUlvE0_clEvENKUlvE_clEvEUldE_EEvS4_RKT_EUlibE0_EEviT1_.kd
    .uniform_work_group_size: 1
    .uses_dynamic_stack: false
    .vgpr_count:     59
    .vgpr_spill_count: 0
    .wavefront_size: 32
    .workgroup_processor_mode: 1
  - .args:
      - .offset:         0
        .size:           4
        .value_kind:     by_value
      - .offset:         4
        .size:           1
        .value_kind:     by_value
      - .offset:         8
        .size:           16
        .value_kind:     by_value
    .group_segment_fixed_size: 0
    .kernarg_segment_align: 8
    .kernarg_segment_size: 24
    .language:       OpenCL C
    .language_version:
      - 2
      - 0
    .max_flat_workgroup_size: 256
    .name:           _ZN2at6native29vectorized_elementwise_kernelILi16EZZZNS0_15sin_kernel_cudaERNS_18TensorIteratorBaseEENKUlvE0_clEvENKUlvE0_clEvEUlfE_St5arrayIPcLm2EEEEviT0_T1_
    .private_segment_fixed_size: 0
    .sgpr_count:     14
    .sgpr_spill_count: 0
    .symbol:         _ZN2at6native29vectorized_elementwise_kernelILi16EZZZNS0_15sin_kernel_cudaERNS_18TensorIteratorBaseEENKUlvE0_clEvENKUlvE0_clEvEUlfE_St5arrayIPcLm2EEEEviT0_T1_.kd
    .uniform_work_group_size: 1
    .uses_dynamic_stack: false
    .vgpr_count:     28
    .vgpr_spill_count: 0
    .wavefront_size: 32
    .workgroup_processor_mode: 1
  - .args:
      - .offset:         0
        .size:           4
        .value_kind:     by_value
      - .offset:         4
        .size:           1
        .value_kind:     by_value
      - .offset:         8
        .size:           16
        .value_kind:     by_value
    .group_segment_fixed_size: 0
    .kernarg_segment_align: 8
    .kernarg_segment_size: 24
    .language:       OpenCL C
    .language_version:
      - 2
      - 0
    .max_flat_workgroup_size: 256
    .name:           _ZN2at6native29vectorized_elementwise_kernelILi8EZZZNS0_15sin_kernel_cudaERNS_18TensorIteratorBaseEENKUlvE0_clEvENKUlvE0_clEvEUlfE_St5arrayIPcLm2EEEEviT0_T1_
    .private_segment_fixed_size: 0
    .sgpr_count:     14
    .sgpr_spill_count: 0
    .symbol:         _ZN2at6native29vectorized_elementwise_kernelILi8EZZZNS0_15sin_kernel_cudaERNS_18TensorIteratorBaseEENKUlvE0_clEvENKUlvE0_clEvEUlfE_St5arrayIPcLm2EEEEviT0_T1_.kd
    .uniform_work_group_size: 1
    .uses_dynamic_stack: false
    .vgpr_count:     28
    .vgpr_spill_count: 0
    .wavefront_size: 32
    .workgroup_processor_mode: 1
  - .args:
      - .offset:         0
        .size:           4
        .value_kind:     by_value
      - .offset:         4
        .size:           1
        .value_kind:     by_value
      - .offset:         8
        .size:           16
        .value_kind:     by_value
    .group_segment_fixed_size: 0
    .kernarg_segment_align: 8
    .kernarg_segment_size: 24
    .language:       OpenCL C
    .language_version:
      - 2
      - 0
    .max_flat_workgroup_size: 256
    .name:           _ZN2at6native29vectorized_elementwise_kernelILi4EZZZNS0_15sin_kernel_cudaERNS_18TensorIteratorBaseEENKUlvE0_clEvENKUlvE0_clEvEUlfE_St5arrayIPcLm2EEEEviT0_T1_
    .private_segment_fixed_size: 0
    .sgpr_count:     14
    .sgpr_spill_count: 0
    .symbol:         _ZN2at6native29vectorized_elementwise_kernelILi4EZZZNS0_15sin_kernel_cudaERNS_18TensorIteratorBaseEENKUlvE0_clEvENKUlvE0_clEvEUlfE_St5arrayIPcLm2EEEEviT0_T1_.kd
    .uniform_work_group_size: 1
    .uses_dynamic_stack: false
    .vgpr_count:     28
    .vgpr_spill_count: 0
    .wavefront_size: 32
    .workgroup_processor_mode: 1
  - .args:
      - .offset:         0
        .size:           4
        .value_kind:     by_value
      - .offset:         4
        .size:           1
        .value_kind:     by_value
      - .offset:         8
        .size:           16
        .value_kind:     by_value
    .group_segment_fixed_size: 0
    .kernarg_segment_align: 8
    .kernarg_segment_size: 24
    .language:       OpenCL C
    .language_version:
      - 2
      - 0
    .max_flat_workgroup_size: 256
    .name:           _ZN2at6native29vectorized_elementwise_kernelILi2EZZZNS0_15sin_kernel_cudaERNS_18TensorIteratorBaseEENKUlvE0_clEvENKUlvE0_clEvEUlfE_St5arrayIPcLm2EEEEviT0_T1_
    .private_segment_fixed_size: 0
    .sgpr_count:     14
    .sgpr_spill_count: 0
    .symbol:         _ZN2at6native29vectorized_elementwise_kernelILi2EZZZNS0_15sin_kernel_cudaERNS_18TensorIteratorBaseEENKUlvE0_clEvENKUlvE0_clEvEUlfE_St5arrayIPcLm2EEEEviT0_T1_.kd
    .uniform_work_group_size: 1
    .uses_dynamic_stack: false
    .vgpr_count:     28
    .vgpr_spill_count: 0
    .wavefront_size: 32
    .workgroup_processor_mode: 1
  - .args:
      - .offset:         0
        .size:           4
        .value_kind:     by_value
      - .offset:         4
        .size:           1
        .value_kind:     by_value
      - .offset:         8
        .size:           16
        .value_kind:     by_value
      - .offset:         24
        .size:           1
        .value_kind:     by_value
      - .offset:         25
        .size:           1
        .value_kind:     by_value
      - .offset:         26
        .size:           1
        .value_kind:     by_value
      - .offset:         27
        .size:           1
        .value_kind:     by_value
    .group_segment_fixed_size: 0
    .kernarg_segment_align: 8
    .kernarg_segment_size: 28
    .language:       OpenCL C
    .language_version:
      - 2
      - 0
    .max_flat_workgroup_size: 256
    .name:           _ZN2at6native27unrolled_elementwise_kernelIZZZNS0_15sin_kernel_cudaERNS_18TensorIteratorBaseEENKUlvE0_clEvENKUlvE0_clEvEUlfE_St5arrayIPcLm2EELi4E23TrivialOffsetCalculatorILi1EjESB_NS0_6memory15LoadWithoutCastENSC_16StoreWithoutCastEEEviT_T0_T2_T3_T4_T5_
    .private_segment_fixed_size: 0
    .sgpr_count:     14
    .sgpr_spill_count: 0
    .symbol:         _ZN2at6native27unrolled_elementwise_kernelIZZZNS0_15sin_kernel_cudaERNS_18TensorIteratorBaseEENKUlvE0_clEvENKUlvE0_clEvEUlfE_St5arrayIPcLm2EELi4E23TrivialOffsetCalculatorILi1EjESB_NS0_6memory15LoadWithoutCastENSC_16StoreWithoutCastEEEviT_T0_T2_T3_T4_T5_.kd
    .uniform_work_group_size: 1
    .uses_dynamic_stack: false
    .vgpr_count:     22
    .vgpr_spill_count: 0
    .wavefront_size: 32
    .workgroup_processor_mode: 1
  - .args:
      - .offset:         0
        .size:           4
        .value_kind:     by_value
      - .offset:         8
        .size:           352
        .value_kind:     by_value
    .group_segment_fixed_size: 0
    .kernarg_segment_align: 8
    .kernarg_segment_size: 360
    .language:       OpenCL C
    .language_version:
      - 2
      - 0
    .max_flat_workgroup_size: 128
    .name:           _ZN2at6native32elementwise_kernel_manual_unrollILi128ELi4EZNS0_22gpu_kernel_impl_nocastIZZZNS0_15sin_kernel_cudaERNS_18TensorIteratorBaseEENKUlvE0_clEvENKUlvE0_clEvEUlfE_EEvS4_RKT_EUlibE_EEviT1_
    .private_segment_fixed_size: 0
    .sgpr_count:     58
    .sgpr_spill_count: 0
    .symbol:         _ZN2at6native32elementwise_kernel_manual_unrollILi128ELi4EZNS0_22gpu_kernel_impl_nocastIZZZNS0_15sin_kernel_cudaERNS_18TensorIteratorBaseEENKUlvE0_clEvENKUlvE0_clEvEUlfE_EEvS4_RKT_EUlibE_EEviT1_.kd
    .uniform_work_group_size: 1
    .uses_dynamic_stack: false
    .vgpr_count:     30
    .vgpr_spill_count: 0
    .wavefront_size: 32
    .workgroup_processor_mode: 1
  - .args:
      - .offset:         0
        .size:           4
        .value_kind:     by_value
      - .offset:         8
        .size:           32
        .value_kind:     by_value
    .group_segment_fixed_size: 0
    .kernarg_segment_align: 8
    .kernarg_segment_size: 40
    .language:       OpenCL C
    .language_version:
      - 2
      - 0
    .max_flat_workgroup_size: 128
    .name:           _ZN2at6native32elementwise_kernel_manual_unrollILi128ELi4EZNS0_15gpu_kernel_implIZZZNS0_15sin_kernel_cudaERNS_18TensorIteratorBaseEENKUlvE0_clEvENKUlvE0_clEvEUlfE_EEvS4_RKT_EUlibE_EEviT1_
    .private_segment_fixed_size: 0
    .sgpr_count:     28
    .sgpr_spill_count: 0
    .symbol:         _ZN2at6native32elementwise_kernel_manual_unrollILi128ELi4EZNS0_15gpu_kernel_implIZZZNS0_15sin_kernel_cudaERNS_18TensorIteratorBaseEENKUlvE0_clEvENKUlvE0_clEvEUlfE_EEvS4_RKT_EUlibE_EEviT1_.kd
    .uniform_work_group_size: 1
    .uses_dynamic_stack: false
    .vgpr_count:     27
    .vgpr_spill_count: 0
    .wavefront_size: 32
    .workgroup_processor_mode: 1
  - .args:
      - .offset:         0
        .size:           4
        .value_kind:     by_value
      - .offset:         8
        .size:           352
        .value_kind:     by_value
    .group_segment_fixed_size: 0
    .kernarg_segment_align: 8
    .kernarg_segment_size: 360
    .language:       OpenCL C
    .language_version:
      - 2
      - 0
    .max_flat_workgroup_size: 128
    .name:           _ZN2at6native32elementwise_kernel_manual_unrollILi128ELi4EZNS0_15gpu_kernel_implIZZZNS0_15sin_kernel_cudaERNS_18TensorIteratorBaseEENKUlvE0_clEvENKUlvE0_clEvEUlfE_EEvS4_RKT_EUlibE0_EEviT1_
    .private_segment_fixed_size: 0
    .sgpr_count:     70
    .sgpr_spill_count: 0
    .symbol:         _ZN2at6native32elementwise_kernel_manual_unrollILi128ELi4EZNS0_15gpu_kernel_implIZZZNS0_15sin_kernel_cudaERNS_18TensorIteratorBaseEENKUlvE0_clEvENKUlvE0_clEvEUlfE_EEvS4_RKT_EUlibE0_EEviT1_.kd
    .uniform_work_group_size: 1
    .uses_dynamic_stack: false
    .vgpr_count:     30
    .vgpr_spill_count: 0
    .wavefront_size: 32
    .workgroup_processor_mode: 1
  - .args:
      - .offset:         0
        .size:           4
        .value_kind:     by_value
      - .offset:         4
        .size:           1
        .value_kind:     by_value
      - .offset:         8
        .size:           16
        .value_kind:     by_value
    .group_segment_fixed_size: 0
    .kernarg_segment_align: 8
    .kernarg_segment_size: 24
    .language:       OpenCL C
    .language_version:
      - 2
      - 0
    .max_flat_workgroup_size: 256
    .name:           _ZN2at6native29vectorized_elementwise_kernelILi16EZZZNS0_15sin_kernel_cudaERNS_18TensorIteratorBaseEENKUlvE0_clEvENKUlvE1_clEvEUlN3c104HalfEE_St5arrayIPcLm2EEEEviT0_T1_
    .private_segment_fixed_size: 0
    .sgpr_count:     35
    .sgpr_spill_count: 0
    .symbol:         _ZN2at6native29vectorized_elementwise_kernelILi16EZZZNS0_15sin_kernel_cudaERNS_18TensorIteratorBaseEENKUlvE0_clEvENKUlvE1_clEvEUlN3c104HalfEE_St5arrayIPcLm2EEEEviT0_T1_.kd
    .uniform_work_group_size: 1
    .uses_dynamic_stack: false
    .vgpr_count:     71
    .vgpr_spill_count: 0
    .wavefront_size: 32
    .workgroup_processor_mode: 1
  - .args:
      - .offset:         0
        .size:           4
        .value_kind:     by_value
      - .offset:         4
        .size:           1
        .value_kind:     by_value
      - .offset:         8
        .size:           16
        .value_kind:     by_value
    .group_segment_fixed_size: 0
    .kernarg_segment_align: 8
    .kernarg_segment_size: 24
    .language:       OpenCL C
    .language_version:
      - 2
      - 0
    .max_flat_workgroup_size: 256
    .name:           _ZN2at6native29vectorized_elementwise_kernelILi8EZZZNS0_15sin_kernel_cudaERNS_18TensorIteratorBaseEENKUlvE0_clEvENKUlvE1_clEvEUlN3c104HalfEE_St5arrayIPcLm2EEEEviT0_T1_
    .private_segment_fixed_size: 0
    .sgpr_count:     35
    .sgpr_spill_count: 0
    .symbol:         _ZN2at6native29vectorized_elementwise_kernelILi8EZZZNS0_15sin_kernel_cudaERNS_18TensorIteratorBaseEENKUlvE0_clEvENKUlvE1_clEvEUlN3c104HalfEE_St5arrayIPcLm2EEEEviT0_T1_.kd
    .uniform_work_group_size: 1
    .uses_dynamic_stack: false
    .vgpr_count:     71
    .vgpr_spill_count: 0
    .wavefront_size: 32
    .workgroup_processor_mode: 1
  - .args:
      - .offset:         0
        .size:           4
        .value_kind:     by_value
      - .offset:         4
        .size:           1
        .value_kind:     by_value
      - .offset:         8
        .size:           16
        .value_kind:     by_value
    .group_segment_fixed_size: 0
    .kernarg_segment_align: 8
    .kernarg_segment_size: 24
    .language:       OpenCL C
    .language_version:
      - 2
      - 0
    .max_flat_workgroup_size: 256
    .name:           _ZN2at6native29vectorized_elementwise_kernelILi4EZZZNS0_15sin_kernel_cudaERNS_18TensorIteratorBaseEENKUlvE0_clEvENKUlvE1_clEvEUlN3c104HalfEE_St5arrayIPcLm2EEEEviT0_T1_
    .private_segment_fixed_size: 0
    .sgpr_count:     35
    .sgpr_spill_count: 0
    .symbol:         _ZN2at6native29vectorized_elementwise_kernelILi4EZZZNS0_15sin_kernel_cudaERNS_18TensorIteratorBaseEENKUlvE0_clEvENKUlvE1_clEvEUlN3c104HalfEE_St5arrayIPcLm2EEEEviT0_T1_.kd
    .uniform_work_group_size: 1
    .uses_dynamic_stack: false
    .vgpr_count:     53
    .vgpr_spill_count: 0
    .wavefront_size: 32
    .workgroup_processor_mode: 1
  - .args:
      - .offset:         0
        .size:           4
        .value_kind:     by_value
      - .offset:         4
        .size:           1
        .value_kind:     by_value
      - .offset:         8
        .size:           16
        .value_kind:     by_value
    .group_segment_fixed_size: 0
    .kernarg_segment_align: 8
    .kernarg_segment_size: 24
    .language:       OpenCL C
    .language_version:
      - 2
      - 0
    .max_flat_workgroup_size: 256
    .name:           _ZN2at6native29vectorized_elementwise_kernelILi2EZZZNS0_15sin_kernel_cudaERNS_18TensorIteratorBaseEENKUlvE0_clEvENKUlvE1_clEvEUlN3c104HalfEE_St5arrayIPcLm2EEEEviT0_T1_
    .private_segment_fixed_size: 0
    .sgpr_count:     35
    .sgpr_spill_count: 0
    .symbol:         _ZN2at6native29vectorized_elementwise_kernelILi2EZZZNS0_15sin_kernel_cudaERNS_18TensorIteratorBaseEENKUlvE0_clEvENKUlvE1_clEvEUlN3c104HalfEE_St5arrayIPcLm2EEEEviT0_T1_.kd
    .uniform_work_group_size: 1
    .uses_dynamic_stack: false
    .vgpr_count:     54
    .vgpr_spill_count: 0
    .wavefront_size: 32
    .workgroup_processor_mode: 1
  - .args:
      - .offset:         0
        .size:           4
        .value_kind:     by_value
      - .offset:         4
        .size:           1
        .value_kind:     by_value
      - .offset:         8
        .size:           16
        .value_kind:     by_value
      - .offset:         24
        .size:           1
        .value_kind:     by_value
      - .offset:         25
        .size:           1
        .value_kind:     by_value
      - .offset:         26
        .size:           1
        .value_kind:     by_value
      - .offset:         27
        .size:           1
        .value_kind:     by_value
    .group_segment_fixed_size: 0
    .kernarg_segment_align: 8
    .kernarg_segment_size: 28
    .language:       OpenCL C
    .language_version:
      - 2
      - 0
    .max_flat_workgroup_size: 256
    .name:           _ZN2at6native27unrolled_elementwise_kernelIZZZNS0_15sin_kernel_cudaERNS_18TensorIteratorBaseEENKUlvE0_clEvENKUlvE1_clEvEUlN3c104HalfEE_St5arrayIPcLm2EELi4E23TrivialOffsetCalculatorILi1EjESD_NS0_6memory15LoadWithoutCastENSE_16StoreWithoutCastEEEviT_T0_T2_T3_T4_T5_
    .private_segment_fixed_size: 0
    .sgpr_count:     14
    .sgpr_spill_count: 0
    .symbol:         _ZN2at6native27unrolled_elementwise_kernelIZZZNS0_15sin_kernel_cudaERNS_18TensorIteratorBaseEENKUlvE0_clEvENKUlvE1_clEvEUlN3c104HalfEE_St5arrayIPcLm2EELi4E23TrivialOffsetCalculatorILi1EjESD_NS0_6memory15LoadWithoutCastENSE_16StoreWithoutCastEEEviT_T0_T2_T3_T4_T5_.kd
    .uniform_work_group_size: 1
    .uses_dynamic_stack: false
    .vgpr_count:     20
    .vgpr_spill_count: 0
    .wavefront_size: 32
    .workgroup_processor_mode: 1
  - .args:
      - .offset:         0
        .size:           4
        .value_kind:     by_value
      - .offset:         8
        .size:           352
        .value_kind:     by_value
    .group_segment_fixed_size: 0
    .kernarg_segment_align: 8
    .kernarg_segment_size: 360
    .language:       OpenCL C
    .language_version:
      - 2
      - 0
    .max_flat_workgroup_size: 128
    .name:           _ZN2at6native32elementwise_kernel_manual_unrollILi128ELi8EZNS0_22gpu_kernel_impl_nocastIZZZNS0_15sin_kernel_cudaERNS_18TensorIteratorBaseEENKUlvE0_clEvENKUlvE1_clEvEUlN3c104HalfEE_EEvS4_RKT_EUlibE_EEviT1_
    .private_segment_fixed_size: 0
    .sgpr_count:     58
    .sgpr_spill_count: 0
    .symbol:         _ZN2at6native32elementwise_kernel_manual_unrollILi128ELi8EZNS0_22gpu_kernel_impl_nocastIZZZNS0_15sin_kernel_cudaERNS_18TensorIteratorBaseEENKUlvE0_clEvENKUlvE1_clEvEUlN3c104HalfEE_EEvS4_RKT_EUlibE_EEviT1_.kd
    .uniform_work_group_size: 1
    .uses_dynamic_stack: false
    .vgpr_count:     50
    .vgpr_spill_count: 0
    .wavefront_size: 32
    .workgroup_processor_mode: 1
  - .args:
      - .offset:         0
        .size:           4
        .value_kind:     by_value
      - .offset:         8
        .size:           32
        .value_kind:     by_value
    .group_segment_fixed_size: 0
    .kernarg_segment_align: 8
    .kernarg_segment_size: 40
    .language:       OpenCL C
    .language_version:
      - 2
      - 0
    .max_flat_workgroup_size: 128
    .name:           _ZN2at6native32elementwise_kernel_manual_unrollILi128ELi4EZNS0_15gpu_kernel_implIZZZNS0_15sin_kernel_cudaERNS_18TensorIteratorBaseEENKUlvE0_clEvENKUlvE1_clEvEUlN3c104HalfEE_EEvS4_RKT_EUlibE_EEviT1_
    .private_segment_fixed_size: 0
    .sgpr_count:     28
    .sgpr_spill_count: 0
    .symbol:         _ZN2at6native32elementwise_kernel_manual_unrollILi128ELi4EZNS0_15gpu_kernel_implIZZZNS0_15sin_kernel_cudaERNS_18TensorIteratorBaseEENKUlvE0_clEvENKUlvE1_clEvEUlN3c104HalfEE_EEvS4_RKT_EUlibE_EEviT1_.kd
    .uniform_work_group_size: 1
    .uses_dynamic_stack: false
    .vgpr_count:     27
    .vgpr_spill_count: 0
    .wavefront_size: 32
    .workgroup_processor_mode: 1
  - .args:
      - .offset:         0
        .size:           4
        .value_kind:     by_value
      - .offset:         8
        .size:           352
        .value_kind:     by_value
    .group_segment_fixed_size: 0
    .kernarg_segment_align: 8
    .kernarg_segment_size: 360
    .language:       OpenCL C
    .language_version:
      - 2
      - 0
    .max_flat_workgroup_size: 128
    .name:           _ZN2at6native32elementwise_kernel_manual_unrollILi128ELi4EZNS0_15gpu_kernel_implIZZZNS0_15sin_kernel_cudaERNS_18TensorIteratorBaseEENKUlvE0_clEvENKUlvE1_clEvEUlN3c104HalfEE_EEvS4_RKT_EUlibE0_EEviT1_
    .private_segment_fixed_size: 0
    .sgpr_count:     70
    .sgpr_spill_count: 0
    .symbol:         _ZN2at6native32elementwise_kernel_manual_unrollILi128ELi4EZNS0_15gpu_kernel_implIZZZNS0_15sin_kernel_cudaERNS_18TensorIteratorBaseEENKUlvE0_clEvENKUlvE1_clEvEUlN3c104HalfEE_EEvS4_RKT_EUlibE0_EEviT1_.kd
    .uniform_work_group_size: 1
    .uses_dynamic_stack: false
    .vgpr_count:     30
    .vgpr_spill_count: 0
    .wavefront_size: 32
    .workgroup_processor_mode: 1
  - .args:
      - .offset:         0
        .size:           4
        .value_kind:     by_value
      - .offset:         4
        .size:           1
        .value_kind:     by_value
      - .offset:         8
        .size:           16
        .value_kind:     by_value
    .group_segment_fixed_size: 0
    .kernarg_segment_align: 8
    .kernarg_segment_size: 24
    .language:       OpenCL C
    .language_version:
      - 2
      - 0
    .max_flat_workgroup_size: 256
    .name:           _ZN2at6native29vectorized_elementwise_kernelILi16EZZZNS0_15sin_kernel_cudaERNS_18TensorIteratorBaseEENKUlvE0_clEvENKUlvE2_clEvEUlN3c108BFloat16EE_St5arrayIPcLm2EEEEviT0_T1_
    .private_segment_fixed_size: 0
    .sgpr_count:     35
    .sgpr_spill_count: 0
    .symbol:         _ZN2at6native29vectorized_elementwise_kernelILi16EZZZNS0_15sin_kernel_cudaERNS_18TensorIteratorBaseEENKUlvE0_clEvENKUlvE2_clEvEUlN3c108BFloat16EE_St5arrayIPcLm2EEEEviT0_T1_.kd
    .uniform_work_group_size: 1
    .uses_dynamic_stack: false
    .vgpr_count:     84
    .vgpr_spill_count: 0
    .wavefront_size: 32
    .workgroup_processor_mode: 1
  - .args:
      - .offset:         0
        .size:           4
        .value_kind:     by_value
      - .offset:         4
        .size:           1
        .value_kind:     by_value
      - .offset:         8
        .size:           16
        .value_kind:     by_value
    .group_segment_fixed_size: 0
    .kernarg_segment_align: 8
    .kernarg_segment_size: 24
    .language:       OpenCL C
    .language_version:
      - 2
      - 0
    .max_flat_workgroup_size: 256
    .name:           _ZN2at6native29vectorized_elementwise_kernelILi8EZZZNS0_15sin_kernel_cudaERNS_18TensorIteratorBaseEENKUlvE0_clEvENKUlvE2_clEvEUlN3c108BFloat16EE_St5arrayIPcLm2EEEEviT0_T1_
    .private_segment_fixed_size: 0
    .sgpr_count:     35
    .sgpr_spill_count: 0
    .symbol:         _ZN2at6native29vectorized_elementwise_kernelILi8EZZZNS0_15sin_kernel_cudaERNS_18TensorIteratorBaseEENKUlvE0_clEvENKUlvE2_clEvEUlN3c108BFloat16EE_St5arrayIPcLm2EEEEviT0_T1_.kd
    .uniform_work_group_size: 1
    .uses_dynamic_stack: false
    .vgpr_count:     84
    .vgpr_spill_count: 0
    .wavefront_size: 32
    .workgroup_processor_mode: 1
  - .args:
      - .offset:         0
        .size:           4
        .value_kind:     by_value
      - .offset:         4
        .size:           1
        .value_kind:     by_value
      - .offset:         8
        .size:           16
        .value_kind:     by_value
    .group_segment_fixed_size: 0
    .kernarg_segment_align: 8
    .kernarg_segment_size: 24
    .language:       OpenCL C
    .language_version:
      - 2
      - 0
    .max_flat_workgroup_size: 256
    .name:           _ZN2at6native29vectorized_elementwise_kernelILi4EZZZNS0_15sin_kernel_cudaERNS_18TensorIteratorBaseEENKUlvE0_clEvENKUlvE2_clEvEUlN3c108BFloat16EE_St5arrayIPcLm2EEEEviT0_T1_
    .private_segment_fixed_size: 0
    .sgpr_count:     35
    .sgpr_spill_count: 0
    .symbol:         _ZN2at6native29vectorized_elementwise_kernelILi4EZZZNS0_15sin_kernel_cudaERNS_18TensorIteratorBaseEENKUlvE0_clEvENKUlvE2_clEvEUlN3c108BFloat16EE_St5arrayIPcLm2EEEEviT0_T1_.kd
    .uniform_work_group_size: 1
    .uses_dynamic_stack: false
    .vgpr_count:     44
    .vgpr_spill_count: 0
    .wavefront_size: 32
    .workgroup_processor_mode: 1
  - .args:
      - .offset:         0
        .size:           4
        .value_kind:     by_value
      - .offset:         4
        .size:           1
        .value_kind:     by_value
      - .offset:         8
        .size:           16
        .value_kind:     by_value
    .group_segment_fixed_size: 0
    .kernarg_segment_align: 8
    .kernarg_segment_size: 24
    .language:       OpenCL C
    .language_version:
      - 2
      - 0
    .max_flat_workgroup_size: 256
    .name:           _ZN2at6native29vectorized_elementwise_kernelILi2EZZZNS0_15sin_kernel_cudaERNS_18TensorIteratorBaseEENKUlvE0_clEvENKUlvE2_clEvEUlN3c108BFloat16EE_St5arrayIPcLm2EEEEviT0_T1_
    .private_segment_fixed_size: 0
    .sgpr_count:     35
    .sgpr_spill_count: 0
    .symbol:         _ZN2at6native29vectorized_elementwise_kernelILi2EZZZNS0_15sin_kernel_cudaERNS_18TensorIteratorBaseEENKUlvE0_clEvENKUlvE2_clEvEUlN3c108BFloat16EE_St5arrayIPcLm2EEEEviT0_T1_.kd
    .uniform_work_group_size: 1
    .uses_dynamic_stack: false
    .vgpr_count:     44
    .vgpr_spill_count: 0
    .wavefront_size: 32
    .workgroup_processor_mode: 1
  - .args:
      - .offset:         0
        .size:           4
        .value_kind:     by_value
      - .offset:         4
        .size:           1
        .value_kind:     by_value
      - .offset:         8
        .size:           16
        .value_kind:     by_value
      - .offset:         24
        .size:           1
        .value_kind:     by_value
      - .offset:         25
        .size:           1
        .value_kind:     by_value
      - .offset:         26
        .size:           1
        .value_kind:     by_value
      - .offset:         27
        .size:           1
        .value_kind:     by_value
    .group_segment_fixed_size: 0
    .kernarg_segment_align: 8
    .kernarg_segment_size: 28
    .language:       OpenCL C
    .language_version:
      - 2
      - 0
    .max_flat_workgroup_size: 256
    .name:           _ZN2at6native27unrolled_elementwise_kernelIZZZNS0_15sin_kernel_cudaERNS_18TensorIteratorBaseEENKUlvE0_clEvENKUlvE2_clEvEUlN3c108BFloat16EE_St5arrayIPcLm2EELi4E23TrivialOffsetCalculatorILi1EjESD_NS0_6memory15LoadWithoutCastENSE_16StoreWithoutCastEEEviT_T0_T2_T3_T4_T5_
    .private_segment_fixed_size: 0
    .sgpr_count:     14
    .sgpr_spill_count: 0
    .symbol:         _ZN2at6native27unrolled_elementwise_kernelIZZZNS0_15sin_kernel_cudaERNS_18TensorIteratorBaseEENKUlvE0_clEvENKUlvE2_clEvEUlN3c108BFloat16EE_St5arrayIPcLm2EELi4E23TrivialOffsetCalculatorILi1EjESD_NS0_6memory15LoadWithoutCastENSE_16StoreWithoutCastEEEviT_T0_T2_T3_T4_T5_.kd
    .uniform_work_group_size: 1
    .uses_dynamic_stack: false
    .vgpr_count:     20
    .vgpr_spill_count: 0
    .wavefront_size: 32
    .workgroup_processor_mode: 1
  - .args:
      - .offset:         0
        .size:           4
        .value_kind:     by_value
      - .offset:         8
        .size:           352
        .value_kind:     by_value
    .group_segment_fixed_size: 0
    .kernarg_segment_align: 8
    .kernarg_segment_size: 360
    .language:       OpenCL C
    .language_version:
      - 2
      - 0
    .max_flat_workgroup_size: 128
    .name:           _ZN2at6native32elementwise_kernel_manual_unrollILi128ELi8EZNS0_22gpu_kernel_impl_nocastIZZZNS0_15sin_kernel_cudaERNS_18TensorIteratorBaseEENKUlvE0_clEvENKUlvE2_clEvEUlN3c108BFloat16EE_EEvS4_RKT_EUlibE_EEviT1_
    .private_segment_fixed_size: 0
    .sgpr_count:     58
    .sgpr_spill_count: 0
    .symbol:         _ZN2at6native32elementwise_kernel_manual_unrollILi128ELi8EZNS0_22gpu_kernel_impl_nocastIZZZNS0_15sin_kernel_cudaERNS_18TensorIteratorBaseEENKUlvE0_clEvENKUlvE2_clEvEUlN3c108BFloat16EE_EEvS4_RKT_EUlibE_EEviT1_.kd
    .uniform_work_group_size: 1
    .uses_dynamic_stack: false
    .vgpr_count:     50
    .vgpr_spill_count: 0
    .wavefront_size: 32
    .workgroup_processor_mode: 1
  - .args:
      - .offset:         0
        .size:           4
        .value_kind:     by_value
      - .offset:         8
        .size:           32
        .value_kind:     by_value
    .group_segment_fixed_size: 0
    .kernarg_segment_align: 8
    .kernarg_segment_size: 40
    .language:       OpenCL C
    .language_version:
      - 2
      - 0
    .max_flat_workgroup_size: 128
    .name:           _ZN2at6native32elementwise_kernel_manual_unrollILi128ELi4EZNS0_15gpu_kernel_implIZZZNS0_15sin_kernel_cudaERNS_18TensorIteratorBaseEENKUlvE0_clEvENKUlvE2_clEvEUlN3c108BFloat16EE_EEvS4_RKT_EUlibE_EEviT1_
    .private_segment_fixed_size: 0
    .sgpr_count:     28
    .sgpr_spill_count: 0
    .symbol:         _ZN2at6native32elementwise_kernel_manual_unrollILi128ELi4EZNS0_15gpu_kernel_implIZZZNS0_15sin_kernel_cudaERNS_18TensorIteratorBaseEENKUlvE0_clEvENKUlvE2_clEvEUlN3c108BFloat16EE_EEvS4_RKT_EUlibE_EEviT1_.kd
    .uniform_work_group_size: 1
    .uses_dynamic_stack: false
    .vgpr_count:     27
    .vgpr_spill_count: 0
    .wavefront_size: 32
    .workgroup_processor_mode: 1
  - .args:
      - .offset:         0
        .size:           4
        .value_kind:     by_value
      - .offset:         8
        .size:           352
        .value_kind:     by_value
    .group_segment_fixed_size: 0
    .kernarg_segment_align: 8
    .kernarg_segment_size: 360
    .language:       OpenCL C
    .language_version:
      - 2
      - 0
    .max_flat_workgroup_size: 128
    .name:           _ZN2at6native32elementwise_kernel_manual_unrollILi128ELi4EZNS0_15gpu_kernel_implIZZZNS0_15sin_kernel_cudaERNS_18TensorIteratorBaseEENKUlvE0_clEvENKUlvE2_clEvEUlN3c108BFloat16EE_EEvS4_RKT_EUlibE0_EEviT1_
    .private_segment_fixed_size: 0
    .sgpr_count:     70
    .sgpr_spill_count: 0
    .symbol:         _ZN2at6native32elementwise_kernel_manual_unrollILi128ELi4EZNS0_15gpu_kernel_implIZZZNS0_15sin_kernel_cudaERNS_18TensorIteratorBaseEENKUlvE0_clEvENKUlvE2_clEvEUlN3c108BFloat16EE_EEvS4_RKT_EUlibE0_EEviT1_.kd
    .uniform_work_group_size: 1
    .uses_dynamic_stack: false
    .vgpr_count:     30
    .vgpr_spill_count: 0
    .wavefront_size: 32
    .workgroup_processor_mode: 1
amdhsa.target:   amdgcn-amd-amdhsa--gfx1030
amdhsa.version:
  - 1
  - 2
...

	.end_amdgpu_metadata
